;; amdgpu-corpus repo=pytorch/pytorch kind=compiled arch=gfx1100 opt=O3
	.text
	.amdgcn_target "amdgcn-amd-amdhsa--gfx1100"
	.amdhsa_code_object_version 6
	.section	.text._ZN2at6native12_GLOBAL__N_127reflection_pad2d_out_kernelIhEEvPKT_PS3_lliiiiiii,"axG",@progbits,_ZN2at6native12_GLOBAL__N_127reflection_pad2d_out_kernelIhEEvPKT_PS3_lliiiiiii,comdat
	.globl	_ZN2at6native12_GLOBAL__N_127reflection_pad2d_out_kernelIhEEvPKT_PS3_lliiiiiii ; -- Begin function _ZN2at6native12_GLOBAL__N_127reflection_pad2d_out_kernelIhEEvPKT_PS3_lliiiiiii
	.p2align	8
	.type	_ZN2at6native12_GLOBAL__N_127reflection_pad2d_out_kernelIhEEvPKT_PS3_lliiiiiii,@function
_ZN2at6native12_GLOBAL__N_127reflection_pad2d_out_kernelIhEEvPKT_PS3_lliiiiiii: ; @_ZN2at6native12_GLOBAL__N_127reflection_pad2d_out_kernelIhEEvPKT_PS3_lliiiiiii
; %bb.0:
	s_clause 0x2
	s_load_b32 s2, s[0:1], 0x4c
	s_load_b128 s[16:19], s[0:1], 0x20
	s_load_b256 s[4:11], s[0:1], 0x0
	s_waitcnt lgkmcnt(0)
	s_and_b32 s2, s2, 0xffff
	s_ashr_i32 s21, s18, 31
	s_add_u32 s29, s18, s8
	v_mad_u64_u32 v[1:2], null, s13, s2, v[0:1]
	s_addc_u32 s30, s21, s9
	s_ashr_i32 s2, s19, 31
	s_add_u32 s26, s29, s19
	s_addc_u32 s3, s30, s2
	s_ashr_i32 s13, s16, 31
	s_add_u32 s31, s16, s10
	s_addc_u32 s33, s13, s11
	s_ashr_i32 s2, s17, 31
	s_add_u32 s28, s31, s17
	s_addc_u32 s27, s33, s2
	s_mul_hi_u32 s2, s26, s28
	s_mul_i32 s12, s26, s27
	v_mov_b32_e32 v2, 0
	s_mul_i32 s17, s3, s28
	s_add_i32 s2, s2, s12
	s_mul_i32 s22, s26, s28
	s_add_i32 s23, s2, s17
	s_mov_b32 s2, exec_lo
	v_cmpx_gt_i64_e64 s[22:23], v[1:2]
	s_cbranch_execz .LBB0_5
; %bb.1:
	s_mov_b32 s20, s18
	s_mov_b32 s12, s16
	s_load_b128 s[16:19], s[0:1], 0x30
	s_mov_b32 s2, 0
	s_delay_alu instid0(SALU_CYCLE_1)
	s_cmp_lg_u64 s[2:3], 0
	s_cbranch_scc0 .LBB0_6
; %bb.2:
	s_ashr_i32 s22, s3, 31
	s_delay_alu instid0(SALU_CYCLE_1) | instskip(SKIP_2) | instid1(SALU_CYCLE_1)
	s_add_u32 s0, s26, s22
	s_mov_b32 s23, s22
	s_addc_u32 s1, s3, s22
	s_xor_b64 s[24:25], s[0:1], s[22:23]
	s_delay_alu instid0(SALU_CYCLE_1) | instskip(SKIP_3) | instid1(VALU_DEP_1)
	v_cvt_f32_u32_e32 v0, s24
	v_cvt_f32_u32_e32 v2, s25
	s_sub_u32 s0, 0, s24
	s_subb_u32 s1, 0, s25
	v_fmamk_f32 v0, v2, 0x4f800000, v0
	s_delay_alu instid0(VALU_DEP_1) | instskip(SKIP_2) | instid1(VALU_DEP_1)
	v_rcp_f32_e32 v0, v0
	s_waitcnt_depctr 0xfff
	v_mul_f32_e32 v0, 0x5f7ffffc, v0
	v_mul_f32_e32 v2, 0x2f800000, v0
	s_delay_alu instid0(VALU_DEP_1) | instskip(NEXT) | instid1(VALU_DEP_1)
	v_trunc_f32_e32 v2, v2
	v_fmamk_f32 v0, v2, 0xcf800000, v0
	v_cvt_u32_f32_e32 v2, v2
	s_delay_alu instid0(VALU_DEP_2) | instskip(NEXT) | instid1(VALU_DEP_2)
	v_cvt_u32_f32_e32 v0, v0
	v_mul_lo_u32 v3, s0, v2
	s_delay_alu instid0(VALU_DEP_2) | instskip(SKIP_1) | instid1(VALU_DEP_2)
	v_mul_hi_u32 v4, s0, v0
	v_mul_lo_u32 v5, s1, v0
	v_add_nc_u32_e32 v3, v4, v3
	v_mul_lo_u32 v4, s0, v0
	s_delay_alu instid0(VALU_DEP_2) | instskip(NEXT) | instid1(VALU_DEP_2)
	v_add_nc_u32_e32 v3, v3, v5
	v_mul_hi_u32 v5, v0, v4
	s_delay_alu instid0(VALU_DEP_2)
	v_mul_lo_u32 v6, v0, v3
	v_mul_hi_u32 v7, v0, v3
	v_mul_hi_u32 v8, v2, v4
	v_mul_lo_u32 v4, v2, v4
	v_mul_hi_u32 v9, v2, v3
	v_mul_lo_u32 v3, v2, v3
	v_add_co_u32 v5, vcc_lo, v5, v6
	v_add_co_ci_u32_e32 v6, vcc_lo, 0, v7, vcc_lo
	s_delay_alu instid0(VALU_DEP_2) | instskip(NEXT) | instid1(VALU_DEP_2)
	v_add_co_u32 v4, vcc_lo, v5, v4
	v_add_co_ci_u32_e32 v4, vcc_lo, v6, v8, vcc_lo
	v_add_co_ci_u32_e32 v5, vcc_lo, 0, v9, vcc_lo
	v_ashrrev_i32_e64 v8, 31, 0
	s_delay_alu instid0(VALU_DEP_3) | instskip(NEXT) | instid1(VALU_DEP_3)
	v_add_co_u32 v3, vcc_lo, v4, v3
	v_add_co_ci_u32_e32 v4, vcc_lo, 0, v5, vcc_lo
	s_delay_alu instid0(VALU_DEP_2) | instskip(NEXT) | instid1(VALU_DEP_2)
	v_add_co_u32 v0, vcc_lo, v0, v3
	v_add_co_ci_u32_e32 v2, vcc_lo, v2, v4, vcc_lo
	s_delay_alu instid0(VALU_DEP_2) | instskip(SKIP_1) | instid1(VALU_DEP_3)
	v_mul_hi_u32 v3, s0, v0
	v_mul_lo_u32 v5, s1, v0
	v_mul_lo_u32 v4, s0, v2
	s_delay_alu instid0(VALU_DEP_1) | instskip(SKIP_1) | instid1(VALU_DEP_2)
	v_add_nc_u32_e32 v3, v3, v4
	v_mul_lo_u32 v4, s0, v0
	v_add_nc_u32_e32 v3, v3, v5
	s_delay_alu instid0(VALU_DEP_2) | instskip(NEXT) | instid1(VALU_DEP_2)
	v_mul_hi_u32 v5, v0, v4
	v_mul_lo_u32 v6, v0, v3
	v_mul_hi_u32 v7, v0, v3
	v_mul_hi_u32 v9, v2, v4
	v_mul_lo_u32 v4, v2, v4
	v_mul_hi_u32 v10, v2, v3
	v_mul_lo_u32 v3, v2, v3
	v_add_co_u32 v5, vcc_lo, v5, v6
	v_add_co_ci_u32_e32 v6, vcc_lo, 0, v7, vcc_lo
	s_delay_alu instid0(VALU_DEP_2) | instskip(NEXT) | instid1(VALU_DEP_2)
	v_add_co_u32 v4, vcc_lo, v5, v4
	v_add_co_ci_u32_e32 v4, vcc_lo, v6, v9, vcc_lo
	v_add_co_ci_u32_e32 v5, vcc_lo, 0, v10, vcc_lo
	v_add_co_u32 v6, vcc_lo, v1, v8
	v_add_co_ci_u32_e32 v7, vcc_lo, 0, v8, vcc_lo
	s_delay_alu instid0(VALU_DEP_4) | instskip(NEXT) | instid1(VALU_DEP_4)
	v_add_co_u32 v3, vcc_lo, v4, v3
	v_add_co_ci_u32_e32 v4, vcc_lo, 0, v5, vcc_lo
	s_delay_alu instid0(VALU_DEP_4) | instskip(NEXT) | instid1(VALU_DEP_3)
	v_xor_b32_e32 v9, v6, v8
	v_add_co_u32 v0, vcc_lo, v0, v3
	s_delay_alu instid0(VALU_DEP_3) | instskip(SKIP_1) | instid1(VALU_DEP_3)
	v_add_co_ci_u32_e32 v10, vcc_lo, v2, v4, vcc_lo
	v_xor_b32_e32 v11, v7, v8
	v_mul_hi_u32 v12, v9, v0
	s_delay_alu instid0(VALU_DEP_3) | instskip(NEXT) | instid1(VALU_DEP_3)
	v_mad_u64_u32 v[2:3], null, v9, v10, 0
	v_mad_u64_u32 v[4:5], null, v11, v0, 0
	;; [unrolled: 1-line block ×3, first 2 shown]
	s_delay_alu instid0(VALU_DEP_3) | instskip(NEXT) | instid1(VALU_DEP_4)
	v_add_co_u32 v0, vcc_lo, v12, v2
	v_add_co_ci_u32_e32 v2, vcc_lo, 0, v3, vcc_lo
	s_delay_alu instid0(VALU_DEP_2) | instskip(NEXT) | instid1(VALU_DEP_2)
	v_add_co_u32 v0, vcc_lo, v0, v4
	v_add_co_ci_u32_e32 v0, vcc_lo, v2, v5, vcc_lo
	v_add_co_ci_u32_e32 v2, vcc_lo, 0, v7, vcc_lo
	s_delay_alu instid0(VALU_DEP_2) | instskip(NEXT) | instid1(VALU_DEP_2)
	v_add_co_u32 v0, vcc_lo, v0, v6
	v_add_co_ci_u32_e32 v4, vcc_lo, 0, v2, vcc_lo
	s_delay_alu instid0(VALU_DEP_2) | instskip(SKIP_1) | instid1(VALU_DEP_3)
	v_mul_lo_u32 v5, s25, v0
	v_mad_u64_u32 v[2:3], null, s24, v0, 0
	v_mul_lo_u32 v6, s24, v4
	s_delay_alu instid0(VALU_DEP_2) | instskip(NEXT) | instid1(VALU_DEP_2)
	v_sub_co_u32 v2, vcc_lo, v9, v2
	v_add3_u32 v3, v3, v6, v5
	s_delay_alu instid0(VALU_DEP_1) | instskip(NEXT) | instid1(VALU_DEP_1)
	v_sub_nc_u32_e32 v5, v11, v3
	v_subrev_co_ci_u32_e64 v5, s0, s25, v5, vcc_lo
	v_add_co_u32 v6, s0, v0, 2
	s_delay_alu instid0(VALU_DEP_1) | instskip(SKIP_3) | instid1(VALU_DEP_3)
	v_add_co_ci_u32_e64 v7, s0, 0, v4, s0
	v_sub_co_u32 v9, s0, v2, s24
	v_sub_co_ci_u32_e32 v3, vcc_lo, v11, v3, vcc_lo
	v_subrev_co_ci_u32_e64 v5, s0, 0, v5, s0
	v_cmp_le_u32_e32 vcc_lo, s24, v9
	s_delay_alu instid0(VALU_DEP_3) | instskip(SKIP_1) | instid1(VALU_DEP_4)
	v_cmp_eq_u32_e64 s0, s25, v3
	v_cndmask_b32_e64 v9, 0, -1, vcc_lo
	v_cmp_le_u32_e32 vcc_lo, s25, v5
	v_cndmask_b32_e64 v10, 0, -1, vcc_lo
	v_cmp_le_u32_e32 vcc_lo, s24, v2
	;; [unrolled: 2-line block ×3, first 2 shown]
	v_cndmask_b32_e64 v11, 0, -1, vcc_lo
	v_cmp_eq_u32_e32 vcc_lo, s25, v5
	s_delay_alu instid0(VALU_DEP_2) | instskip(SKIP_3) | instid1(VALU_DEP_3)
	v_cndmask_b32_e64 v2, v11, v2, s0
	v_cndmask_b32_e32 v5, v10, v9, vcc_lo
	v_add_co_u32 v9, vcc_lo, v0, 1
	v_add_co_ci_u32_e32 v10, vcc_lo, 0, v4, vcc_lo
	v_cmp_ne_u32_e32 vcc_lo, 0, v5
	s_delay_alu instid0(VALU_DEP_3) | instskip(NEXT) | instid1(VALU_DEP_3)
	v_cndmask_b32_e32 v5, v9, v6, vcc_lo
	v_cndmask_b32_e32 v3, v10, v7, vcc_lo
	v_cmp_ne_u32_e32 vcc_lo, 0, v2
	v_xor_b32_e32 v6, s22, v8
	s_delay_alu instid0(VALU_DEP_4) | instskip(NEXT) | instid1(VALU_DEP_4)
	v_cndmask_b32_e32 v0, v0, v5, vcc_lo
	v_cndmask_b32_e32 v2, v4, v3, vcc_lo
	s_delay_alu instid0(VALU_DEP_2) | instskip(NEXT) | instid1(VALU_DEP_2)
	v_xor_b32_e32 v0, v0, v6
	v_xor_b32_e32 v3, v2, v6
	s_delay_alu instid0(VALU_DEP_2) | instskip(NEXT) | instid1(VALU_DEP_2)
	v_sub_co_u32 v2, vcc_lo, v0, v6
	v_sub_co_ci_u32_e32 v3, vcc_lo, v3, v6, vcc_lo
	s_and_not1_b32 vcc_lo, exec_lo, s2
	s_cbranch_vccnz .LBB0_4
.LBB0_3:
	v_cvt_f32_u32_e32 v0, s26
	s_sub_i32 s0, 0, s26
	s_delay_alu instid0(VALU_DEP_1) | instskip(SKIP_2) | instid1(VALU_DEP_1)
	v_rcp_iflag_f32_e32 v0, v0
	s_waitcnt_depctr 0xfff
	v_mul_f32_e32 v0, 0x4f7ffffe, v0
	v_cvt_u32_f32_e32 v0, v0
	s_delay_alu instid0(VALU_DEP_1) | instskip(NEXT) | instid1(VALU_DEP_1)
	v_mul_lo_u32 v2, s0, v0
	v_mul_hi_u32 v2, v0, v2
	s_delay_alu instid0(VALU_DEP_1) | instskip(NEXT) | instid1(VALU_DEP_1)
	v_add_nc_u32_e32 v0, v0, v2
	v_mul_hi_u32 v0, v1, v0
	s_delay_alu instid0(VALU_DEP_1) | instskip(SKIP_1) | instid1(VALU_DEP_2)
	v_mul_lo_u32 v2, v0, s26
	v_add_nc_u32_e32 v3, 1, v0
	v_sub_nc_u32_e32 v2, v1, v2
	s_delay_alu instid0(VALU_DEP_1) | instskip(SKIP_1) | instid1(VALU_DEP_2)
	v_subrev_nc_u32_e32 v4, s26, v2
	v_cmp_le_u32_e32 vcc_lo, s26, v2
	v_cndmask_b32_e32 v2, v2, v4, vcc_lo
	v_cndmask_b32_e32 v0, v0, v3, vcc_lo
	s_delay_alu instid0(VALU_DEP_2) | instskip(NEXT) | instid1(VALU_DEP_2)
	v_cmp_le_u32_e32 vcc_lo, s26, v2
	v_add_nc_u32_e32 v3, 1, v0
	s_delay_alu instid0(VALU_DEP_1)
	v_dual_cndmask_b32 v2, v0, v3 :: v_dual_mov_b32 v3, 0
.LBB0_4:
	s_delay_alu instid0(VALU_DEP_1) | instskip(NEXT) | instid1(VALU_DEP_2)
	v_mul_lo_u32 v0, v3, s26
	v_mul_lo_u32 v6, v2, s3
	v_mad_u64_u32 v[4:5], null, v2, s26, 0
	s_sub_u32 s0, 0, s12
	s_subb_u32 s1, 0, s13
	s_sub_u32 s22, 0, s20
	s_subb_u32 s23, 0, s21
	s_waitcnt lgkmcnt(0)
	s_add_i32 s2, s15, s17
	s_add_i32 s14, s14, s16
	v_add3_u32 v0, v5, v6, v0
	v_sub_co_u32 v6, vcc_lo, v1, v4
	s_mul_i32 s2, s2, s18
	s_delay_alu instid0(VALU_DEP_2) | instskip(NEXT) | instid1(VALU_DEP_2)
	v_sub_co_ci_u32_e32 v7, vcc_lo, 0, v0, vcc_lo
	v_sub_co_u32 v0, vcc_lo, v6, s20
	s_add_i32 s2, s14, s2
	s_delay_alu instid0(VALU_DEP_2) | instskip(SKIP_3) | instid1(VALU_DEP_2)
	v_subrev_co_ci_u32_e32 v1, vcc_lo, s21, v7, vcc_lo
	v_sub_co_u32 v4, vcc_lo, v6, s29
	v_subrev_co_ci_u32_e32 v5, vcc_lo, s30, v7, vcc_lo
	s_mul_i32 s11, s2, s11
	v_add_co_u32 v4, vcc_lo, v4, 1
	s_mul_hi_u32 s14, s2, s10
	v_ashrrev_i32_e32 v8, 31, v1
	v_add_co_ci_u32_e32 v5, vcc_lo, 0, v5, vcc_lo
	s_mul_i32 s15, s2, s10
	v_cmp_gt_i64_e64 s10, s[22:23], 0
	v_sub_co_u32 v10, vcc_lo, v2, s31
	s_add_i32 s14, s14, s11
	v_cmp_gt_i64_e64 s11, s[0:1], 0
	v_subrev_co_ci_u32_e32 v11, vcc_lo, s33, v3, vcc_lo
	v_sub_co_u32 v12, vcc_lo, v2, s12
	v_xor_b32_e32 v0, v0, v8
	v_ashrrev_i32_e32 v9, 31, v5
	v_subrev_co_ci_u32_e32 v13, vcc_lo, s13, v3, vcc_lo
	s_and_b32 s10, s10, exec_lo
	v_xor_b32_e32 v1, v1, v8
	v_add_co_u32 v10, vcc_lo, v10, 1
	s_cselect_b32 s16, s23, 0
	v_cmp_gt_i64_e64 s10, s[20:21], 0
	s_cselect_b32 s17, s22, 0
	s_and_b32 s11, s11, exec_lo
	v_cmp_gt_i64_e64 s11, s[12:13], 0
	v_add_co_ci_u32_e32 v11, vcc_lo, 0, v11, vcc_lo
	v_sub_co_u32 v0, vcc_lo, v0, v8
	v_xor_b32_e32 v4, v4, v9
	v_sub_co_ci_u32_e32 v1, vcc_lo, v1, v8, vcc_lo
	v_xor_b32_e32 v5, v5, v9
	v_ashrrev_i32_e32 v8, 31, v13
	s_cselect_b32 s18, s1, 0
	s_cselect_b32 s19, s0, 0
	s_and_b32 s0, s10, exec_lo
	s_cselect_b32 s1, s21, 0
	s_cselect_b32 s0, s20, 0
	s_and_b32 s10, s11, exec_lo
	v_ashrrev_i32_e32 v14, 31, v11
	v_sub_co_u32 v4, vcc_lo, v4, v9
	s_cselect_b32 s11, s13, 0
	s_cselect_b32 s10, s12, 0
	v_sub_co_ci_u32_e32 v5, vcc_lo, v5, v9, vcc_lo
	v_xor_b32_e32 v9, v12, v8
	s_not_b64 s[0:1], s[0:1]
	s_not_b64 s[10:11], s[10:11]
	v_xor_b32_e32 v12, v13, v8
	s_add_u32 s12, s31, s12
	v_xor_b32_e32 v10, v10, v14
	s_addc_u32 s13, s33, s13
	s_add_u32 s10, s12, s10
	v_xor_b32_e32 v11, v11, v14
	v_sub_co_u32 v9, vcc_lo, v9, v8
	s_addc_u32 s11, s13, s11
	s_add_u32 s10, s10, s19
	v_sub_co_ci_u32_e32 v8, vcc_lo, v12, v8, vcc_lo
	s_addc_u32 s11, s11, s18
	v_sub_co_u32 v10, vcc_lo, v10, v14
	s_add_u32 s10, s10, s15
	s_addc_u32 s11, s11, s14
	v_sub_co_ci_u32_e32 v11, vcc_lo, v11, v14, vcc_lo
	s_add_u32 s12, s29, s20
	s_addc_u32 s13, s30, s21
	v_add_co_u32 v4, vcc_lo, v6, v4
	s_add_u32 s0, s12, s0
	s_addc_u32 s1, s13, s1
	v_add_co_ci_u32_e32 v5, vcc_lo, v7, v5, vcc_lo
	s_add_u32 s0, s0, s17
	s_addc_u32 s1, s1, s16
	v_sub_co_u32 v4, vcc_lo, s0, v4
	s_delay_alu instid0(VALU_DEP_2) | instskip(SKIP_2) | instid1(VALU_DEP_4)
	v_sub_co_ci_u32_e32 v5, vcc_lo, s1, v5, vcc_lo
	v_add_co_u32 v10, vcc_lo, v2, v10
	v_add_co_ci_u32_e32 v11, vcc_lo, v3, v11, vcc_lo
	v_add_co_u32 v4, vcc_lo, s4, v4
	s_delay_alu instid0(VALU_DEP_4) | instskip(NEXT) | instid1(VALU_DEP_4)
	v_add_co_ci_u32_e32 v5, vcc_lo, s5, v5, vcc_lo
	v_sub_co_u32 v10, vcc_lo, s10, v10
	s_delay_alu instid0(VALU_DEP_4) | instskip(NEXT) | instid1(VALU_DEP_4)
	v_sub_co_ci_u32_e32 v11, vcc_lo, s11, v11, vcc_lo
	v_add_co_u32 v0, vcc_lo, v4, v0
	s_delay_alu instid0(VALU_DEP_4) | instskip(NEXT) | instid1(VALU_DEP_4)
	v_add_co_ci_u32_e32 v1, vcc_lo, v5, v1, vcc_lo
	v_add_co_u32 v9, vcc_lo, v10, v9
	s_delay_alu instid0(VALU_DEP_4) | instskip(NEXT) | instid1(VALU_DEP_2)
	v_add_co_ci_u32_e32 v8, vcc_lo, v11, v8, vcc_lo
	v_mad_u64_u32 v[4:5], null, v9, s8, v[0:1]
	v_mul_lo_u32 v0, v9, s9
	s_delay_alu instid0(VALU_DEP_3) | instskip(NEXT) | instid1(VALU_DEP_1)
	v_mul_lo_u32 v1, v8, s8
	v_add3_u32 v5, v1, v5, v0
	v_mad_u64_u32 v[0:1], null, s28, s2, v[2:3]
	global_load_u8 v4, v[4:5], off
	v_mad_u64_u32 v[2:3], null, s27, s2, v[1:2]
	v_mul_lo_u32 v5, v0, s3
	s_delay_alu instid0(VALU_DEP_2) | instskip(SKIP_1) | instid1(VALU_DEP_1)
	v_mul_lo_u32 v3, v2, s26
	v_mad_u64_u32 v[1:2], null, v0, s26, s[6:7]
	v_add3_u32 v2, v3, v2, v5
	s_delay_alu instid0(VALU_DEP_2) | instskip(NEXT) | instid1(VALU_DEP_2)
	v_add_co_u32 v0, vcc_lo, v1, v6
	v_add_co_ci_u32_e32 v1, vcc_lo, v2, v7, vcc_lo
	s_waitcnt vmcnt(0)
	global_store_b8 v[0:1], v4, off
.LBB0_5:
	s_nop 0
	s_sendmsg sendmsg(MSG_DEALLOC_VGPRS)
	s_endpgm
.LBB0_6:
                                        ; implicit-def: $vgpr2_vgpr3
	s_branch .LBB0_3
	.section	.rodata,"a",@progbits
	.p2align	6, 0x0
	.amdhsa_kernel _ZN2at6native12_GLOBAL__N_127reflection_pad2d_out_kernelIhEEvPKT_PS3_lliiiiiii
		.amdhsa_group_segment_fixed_size 0
		.amdhsa_private_segment_fixed_size 0
		.amdhsa_kernarg_size 320
		.amdhsa_user_sgpr_count 13
		.amdhsa_user_sgpr_dispatch_ptr 0
		.amdhsa_user_sgpr_queue_ptr 0
		.amdhsa_user_sgpr_kernarg_segment_ptr 1
		.amdhsa_user_sgpr_dispatch_id 0
		.amdhsa_user_sgpr_private_segment_size 0
		.amdhsa_wavefront_size32 1
		.amdhsa_uses_dynamic_stack 0
		.amdhsa_enable_private_segment 0
		.amdhsa_system_sgpr_workgroup_id_x 1
		.amdhsa_system_sgpr_workgroup_id_y 1
		.amdhsa_system_sgpr_workgroup_id_z 1
		.amdhsa_system_sgpr_workgroup_info 0
		.amdhsa_system_vgpr_workitem_id 0
		.amdhsa_next_free_vgpr 15
		.amdhsa_next_free_sgpr 34
		.amdhsa_reserve_vcc 1
		.amdhsa_float_round_mode_32 0
		.amdhsa_float_round_mode_16_64 0
		.amdhsa_float_denorm_mode_32 3
		.amdhsa_float_denorm_mode_16_64 3
		.amdhsa_dx10_clamp 1
		.amdhsa_ieee_mode 1
		.amdhsa_fp16_overflow 0
		.amdhsa_workgroup_processor_mode 1
		.amdhsa_memory_ordered 1
		.amdhsa_forward_progress 0
		.amdhsa_shared_vgpr_count 0
		.amdhsa_exception_fp_ieee_invalid_op 0
		.amdhsa_exception_fp_denorm_src 0
		.amdhsa_exception_fp_ieee_div_zero 0
		.amdhsa_exception_fp_ieee_overflow 0
		.amdhsa_exception_fp_ieee_underflow 0
		.amdhsa_exception_fp_ieee_inexact 0
		.amdhsa_exception_int_div_zero 0
	.end_amdhsa_kernel
	.section	.text._ZN2at6native12_GLOBAL__N_127reflection_pad2d_out_kernelIhEEvPKT_PS3_lliiiiiii,"axG",@progbits,_ZN2at6native12_GLOBAL__N_127reflection_pad2d_out_kernelIhEEvPKT_PS3_lliiiiiii,comdat
.Lfunc_end0:
	.size	_ZN2at6native12_GLOBAL__N_127reflection_pad2d_out_kernelIhEEvPKT_PS3_lliiiiiii, .Lfunc_end0-_ZN2at6native12_GLOBAL__N_127reflection_pad2d_out_kernelIhEEvPKT_PS3_lliiiiiii
                                        ; -- End function
	.section	.AMDGPU.csdata,"",@progbits
; Kernel info:
; codeLenInByte = 1808
; NumSgprs: 36
; NumVgprs: 15
; ScratchSize: 0
; MemoryBound: 0
; FloatMode: 240
; IeeeMode: 1
; LDSByteSize: 0 bytes/workgroup (compile time only)
; SGPRBlocks: 4
; VGPRBlocks: 1
; NumSGPRsForWavesPerEU: 36
; NumVGPRsForWavesPerEU: 15
; Occupancy: 16
; WaveLimiterHint : 0
; COMPUTE_PGM_RSRC2:SCRATCH_EN: 0
; COMPUTE_PGM_RSRC2:USER_SGPR: 13
; COMPUTE_PGM_RSRC2:TRAP_HANDLER: 0
; COMPUTE_PGM_RSRC2:TGID_X_EN: 1
; COMPUTE_PGM_RSRC2:TGID_Y_EN: 1
; COMPUTE_PGM_RSRC2:TGID_Z_EN: 1
; COMPUTE_PGM_RSRC2:TIDIG_COMP_CNT: 0
	.section	.text._ZN2at6native12_GLOBAL__N_127reflection_pad2d_out_kernelIaEEvPKT_PS3_lliiiiiii,"axG",@progbits,_ZN2at6native12_GLOBAL__N_127reflection_pad2d_out_kernelIaEEvPKT_PS3_lliiiiiii,comdat
	.globl	_ZN2at6native12_GLOBAL__N_127reflection_pad2d_out_kernelIaEEvPKT_PS3_lliiiiiii ; -- Begin function _ZN2at6native12_GLOBAL__N_127reflection_pad2d_out_kernelIaEEvPKT_PS3_lliiiiiii
	.p2align	8
	.type	_ZN2at6native12_GLOBAL__N_127reflection_pad2d_out_kernelIaEEvPKT_PS3_lliiiiiii,@function
_ZN2at6native12_GLOBAL__N_127reflection_pad2d_out_kernelIaEEvPKT_PS3_lliiiiiii: ; @_ZN2at6native12_GLOBAL__N_127reflection_pad2d_out_kernelIaEEvPKT_PS3_lliiiiiii
; %bb.0:
	s_clause 0x2
	s_load_b32 s2, s[0:1], 0x4c
	s_load_b128 s[16:19], s[0:1], 0x20
	s_load_b256 s[4:11], s[0:1], 0x0
	s_waitcnt lgkmcnt(0)
	s_and_b32 s2, s2, 0xffff
	s_ashr_i32 s21, s18, 31
	s_add_u32 s29, s18, s8
	v_mad_u64_u32 v[1:2], null, s13, s2, v[0:1]
	s_addc_u32 s30, s21, s9
	s_ashr_i32 s2, s19, 31
	s_add_u32 s26, s29, s19
	s_addc_u32 s3, s30, s2
	s_ashr_i32 s13, s16, 31
	s_add_u32 s31, s16, s10
	;; [unrolled: 3-line block ×3, first 2 shown]
	s_addc_u32 s27, s33, s2
	s_mul_hi_u32 s2, s26, s28
	s_mul_i32 s12, s26, s27
	v_mov_b32_e32 v2, 0
	s_mul_i32 s17, s3, s28
	s_add_i32 s2, s2, s12
	s_mul_i32 s22, s26, s28
	s_add_i32 s23, s2, s17
	s_mov_b32 s2, exec_lo
	v_cmpx_gt_i64_e64 s[22:23], v[1:2]
	s_cbranch_execz .LBB1_5
; %bb.1:
	s_mov_b32 s20, s18
	s_mov_b32 s12, s16
	s_load_b128 s[16:19], s[0:1], 0x30
	s_mov_b32 s2, 0
	s_delay_alu instid0(SALU_CYCLE_1)
	s_cmp_lg_u64 s[2:3], 0
	s_cbranch_scc0 .LBB1_6
; %bb.2:
	s_ashr_i32 s22, s3, 31
	s_delay_alu instid0(SALU_CYCLE_1) | instskip(SKIP_2) | instid1(SALU_CYCLE_1)
	s_add_u32 s0, s26, s22
	s_mov_b32 s23, s22
	s_addc_u32 s1, s3, s22
	s_xor_b64 s[24:25], s[0:1], s[22:23]
	s_delay_alu instid0(SALU_CYCLE_1) | instskip(SKIP_3) | instid1(VALU_DEP_1)
	v_cvt_f32_u32_e32 v0, s24
	v_cvt_f32_u32_e32 v2, s25
	s_sub_u32 s0, 0, s24
	s_subb_u32 s1, 0, s25
	v_fmamk_f32 v0, v2, 0x4f800000, v0
	s_delay_alu instid0(VALU_DEP_1) | instskip(SKIP_2) | instid1(VALU_DEP_1)
	v_rcp_f32_e32 v0, v0
	s_waitcnt_depctr 0xfff
	v_mul_f32_e32 v0, 0x5f7ffffc, v0
	v_mul_f32_e32 v2, 0x2f800000, v0
	s_delay_alu instid0(VALU_DEP_1) | instskip(NEXT) | instid1(VALU_DEP_1)
	v_trunc_f32_e32 v2, v2
	v_fmamk_f32 v0, v2, 0xcf800000, v0
	v_cvt_u32_f32_e32 v2, v2
	s_delay_alu instid0(VALU_DEP_2) | instskip(NEXT) | instid1(VALU_DEP_2)
	v_cvt_u32_f32_e32 v0, v0
	v_mul_lo_u32 v3, s0, v2
	s_delay_alu instid0(VALU_DEP_2) | instskip(SKIP_1) | instid1(VALU_DEP_2)
	v_mul_hi_u32 v4, s0, v0
	v_mul_lo_u32 v5, s1, v0
	v_add_nc_u32_e32 v3, v4, v3
	v_mul_lo_u32 v4, s0, v0
	s_delay_alu instid0(VALU_DEP_2) | instskip(NEXT) | instid1(VALU_DEP_2)
	v_add_nc_u32_e32 v3, v3, v5
	v_mul_hi_u32 v5, v0, v4
	s_delay_alu instid0(VALU_DEP_2)
	v_mul_lo_u32 v6, v0, v3
	v_mul_hi_u32 v7, v0, v3
	v_mul_hi_u32 v8, v2, v4
	v_mul_lo_u32 v4, v2, v4
	v_mul_hi_u32 v9, v2, v3
	v_mul_lo_u32 v3, v2, v3
	v_add_co_u32 v5, vcc_lo, v5, v6
	v_add_co_ci_u32_e32 v6, vcc_lo, 0, v7, vcc_lo
	s_delay_alu instid0(VALU_DEP_2) | instskip(NEXT) | instid1(VALU_DEP_2)
	v_add_co_u32 v4, vcc_lo, v5, v4
	v_add_co_ci_u32_e32 v4, vcc_lo, v6, v8, vcc_lo
	v_add_co_ci_u32_e32 v5, vcc_lo, 0, v9, vcc_lo
	v_ashrrev_i32_e64 v8, 31, 0
	s_delay_alu instid0(VALU_DEP_3) | instskip(NEXT) | instid1(VALU_DEP_3)
	v_add_co_u32 v3, vcc_lo, v4, v3
	v_add_co_ci_u32_e32 v4, vcc_lo, 0, v5, vcc_lo
	s_delay_alu instid0(VALU_DEP_2) | instskip(NEXT) | instid1(VALU_DEP_2)
	v_add_co_u32 v0, vcc_lo, v0, v3
	v_add_co_ci_u32_e32 v2, vcc_lo, v2, v4, vcc_lo
	s_delay_alu instid0(VALU_DEP_2) | instskip(SKIP_1) | instid1(VALU_DEP_3)
	v_mul_hi_u32 v3, s0, v0
	v_mul_lo_u32 v5, s1, v0
	v_mul_lo_u32 v4, s0, v2
	s_delay_alu instid0(VALU_DEP_1) | instskip(SKIP_1) | instid1(VALU_DEP_2)
	v_add_nc_u32_e32 v3, v3, v4
	v_mul_lo_u32 v4, s0, v0
	v_add_nc_u32_e32 v3, v3, v5
	s_delay_alu instid0(VALU_DEP_2) | instskip(NEXT) | instid1(VALU_DEP_2)
	v_mul_hi_u32 v5, v0, v4
	v_mul_lo_u32 v6, v0, v3
	v_mul_hi_u32 v7, v0, v3
	v_mul_hi_u32 v9, v2, v4
	v_mul_lo_u32 v4, v2, v4
	v_mul_hi_u32 v10, v2, v3
	v_mul_lo_u32 v3, v2, v3
	v_add_co_u32 v5, vcc_lo, v5, v6
	v_add_co_ci_u32_e32 v6, vcc_lo, 0, v7, vcc_lo
	s_delay_alu instid0(VALU_DEP_2) | instskip(NEXT) | instid1(VALU_DEP_2)
	v_add_co_u32 v4, vcc_lo, v5, v4
	v_add_co_ci_u32_e32 v4, vcc_lo, v6, v9, vcc_lo
	v_add_co_ci_u32_e32 v5, vcc_lo, 0, v10, vcc_lo
	v_add_co_u32 v6, vcc_lo, v1, v8
	v_add_co_ci_u32_e32 v7, vcc_lo, 0, v8, vcc_lo
	s_delay_alu instid0(VALU_DEP_4) | instskip(NEXT) | instid1(VALU_DEP_4)
	v_add_co_u32 v3, vcc_lo, v4, v3
	v_add_co_ci_u32_e32 v4, vcc_lo, 0, v5, vcc_lo
	s_delay_alu instid0(VALU_DEP_4) | instskip(NEXT) | instid1(VALU_DEP_3)
	v_xor_b32_e32 v9, v6, v8
	v_add_co_u32 v0, vcc_lo, v0, v3
	s_delay_alu instid0(VALU_DEP_3) | instskip(SKIP_1) | instid1(VALU_DEP_3)
	v_add_co_ci_u32_e32 v10, vcc_lo, v2, v4, vcc_lo
	v_xor_b32_e32 v11, v7, v8
	v_mul_hi_u32 v12, v9, v0
	s_delay_alu instid0(VALU_DEP_3) | instskip(NEXT) | instid1(VALU_DEP_3)
	v_mad_u64_u32 v[2:3], null, v9, v10, 0
	v_mad_u64_u32 v[4:5], null, v11, v0, 0
	;; [unrolled: 1-line block ×3, first 2 shown]
	s_delay_alu instid0(VALU_DEP_3) | instskip(NEXT) | instid1(VALU_DEP_4)
	v_add_co_u32 v0, vcc_lo, v12, v2
	v_add_co_ci_u32_e32 v2, vcc_lo, 0, v3, vcc_lo
	s_delay_alu instid0(VALU_DEP_2) | instskip(NEXT) | instid1(VALU_DEP_2)
	v_add_co_u32 v0, vcc_lo, v0, v4
	v_add_co_ci_u32_e32 v0, vcc_lo, v2, v5, vcc_lo
	v_add_co_ci_u32_e32 v2, vcc_lo, 0, v7, vcc_lo
	s_delay_alu instid0(VALU_DEP_2) | instskip(NEXT) | instid1(VALU_DEP_2)
	v_add_co_u32 v0, vcc_lo, v0, v6
	v_add_co_ci_u32_e32 v4, vcc_lo, 0, v2, vcc_lo
	s_delay_alu instid0(VALU_DEP_2) | instskip(SKIP_1) | instid1(VALU_DEP_3)
	v_mul_lo_u32 v5, s25, v0
	v_mad_u64_u32 v[2:3], null, s24, v0, 0
	v_mul_lo_u32 v6, s24, v4
	s_delay_alu instid0(VALU_DEP_2) | instskip(NEXT) | instid1(VALU_DEP_2)
	v_sub_co_u32 v2, vcc_lo, v9, v2
	v_add3_u32 v3, v3, v6, v5
	s_delay_alu instid0(VALU_DEP_1) | instskip(NEXT) | instid1(VALU_DEP_1)
	v_sub_nc_u32_e32 v5, v11, v3
	v_subrev_co_ci_u32_e64 v5, s0, s25, v5, vcc_lo
	v_add_co_u32 v6, s0, v0, 2
	s_delay_alu instid0(VALU_DEP_1) | instskip(SKIP_3) | instid1(VALU_DEP_3)
	v_add_co_ci_u32_e64 v7, s0, 0, v4, s0
	v_sub_co_u32 v9, s0, v2, s24
	v_sub_co_ci_u32_e32 v3, vcc_lo, v11, v3, vcc_lo
	v_subrev_co_ci_u32_e64 v5, s0, 0, v5, s0
	v_cmp_le_u32_e32 vcc_lo, s24, v9
	s_delay_alu instid0(VALU_DEP_3) | instskip(SKIP_1) | instid1(VALU_DEP_4)
	v_cmp_eq_u32_e64 s0, s25, v3
	v_cndmask_b32_e64 v9, 0, -1, vcc_lo
	v_cmp_le_u32_e32 vcc_lo, s25, v5
	v_cndmask_b32_e64 v10, 0, -1, vcc_lo
	v_cmp_le_u32_e32 vcc_lo, s24, v2
	;; [unrolled: 2-line block ×3, first 2 shown]
	v_cndmask_b32_e64 v11, 0, -1, vcc_lo
	v_cmp_eq_u32_e32 vcc_lo, s25, v5
	s_delay_alu instid0(VALU_DEP_2) | instskip(SKIP_3) | instid1(VALU_DEP_3)
	v_cndmask_b32_e64 v2, v11, v2, s0
	v_cndmask_b32_e32 v5, v10, v9, vcc_lo
	v_add_co_u32 v9, vcc_lo, v0, 1
	v_add_co_ci_u32_e32 v10, vcc_lo, 0, v4, vcc_lo
	v_cmp_ne_u32_e32 vcc_lo, 0, v5
	s_delay_alu instid0(VALU_DEP_3) | instskip(NEXT) | instid1(VALU_DEP_3)
	v_cndmask_b32_e32 v5, v9, v6, vcc_lo
	v_cndmask_b32_e32 v3, v10, v7, vcc_lo
	v_cmp_ne_u32_e32 vcc_lo, 0, v2
	v_xor_b32_e32 v6, s22, v8
	s_delay_alu instid0(VALU_DEP_4) | instskip(NEXT) | instid1(VALU_DEP_4)
	v_cndmask_b32_e32 v0, v0, v5, vcc_lo
	v_cndmask_b32_e32 v2, v4, v3, vcc_lo
	s_delay_alu instid0(VALU_DEP_2) | instskip(NEXT) | instid1(VALU_DEP_2)
	v_xor_b32_e32 v0, v0, v6
	v_xor_b32_e32 v3, v2, v6
	s_delay_alu instid0(VALU_DEP_2) | instskip(NEXT) | instid1(VALU_DEP_2)
	v_sub_co_u32 v2, vcc_lo, v0, v6
	v_sub_co_ci_u32_e32 v3, vcc_lo, v3, v6, vcc_lo
	s_and_not1_b32 vcc_lo, exec_lo, s2
	s_cbranch_vccnz .LBB1_4
.LBB1_3:
	v_cvt_f32_u32_e32 v0, s26
	s_sub_i32 s0, 0, s26
	s_delay_alu instid0(VALU_DEP_1) | instskip(SKIP_2) | instid1(VALU_DEP_1)
	v_rcp_iflag_f32_e32 v0, v0
	s_waitcnt_depctr 0xfff
	v_mul_f32_e32 v0, 0x4f7ffffe, v0
	v_cvt_u32_f32_e32 v0, v0
	s_delay_alu instid0(VALU_DEP_1) | instskip(NEXT) | instid1(VALU_DEP_1)
	v_mul_lo_u32 v2, s0, v0
	v_mul_hi_u32 v2, v0, v2
	s_delay_alu instid0(VALU_DEP_1) | instskip(NEXT) | instid1(VALU_DEP_1)
	v_add_nc_u32_e32 v0, v0, v2
	v_mul_hi_u32 v0, v1, v0
	s_delay_alu instid0(VALU_DEP_1) | instskip(SKIP_1) | instid1(VALU_DEP_2)
	v_mul_lo_u32 v2, v0, s26
	v_add_nc_u32_e32 v3, 1, v0
	v_sub_nc_u32_e32 v2, v1, v2
	s_delay_alu instid0(VALU_DEP_1) | instskip(SKIP_1) | instid1(VALU_DEP_2)
	v_subrev_nc_u32_e32 v4, s26, v2
	v_cmp_le_u32_e32 vcc_lo, s26, v2
	v_cndmask_b32_e32 v2, v2, v4, vcc_lo
	v_cndmask_b32_e32 v0, v0, v3, vcc_lo
	s_delay_alu instid0(VALU_DEP_2) | instskip(NEXT) | instid1(VALU_DEP_2)
	v_cmp_le_u32_e32 vcc_lo, s26, v2
	v_add_nc_u32_e32 v3, 1, v0
	s_delay_alu instid0(VALU_DEP_1)
	v_dual_cndmask_b32 v2, v0, v3 :: v_dual_mov_b32 v3, 0
.LBB1_4:
	s_delay_alu instid0(VALU_DEP_1) | instskip(NEXT) | instid1(VALU_DEP_2)
	v_mul_lo_u32 v0, v3, s26
	v_mul_lo_u32 v6, v2, s3
	v_mad_u64_u32 v[4:5], null, v2, s26, 0
	s_sub_u32 s0, 0, s12
	s_subb_u32 s1, 0, s13
	s_sub_u32 s22, 0, s20
	s_subb_u32 s23, 0, s21
	s_waitcnt lgkmcnt(0)
	s_add_i32 s2, s15, s17
	s_add_i32 s14, s14, s16
	v_add3_u32 v0, v5, v6, v0
	v_sub_co_u32 v6, vcc_lo, v1, v4
	s_mul_i32 s2, s2, s18
	s_delay_alu instid0(VALU_DEP_2) | instskip(NEXT) | instid1(VALU_DEP_2)
	v_sub_co_ci_u32_e32 v7, vcc_lo, 0, v0, vcc_lo
	v_sub_co_u32 v0, vcc_lo, v6, s20
	s_add_i32 s2, s14, s2
	s_delay_alu instid0(VALU_DEP_2) | instskip(SKIP_3) | instid1(VALU_DEP_2)
	v_subrev_co_ci_u32_e32 v1, vcc_lo, s21, v7, vcc_lo
	v_sub_co_u32 v4, vcc_lo, v6, s29
	v_subrev_co_ci_u32_e32 v5, vcc_lo, s30, v7, vcc_lo
	s_mul_i32 s11, s2, s11
	v_add_co_u32 v4, vcc_lo, v4, 1
	s_mul_hi_u32 s14, s2, s10
	v_ashrrev_i32_e32 v8, 31, v1
	v_add_co_ci_u32_e32 v5, vcc_lo, 0, v5, vcc_lo
	s_mul_i32 s15, s2, s10
	v_cmp_gt_i64_e64 s10, s[22:23], 0
	v_sub_co_u32 v10, vcc_lo, v2, s31
	s_add_i32 s14, s14, s11
	v_cmp_gt_i64_e64 s11, s[0:1], 0
	v_subrev_co_ci_u32_e32 v11, vcc_lo, s33, v3, vcc_lo
	v_sub_co_u32 v12, vcc_lo, v2, s12
	v_xor_b32_e32 v0, v0, v8
	v_ashrrev_i32_e32 v9, 31, v5
	v_subrev_co_ci_u32_e32 v13, vcc_lo, s13, v3, vcc_lo
	s_and_b32 s10, s10, exec_lo
	v_xor_b32_e32 v1, v1, v8
	v_add_co_u32 v10, vcc_lo, v10, 1
	s_cselect_b32 s16, s23, 0
	v_cmp_gt_i64_e64 s10, s[20:21], 0
	s_cselect_b32 s17, s22, 0
	s_and_b32 s11, s11, exec_lo
	v_cmp_gt_i64_e64 s11, s[12:13], 0
	v_add_co_ci_u32_e32 v11, vcc_lo, 0, v11, vcc_lo
	v_sub_co_u32 v0, vcc_lo, v0, v8
	v_xor_b32_e32 v4, v4, v9
	v_sub_co_ci_u32_e32 v1, vcc_lo, v1, v8, vcc_lo
	v_xor_b32_e32 v5, v5, v9
	v_ashrrev_i32_e32 v8, 31, v13
	s_cselect_b32 s18, s1, 0
	s_cselect_b32 s19, s0, 0
	s_and_b32 s0, s10, exec_lo
	s_cselect_b32 s1, s21, 0
	s_cselect_b32 s0, s20, 0
	s_and_b32 s10, s11, exec_lo
	v_ashrrev_i32_e32 v14, 31, v11
	v_sub_co_u32 v4, vcc_lo, v4, v9
	s_cselect_b32 s11, s13, 0
	s_cselect_b32 s10, s12, 0
	v_sub_co_ci_u32_e32 v5, vcc_lo, v5, v9, vcc_lo
	v_xor_b32_e32 v9, v12, v8
	s_not_b64 s[0:1], s[0:1]
	s_not_b64 s[10:11], s[10:11]
	v_xor_b32_e32 v12, v13, v8
	s_add_u32 s12, s31, s12
	v_xor_b32_e32 v10, v10, v14
	s_addc_u32 s13, s33, s13
	s_add_u32 s10, s12, s10
	v_xor_b32_e32 v11, v11, v14
	v_sub_co_u32 v9, vcc_lo, v9, v8
	s_addc_u32 s11, s13, s11
	s_add_u32 s10, s10, s19
	v_sub_co_ci_u32_e32 v8, vcc_lo, v12, v8, vcc_lo
	s_addc_u32 s11, s11, s18
	v_sub_co_u32 v10, vcc_lo, v10, v14
	s_add_u32 s10, s10, s15
	s_addc_u32 s11, s11, s14
	v_sub_co_ci_u32_e32 v11, vcc_lo, v11, v14, vcc_lo
	s_add_u32 s12, s29, s20
	s_addc_u32 s13, s30, s21
	v_add_co_u32 v4, vcc_lo, v6, v4
	s_add_u32 s0, s12, s0
	s_addc_u32 s1, s13, s1
	v_add_co_ci_u32_e32 v5, vcc_lo, v7, v5, vcc_lo
	s_add_u32 s0, s0, s17
	s_addc_u32 s1, s1, s16
	v_sub_co_u32 v4, vcc_lo, s0, v4
	s_delay_alu instid0(VALU_DEP_2) | instskip(SKIP_2) | instid1(VALU_DEP_4)
	v_sub_co_ci_u32_e32 v5, vcc_lo, s1, v5, vcc_lo
	v_add_co_u32 v10, vcc_lo, v2, v10
	v_add_co_ci_u32_e32 v11, vcc_lo, v3, v11, vcc_lo
	v_add_co_u32 v4, vcc_lo, s4, v4
	s_delay_alu instid0(VALU_DEP_4) | instskip(NEXT) | instid1(VALU_DEP_4)
	v_add_co_ci_u32_e32 v5, vcc_lo, s5, v5, vcc_lo
	v_sub_co_u32 v10, vcc_lo, s10, v10
	s_delay_alu instid0(VALU_DEP_4) | instskip(NEXT) | instid1(VALU_DEP_4)
	v_sub_co_ci_u32_e32 v11, vcc_lo, s11, v11, vcc_lo
	v_add_co_u32 v0, vcc_lo, v4, v0
	s_delay_alu instid0(VALU_DEP_4) | instskip(NEXT) | instid1(VALU_DEP_4)
	v_add_co_ci_u32_e32 v1, vcc_lo, v5, v1, vcc_lo
	v_add_co_u32 v9, vcc_lo, v10, v9
	s_delay_alu instid0(VALU_DEP_4) | instskip(NEXT) | instid1(VALU_DEP_2)
	v_add_co_ci_u32_e32 v8, vcc_lo, v11, v8, vcc_lo
	v_mad_u64_u32 v[4:5], null, v9, s8, v[0:1]
	v_mul_lo_u32 v0, v9, s9
	s_delay_alu instid0(VALU_DEP_3) | instskip(NEXT) | instid1(VALU_DEP_1)
	v_mul_lo_u32 v1, v8, s8
	v_add3_u32 v5, v1, v5, v0
	v_mad_u64_u32 v[0:1], null, s28, s2, v[2:3]
	global_load_u8 v4, v[4:5], off
	v_mad_u64_u32 v[2:3], null, s27, s2, v[1:2]
	v_mul_lo_u32 v5, v0, s3
	s_delay_alu instid0(VALU_DEP_2) | instskip(SKIP_1) | instid1(VALU_DEP_1)
	v_mul_lo_u32 v3, v2, s26
	v_mad_u64_u32 v[1:2], null, v0, s26, s[6:7]
	v_add3_u32 v2, v3, v2, v5
	s_delay_alu instid0(VALU_DEP_2) | instskip(NEXT) | instid1(VALU_DEP_2)
	v_add_co_u32 v0, vcc_lo, v1, v6
	v_add_co_ci_u32_e32 v1, vcc_lo, v2, v7, vcc_lo
	s_waitcnt vmcnt(0)
	global_store_b8 v[0:1], v4, off
.LBB1_5:
	s_nop 0
	s_sendmsg sendmsg(MSG_DEALLOC_VGPRS)
	s_endpgm
.LBB1_6:
                                        ; implicit-def: $vgpr2_vgpr3
	s_branch .LBB1_3
	.section	.rodata,"a",@progbits
	.p2align	6, 0x0
	.amdhsa_kernel _ZN2at6native12_GLOBAL__N_127reflection_pad2d_out_kernelIaEEvPKT_PS3_lliiiiiii
		.amdhsa_group_segment_fixed_size 0
		.amdhsa_private_segment_fixed_size 0
		.amdhsa_kernarg_size 320
		.amdhsa_user_sgpr_count 13
		.amdhsa_user_sgpr_dispatch_ptr 0
		.amdhsa_user_sgpr_queue_ptr 0
		.amdhsa_user_sgpr_kernarg_segment_ptr 1
		.amdhsa_user_sgpr_dispatch_id 0
		.amdhsa_user_sgpr_private_segment_size 0
		.amdhsa_wavefront_size32 1
		.amdhsa_uses_dynamic_stack 0
		.amdhsa_enable_private_segment 0
		.amdhsa_system_sgpr_workgroup_id_x 1
		.amdhsa_system_sgpr_workgroup_id_y 1
		.amdhsa_system_sgpr_workgroup_id_z 1
		.amdhsa_system_sgpr_workgroup_info 0
		.amdhsa_system_vgpr_workitem_id 0
		.amdhsa_next_free_vgpr 15
		.amdhsa_next_free_sgpr 34
		.amdhsa_reserve_vcc 1
		.amdhsa_float_round_mode_32 0
		.amdhsa_float_round_mode_16_64 0
		.amdhsa_float_denorm_mode_32 3
		.amdhsa_float_denorm_mode_16_64 3
		.amdhsa_dx10_clamp 1
		.amdhsa_ieee_mode 1
		.amdhsa_fp16_overflow 0
		.amdhsa_workgroup_processor_mode 1
		.amdhsa_memory_ordered 1
		.amdhsa_forward_progress 0
		.amdhsa_shared_vgpr_count 0
		.amdhsa_exception_fp_ieee_invalid_op 0
		.amdhsa_exception_fp_denorm_src 0
		.amdhsa_exception_fp_ieee_div_zero 0
		.amdhsa_exception_fp_ieee_overflow 0
		.amdhsa_exception_fp_ieee_underflow 0
		.amdhsa_exception_fp_ieee_inexact 0
		.amdhsa_exception_int_div_zero 0
	.end_amdhsa_kernel
	.section	.text._ZN2at6native12_GLOBAL__N_127reflection_pad2d_out_kernelIaEEvPKT_PS3_lliiiiiii,"axG",@progbits,_ZN2at6native12_GLOBAL__N_127reflection_pad2d_out_kernelIaEEvPKT_PS3_lliiiiiii,comdat
.Lfunc_end1:
	.size	_ZN2at6native12_GLOBAL__N_127reflection_pad2d_out_kernelIaEEvPKT_PS3_lliiiiiii, .Lfunc_end1-_ZN2at6native12_GLOBAL__N_127reflection_pad2d_out_kernelIaEEvPKT_PS3_lliiiiiii
                                        ; -- End function
	.section	.AMDGPU.csdata,"",@progbits
; Kernel info:
; codeLenInByte = 1808
; NumSgprs: 36
; NumVgprs: 15
; ScratchSize: 0
; MemoryBound: 0
; FloatMode: 240
; IeeeMode: 1
; LDSByteSize: 0 bytes/workgroup (compile time only)
; SGPRBlocks: 4
; VGPRBlocks: 1
; NumSGPRsForWavesPerEU: 36
; NumVGPRsForWavesPerEU: 15
; Occupancy: 16
; WaveLimiterHint : 0
; COMPUTE_PGM_RSRC2:SCRATCH_EN: 0
; COMPUTE_PGM_RSRC2:USER_SGPR: 13
; COMPUTE_PGM_RSRC2:TRAP_HANDLER: 0
; COMPUTE_PGM_RSRC2:TGID_X_EN: 1
; COMPUTE_PGM_RSRC2:TGID_Y_EN: 1
; COMPUTE_PGM_RSRC2:TGID_Z_EN: 1
; COMPUTE_PGM_RSRC2:TIDIG_COMP_CNT: 0
	.section	.text._ZN2at6native12_GLOBAL__N_127reflection_pad2d_out_kernelIiEEvPKT_PS3_lliiiiiii,"axG",@progbits,_ZN2at6native12_GLOBAL__N_127reflection_pad2d_out_kernelIiEEvPKT_PS3_lliiiiiii,comdat
	.globl	_ZN2at6native12_GLOBAL__N_127reflection_pad2d_out_kernelIiEEvPKT_PS3_lliiiiiii ; -- Begin function _ZN2at6native12_GLOBAL__N_127reflection_pad2d_out_kernelIiEEvPKT_PS3_lliiiiiii
	.p2align	8
	.type	_ZN2at6native12_GLOBAL__N_127reflection_pad2d_out_kernelIiEEvPKT_PS3_lliiiiiii,@function
_ZN2at6native12_GLOBAL__N_127reflection_pad2d_out_kernelIiEEvPKT_PS3_lliiiiiii: ; @_ZN2at6native12_GLOBAL__N_127reflection_pad2d_out_kernelIiEEvPKT_PS3_lliiiiiii
; %bb.0:
	s_clause 0x2
	s_load_b32 s2, s[0:1], 0x4c
	s_load_b128 s[16:19], s[0:1], 0x20
	s_load_b256 s[4:11], s[0:1], 0x0
	s_waitcnt lgkmcnt(0)
	s_and_b32 s2, s2, 0xffff
	s_ashr_i32 s21, s18, 31
	s_add_u32 s29, s18, s8
	v_mad_u64_u32 v[1:2], null, s13, s2, v[0:1]
	s_addc_u32 s30, s21, s9
	s_ashr_i32 s2, s19, 31
	s_add_u32 s26, s29, s19
	s_addc_u32 s3, s30, s2
	s_ashr_i32 s13, s16, 31
	s_add_u32 s31, s16, s10
	s_addc_u32 s33, s13, s11
	s_ashr_i32 s2, s17, 31
	s_add_u32 s28, s31, s17
	s_addc_u32 s27, s33, s2
	s_mul_hi_u32 s2, s26, s28
	s_mul_i32 s12, s26, s27
	v_mov_b32_e32 v2, 0
	s_mul_i32 s17, s3, s28
	s_add_i32 s2, s2, s12
	s_mul_i32 s22, s26, s28
	s_add_i32 s23, s2, s17
	s_mov_b32 s2, exec_lo
	v_cmpx_gt_i64_e64 s[22:23], v[1:2]
	s_cbranch_execz .LBB2_5
; %bb.1:
	s_mov_b32 s20, s18
	s_mov_b32 s12, s16
	s_load_b128 s[16:19], s[0:1], 0x30
	s_mov_b32 s2, 0
	s_delay_alu instid0(SALU_CYCLE_1)
	s_cmp_lg_u64 s[2:3], 0
	s_cbranch_scc0 .LBB2_6
; %bb.2:
	s_ashr_i32 s22, s3, 31
	s_delay_alu instid0(SALU_CYCLE_1) | instskip(SKIP_2) | instid1(SALU_CYCLE_1)
	s_add_u32 s0, s26, s22
	s_mov_b32 s23, s22
	s_addc_u32 s1, s3, s22
	s_xor_b64 s[24:25], s[0:1], s[22:23]
	s_delay_alu instid0(SALU_CYCLE_1) | instskip(SKIP_3) | instid1(VALU_DEP_1)
	v_cvt_f32_u32_e32 v0, s24
	v_cvt_f32_u32_e32 v2, s25
	s_sub_u32 s0, 0, s24
	s_subb_u32 s1, 0, s25
	v_fmamk_f32 v0, v2, 0x4f800000, v0
	s_delay_alu instid0(VALU_DEP_1) | instskip(SKIP_2) | instid1(VALU_DEP_1)
	v_rcp_f32_e32 v0, v0
	s_waitcnt_depctr 0xfff
	v_mul_f32_e32 v0, 0x5f7ffffc, v0
	v_mul_f32_e32 v2, 0x2f800000, v0
	s_delay_alu instid0(VALU_DEP_1) | instskip(NEXT) | instid1(VALU_DEP_1)
	v_trunc_f32_e32 v2, v2
	v_fmamk_f32 v0, v2, 0xcf800000, v0
	v_cvt_u32_f32_e32 v2, v2
	s_delay_alu instid0(VALU_DEP_2) | instskip(NEXT) | instid1(VALU_DEP_2)
	v_cvt_u32_f32_e32 v0, v0
	v_mul_lo_u32 v3, s0, v2
	s_delay_alu instid0(VALU_DEP_2) | instskip(SKIP_1) | instid1(VALU_DEP_2)
	v_mul_hi_u32 v4, s0, v0
	v_mul_lo_u32 v5, s1, v0
	v_add_nc_u32_e32 v3, v4, v3
	v_mul_lo_u32 v4, s0, v0
	s_delay_alu instid0(VALU_DEP_2) | instskip(NEXT) | instid1(VALU_DEP_2)
	v_add_nc_u32_e32 v3, v3, v5
	v_mul_hi_u32 v5, v0, v4
	s_delay_alu instid0(VALU_DEP_2)
	v_mul_lo_u32 v6, v0, v3
	v_mul_hi_u32 v7, v0, v3
	v_mul_hi_u32 v8, v2, v4
	v_mul_lo_u32 v4, v2, v4
	v_mul_hi_u32 v9, v2, v3
	v_mul_lo_u32 v3, v2, v3
	v_add_co_u32 v5, vcc_lo, v5, v6
	v_add_co_ci_u32_e32 v6, vcc_lo, 0, v7, vcc_lo
	s_delay_alu instid0(VALU_DEP_2) | instskip(NEXT) | instid1(VALU_DEP_2)
	v_add_co_u32 v4, vcc_lo, v5, v4
	v_add_co_ci_u32_e32 v4, vcc_lo, v6, v8, vcc_lo
	v_add_co_ci_u32_e32 v5, vcc_lo, 0, v9, vcc_lo
	v_ashrrev_i32_e64 v8, 31, 0
	s_delay_alu instid0(VALU_DEP_3) | instskip(NEXT) | instid1(VALU_DEP_3)
	v_add_co_u32 v3, vcc_lo, v4, v3
	v_add_co_ci_u32_e32 v4, vcc_lo, 0, v5, vcc_lo
	s_delay_alu instid0(VALU_DEP_2) | instskip(NEXT) | instid1(VALU_DEP_2)
	v_add_co_u32 v0, vcc_lo, v0, v3
	v_add_co_ci_u32_e32 v2, vcc_lo, v2, v4, vcc_lo
	s_delay_alu instid0(VALU_DEP_2) | instskip(SKIP_1) | instid1(VALU_DEP_3)
	v_mul_hi_u32 v3, s0, v0
	v_mul_lo_u32 v5, s1, v0
	v_mul_lo_u32 v4, s0, v2
	s_delay_alu instid0(VALU_DEP_1) | instskip(SKIP_1) | instid1(VALU_DEP_2)
	v_add_nc_u32_e32 v3, v3, v4
	v_mul_lo_u32 v4, s0, v0
	v_add_nc_u32_e32 v3, v3, v5
	s_delay_alu instid0(VALU_DEP_2) | instskip(NEXT) | instid1(VALU_DEP_2)
	v_mul_hi_u32 v5, v0, v4
	v_mul_lo_u32 v6, v0, v3
	v_mul_hi_u32 v7, v0, v3
	v_mul_hi_u32 v9, v2, v4
	v_mul_lo_u32 v4, v2, v4
	v_mul_hi_u32 v10, v2, v3
	v_mul_lo_u32 v3, v2, v3
	v_add_co_u32 v5, vcc_lo, v5, v6
	v_add_co_ci_u32_e32 v6, vcc_lo, 0, v7, vcc_lo
	s_delay_alu instid0(VALU_DEP_2) | instskip(NEXT) | instid1(VALU_DEP_2)
	v_add_co_u32 v4, vcc_lo, v5, v4
	v_add_co_ci_u32_e32 v4, vcc_lo, v6, v9, vcc_lo
	v_add_co_ci_u32_e32 v5, vcc_lo, 0, v10, vcc_lo
	v_add_co_u32 v6, vcc_lo, v1, v8
	v_add_co_ci_u32_e32 v7, vcc_lo, 0, v8, vcc_lo
	s_delay_alu instid0(VALU_DEP_4) | instskip(NEXT) | instid1(VALU_DEP_4)
	v_add_co_u32 v3, vcc_lo, v4, v3
	v_add_co_ci_u32_e32 v4, vcc_lo, 0, v5, vcc_lo
	s_delay_alu instid0(VALU_DEP_4) | instskip(NEXT) | instid1(VALU_DEP_3)
	v_xor_b32_e32 v9, v6, v8
	v_add_co_u32 v0, vcc_lo, v0, v3
	s_delay_alu instid0(VALU_DEP_3) | instskip(SKIP_1) | instid1(VALU_DEP_3)
	v_add_co_ci_u32_e32 v10, vcc_lo, v2, v4, vcc_lo
	v_xor_b32_e32 v11, v7, v8
	v_mul_hi_u32 v12, v9, v0
	s_delay_alu instid0(VALU_DEP_3) | instskip(NEXT) | instid1(VALU_DEP_3)
	v_mad_u64_u32 v[2:3], null, v9, v10, 0
	v_mad_u64_u32 v[4:5], null, v11, v0, 0
	;; [unrolled: 1-line block ×3, first 2 shown]
	s_delay_alu instid0(VALU_DEP_3) | instskip(NEXT) | instid1(VALU_DEP_4)
	v_add_co_u32 v0, vcc_lo, v12, v2
	v_add_co_ci_u32_e32 v2, vcc_lo, 0, v3, vcc_lo
	s_delay_alu instid0(VALU_DEP_2) | instskip(NEXT) | instid1(VALU_DEP_2)
	v_add_co_u32 v0, vcc_lo, v0, v4
	v_add_co_ci_u32_e32 v0, vcc_lo, v2, v5, vcc_lo
	v_add_co_ci_u32_e32 v2, vcc_lo, 0, v7, vcc_lo
	s_delay_alu instid0(VALU_DEP_2) | instskip(NEXT) | instid1(VALU_DEP_2)
	v_add_co_u32 v0, vcc_lo, v0, v6
	v_add_co_ci_u32_e32 v4, vcc_lo, 0, v2, vcc_lo
	s_delay_alu instid0(VALU_DEP_2) | instskip(SKIP_1) | instid1(VALU_DEP_3)
	v_mul_lo_u32 v5, s25, v0
	v_mad_u64_u32 v[2:3], null, s24, v0, 0
	v_mul_lo_u32 v6, s24, v4
	s_delay_alu instid0(VALU_DEP_2) | instskip(NEXT) | instid1(VALU_DEP_2)
	v_sub_co_u32 v2, vcc_lo, v9, v2
	v_add3_u32 v3, v3, v6, v5
	s_delay_alu instid0(VALU_DEP_1) | instskip(NEXT) | instid1(VALU_DEP_1)
	v_sub_nc_u32_e32 v5, v11, v3
	v_subrev_co_ci_u32_e64 v5, s0, s25, v5, vcc_lo
	v_add_co_u32 v6, s0, v0, 2
	s_delay_alu instid0(VALU_DEP_1) | instskip(SKIP_3) | instid1(VALU_DEP_3)
	v_add_co_ci_u32_e64 v7, s0, 0, v4, s0
	v_sub_co_u32 v9, s0, v2, s24
	v_sub_co_ci_u32_e32 v3, vcc_lo, v11, v3, vcc_lo
	v_subrev_co_ci_u32_e64 v5, s0, 0, v5, s0
	v_cmp_le_u32_e32 vcc_lo, s24, v9
	s_delay_alu instid0(VALU_DEP_3) | instskip(SKIP_1) | instid1(VALU_DEP_4)
	v_cmp_eq_u32_e64 s0, s25, v3
	v_cndmask_b32_e64 v9, 0, -1, vcc_lo
	v_cmp_le_u32_e32 vcc_lo, s25, v5
	v_cndmask_b32_e64 v10, 0, -1, vcc_lo
	v_cmp_le_u32_e32 vcc_lo, s24, v2
	;; [unrolled: 2-line block ×3, first 2 shown]
	v_cndmask_b32_e64 v11, 0, -1, vcc_lo
	v_cmp_eq_u32_e32 vcc_lo, s25, v5
	s_delay_alu instid0(VALU_DEP_2) | instskip(SKIP_3) | instid1(VALU_DEP_3)
	v_cndmask_b32_e64 v2, v11, v2, s0
	v_cndmask_b32_e32 v5, v10, v9, vcc_lo
	v_add_co_u32 v9, vcc_lo, v0, 1
	v_add_co_ci_u32_e32 v10, vcc_lo, 0, v4, vcc_lo
	v_cmp_ne_u32_e32 vcc_lo, 0, v5
	s_delay_alu instid0(VALU_DEP_3) | instskip(NEXT) | instid1(VALU_DEP_3)
	v_cndmask_b32_e32 v5, v9, v6, vcc_lo
	v_cndmask_b32_e32 v3, v10, v7, vcc_lo
	v_cmp_ne_u32_e32 vcc_lo, 0, v2
	v_xor_b32_e32 v6, s22, v8
	s_delay_alu instid0(VALU_DEP_4) | instskip(NEXT) | instid1(VALU_DEP_4)
	v_cndmask_b32_e32 v0, v0, v5, vcc_lo
	v_cndmask_b32_e32 v2, v4, v3, vcc_lo
	s_delay_alu instid0(VALU_DEP_2) | instskip(NEXT) | instid1(VALU_DEP_2)
	v_xor_b32_e32 v0, v0, v6
	v_xor_b32_e32 v3, v2, v6
	s_delay_alu instid0(VALU_DEP_2) | instskip(NEXT) | instid1(VALU_DEP_2)
	v_sub_co_u32 v2, vcc_lo, v0, v6
	v_sub_co_ci_u32_e32 v3, vcc_lo, v3, v6, vcc_lo
	s_and_not1_b32 vcc_lo, exec_lo, s2
	s_cbranch_vccnz .LBB2_4
.LBB2_3:
	v_cvt_f32_u32_e32 v0, s26
	s_sub_i32 s0, 0, s26
	s_delay_alu instid0(VALU_DEP_1) | instskip(SKIP_2) | instid1(VALU_DEP_1)
	v_rcp_iflag_f32_e32 v0, v0
	s_waitcnt_depctr 0xfff
	v_mul_f32_e32 v0, 0x4f7ffffe, v0
	v_cvt_u32_f32_e32 v0, v0
	s_delay_alu instid0(VALU_DEP_1) | instskip(NEXT) | instid1(VALU_DEP_1)
	v_mul_lo_u32 v2, s0, v0
	v_mul_hi_u32 v2, v0, v2
	s_delay_alu instid0(VALU_DEP_1) | instskip(NEXT) | instid1(VALU_DEP_1)
	v_add_nc_u32_e32 v0, v0, v2
	v_mul_hi_u32 v0, v1, v0
	s_delay_alu instid0(VALU_DEP_1) | instskip(SKIP_1) | instid1(VALU_DEP_2)
	v_mul_lo_u32 v2, v0, s26
	v_add_nc_u32_e32 v3, 1, v0
	v_sub_nc_u32_e32 v2, v1, v2
	s_delay_alu instid0(VALU_DEP_1) | instskip(SKIP_1) | instid1(VALU_DEP_2)
	v_subrev_nc_u32_e32 v4, s26, v2
	v_cmp_le_u32_e32 vcc_lo, s26, v2
	v_cndmask_b32_e32 v2, v2, v4, vcc_lo
	v_cndmask_b32_e32 v0, v0, v3, vcc_lo
	s_delay_alu instid0(VALU_DEP_2) | instskip(NEXT) | instid1(VALU_DEP_2)
	v_cmp_le_u32_e32 vcc_lo, s26, v2
	v_add_nc_u32_e32 v3, 1, v0
	s_delay_alu instid0(VALU_DEP_1)
	v_dual_cndmask_b32 v2, v0, v3 :: v_dual_mov_b32 v3, 0
.LBB2_4:
	s_delay_alu instid0(VALU_DEP_1) | instskip(NEXT) | instid1(VALU_DEP_2)
	v_mul_lo_u32 v0, v3, s26
	v_mul_lo_u32 v6, v2, s3
	v_mad_u64_u32 v[4:5], null, v2, s26, 0
	s_sub_u32 s0, 0, s12
	s_subb_u32 s1, 0, s13
	s_sub_u32 s22, 0, s20
	s_subb_u32 s23, 0, s21
	s_waitcnt lgkmcnt(0)
	s_add_i32 s2, s15, s17
	s_add_i32 s14, s14, s16
	v_add3_u32 v5, v5, v6, v0
	v_sub_co_u32 v0, vcc_lo, v1, v4
	s_mul_i32 s2, s2, s18
	s_delay_alu instid0(VALU_DEP_2) | instskip(NEXT) | instid1(VALU_DEP_2)
	v_sub_co_ci_u32_e32 v1, vcc_lo, 0, v5, vcc_lo
	v_sub_co_u32 v4, vcc_lo, v0, s20
	s_add_i32 s2, s14, s2
	s_delay_alu instid0(VALU_DEP_2) | instskip(SKIP_2) | instid1(VALU_DEP_3)
	v_subrev_co_ci_u32_e32 v5, vcc_lo, s21, v1, vcc_lo
	v_sub_co_u32 v6, vcc_lo, v0, s29
	v_subrev_co_ci_u32_e32 v7, vcc_lo, s30, v1, vcc_lo
	v_ashrrev_i32_e32 v9, 31, v5
	s_delay_alu instid0(VALU_DEP_3) | instskip(NEXT) | instid1(VALU_DEP_3)
	v_add_co_u32 v6, vcc_lo, v6, 1
	v_add_co_ci_u32_e32 v7, vcc_lo, 0, v7, vcc_lo
	v_sub_co_u32 v8, vcc_lo, v2, s31
	v_subrev_co_ci_u32_e32 v10, vcc_lo, s33, v3, vcc_lo
	v_sub_co_u32 v11, vcc_lo, v2, s12
	v_subrev_co_ci_u32_e32 v12, vcc_lo, s13, v3, vcc_lo
	s_mul_i32 s11, s2, s11
	s_mul_hi_u32 s14, s2, s10
	v_add_co_u32 v8, vcc_lo, v8, 1
	s_mul_i32 s15, s2, s10
	v_cmp_gt_i64_e64 s10, s[22:23], 0
	s_add_i32 s14, s14, s11
	v_cmp_gt_i64_e64 s11, s[0:1], 0
	v_add_co_ci_u32_e32 v10, vcc_lo, 0, v10, vcc_lo
	v_xor_b32_e32 v14, v5, v9
	v_ashrrev_i32_e32 v5, 31, v12
	s_and_b32 s10, s10, exec_lo
	v_xor_b32_e32 v15, v4, v9
	v_ashrrev_i32_e32 v4, 31, v10
	s_cselect_b32 s16, s23, 0
	v_cmp_gt_i64_e64 s10, s[20:21], 0
	s_cselect_b32 s17, s22, 0
	s_and_b32 s11, s11, exec_lo
	v_cmp_gt_i64_e64 s11, s[12:13], 0
	v_xor_b32_e32 v11, v11, v5
	v_xor_b32_e32 v12, v12, v5
	;; [unrolled: 1-line block ×3, first 2 shown]
	s_cselect_b32 s18, s1, 0
	s_cselect_b32 s19, s0, 0
	s_and_b32 s0, s10, exec_lo
	v_xor_b32_e32 v10, v10, v4
	v_sub_co_u32 v11, vcc_lo, v11, v5
	s_cselect_b32 s1, s21, 0
	s_cselect_b32 s0, s20, 0
	s_and_b32 s10, s11, exec_lo
	s_cselect_b32 s11, s13, 0
	s_cselect_b32 s10, s12, 0
	v_sub_co_ci_u32_e32 v5, vcc_lo, v12, v5, vcc_lo
	v_sub_co_u32 v8, vcc_lo, v8, v4
	s_not_b64 s[0:1], s[0:1]
	s_not_b64 s[10:11], s[10:11]
	v_sub_co_ci_u32_e32 v4, vcc_lo, v10, v4, vcc_lo
	s_add_u32 s12, s31, s12
	s_addc_u32 s13, s33, s13
	s_add_u32 s10, s12, s10
	s_addc_u32 s11, s13, s11
	v_add_co_u32 v8, vcc_lo, v2, v8
	s_add_u32 s10, s10, s19
	s_addc_u32 s11, s11, s18
	v_add_co_ci_u32_e32 v4, vcc_lo, v3, v4, vcc_lo
	v_ashrrev_i32_e32 v13, 31, v7
	s_add_u32 s10, s10, s15
	s_addc_u32 s11, s11, s14
	v_sub_co_u32 v8, vcc_lo, s10, v8
	v_sub_co_ci_u32_e32 v4, vcc_lo, s11, v4, vcc_lo
	v_xor_b32_e32 v6, v6, v13
	v_xor_b32_e32 v7, v7, v13
	s_delay_alu instid0(VALU_DEP_4) | instskip(NEXT) | instid1(VALU_DEP_4)
	v_add_co_u32 v8, vcc_lo, v8, v11
	v_add_co_ci_u32_e32 v4, vcc_lo, v4, v5, vcc_lo
	s_delay_alu instid0(VALU_DEP_4) | instskip(NEXT) | instid1(VALU_DEP_4)
	v_sub_co_u32 v6, vcc_lo, v6, v13
	v_sub_co_ci_u32_e32 v7, vcc_lo, v7, v13, vcc_lo
	s_delay_alu instid0(VALU_DEP_3)
	v_mul_lo_u32 v10, v4, s8
	v_mad_u64_u32 v[4:5], null, v8, s8, 0
	s_add_u32 s8, s29, s20
	v_mul_lo_u32 v11, v8, s9
	s_addc_u32 s9, s30, s21
	v_add_co_u32 v6, vcc_lo, v0, v6
	s_add_u32 s0, s8, s0
	s_addc_u32 s1, s9, s1
	v_add_co_ci_u32_e32 v7, vcc_lo, v1, v7, vcc_lo
	s_add_u32 s0, s0, s17
	s_addc_u32 s1, s1, s16
	v_sub_co_u32 v6, vcc_lo, s0, v6
	s_delay_alu instid0(VALU_DEP_2) | instskip(SKIP_2) | instid1(VALU_DEP_3)
	v_sub_co_ci_u32_e32 v7, vcc_lo, s1, v7, vcc_lo
	v_sub_co_u32 v8, vcc_lo, v15, v9
	v_sub_co_ci_u32_e32 v9, vcc_lo, v14, v9, vcc_lo
	v_lshlrev_b64 v[6:7], 2, v[6:7]
	v_add3_u32 v5, v5, v11, v10
	v_lshlrev_b64 v[0:1], 2, v[0:1]
	s_delay_alu instid0(VALU_DEP_4) | instskip(NEXT) | instid1(VALU_DEP_4)
	v_lshlrev_b64 v[8:9], 2, v[8:9]
	v_add_co_u32 v6, vcc_lo, s4, v6
	v_add_co_ci_u32_e32 v7, vcc_lo, s5, v7, vcc_lo
	v_lshlrev_b64 v[4:5], 2, v[4:5]
	s_delay_alu instid0(VALU_DEP_3) | instskip(NEXT) | instid1(VALU_DEP_3)
	v_add_co_u32 v6, vcc_lo, v6, v8
	v_add_co_ci_u32_e32 v7, vcc_lo, v7, v9, vcc_lo
	s_delay_alu instid0(VALU_DEP_2) | instskip(NEXT) | instid1(VALU_DEP_2)
	v_add_co_u32 v4, vcc_lo, v6, v4
	v_add_co_ci_u32_e32 v5, vcc_lo, v7, v5, vcc_lo
	global_load_b32 v7, v[4:5], off
	v_mad_u64_u32 v[4:5], null, s28, s2, v[2:3]
	s_delay_alu instid0(VALU_DEP_1) | instskip(NEXT) | instid1(VALU_DEP_1)
	v_mov_b32_e32 v2, v5
	v_mad_u64_u32 v[5:6], null, s27, s2, v[2:3]
	s_delay_alu instid0(VALU_DEP_3) | instskip(SKIP_1) | instid1(VALU_DEP_3)
	v_mul_lo_u32 v6, v4, s3
	v_mad_u64_u32 v[2:3], null, v4, s26, 0
	v_mul_lo_u32 v5, v5, s26
	s_delay_alu instid0(VALU_DEP_1) | instskip(NEXT) | instid1(VALU_DEP_1)
	v_add3_u32 v3, v3, v6, v5
	v_lshlrev_b64 v[2:3], 2, v[2:3]
	s_delay_alu instid0(VALU_DEP_1) | instskip(NEXT) | instid1(VALU_DEP_2)
	v_add_co_u32 v2, vcc_lo, s6, v2
	v_add_co_ci_u32_e32 v3, vcc_lo, s7, v3, vcc_lo
	s_delay_alu instid0(VALU_DEP_2) | instskip(NEXT) | instid1(VALU_DEP_2)
	v_add_co_u32 v0, vcc_lo, v2, v0
	v_add_co_ci_u32_e32 v1, vcc_lo, v3, v1, vcc_lo
	s_waitcnt vmcnt(0)
	global_store_b32 v[0:1], v7, off
.LBB2_5:
	s_nop 0
	s_sendmsg sendmsg(MSG_DEALLOC_VGPRS)
	s_endpgm
.LBB2_6:
                                        ; implicit-def: $vgpr2_vgpr3
	s_branch .LBB2_3
	.section	.rodata,"a",@progbits
	.p2align	6, 0x0
	.amdhsa_kernel _ZN2at6native12_GLOBAL__N_127reflection_pad2d_out_kernelIiEEvPKT_PS3_lliiiiiii
		.amdhsa_group_segment_fixed_size 0
		.amdhsa_private_segment_fixed_size 0
		.amdhsa_kernarg_size 320
		.amdhsa_user_sgpr_count 13
		.amdhsa_user_sgpr_dispatch_ptr 0
		.amdhsa_user_sgpr_queue_ptr 0
		.amdhsa_user_sgpr_kernarg_segment_ptr 1
		.amdhsa_user_sgpr_dispatch_id 0
		.amdhsa_user_sgpr_private_segment_size 0
		.amdhsa_wavefront_size32 1
		.amdhsa_uses_dynamic_stack 0
		.amdhsa_enable_private_segment 0
		.amdhsa_system_sgpr_workgroup_id_x 1
		.amdhsa_system_sgpr_workgroup_id_y 1
		.amdhsa_system_sgpr_workgroup_id_z 1
		.amdhsa_system_sgpr_workgroup_info 0
		.amdhsa_system_vgpr_workitem_id 0
		.amdhsa_next_free_vgpr 16
		.amdhsa_next_free_sgpr 34
		.amdhsa_reserve_vcc 1
		.amdhsa_float_round_mode_32 0
		.amdhsa_float_round_mode_16_64 0
		.amdhsa_float_denorm_mode_32 3
		.amdhsa_float_denorm_mode_16_64 3
		.amdhsa_dx10_clamp 1
		.amdhsa_ieee_mode 1
		.amdhsa_fp16_overflow 0
		.amdhsa_workgroup_processor_mode 1
		.amdhsa_memory_ordered 1
		.amdhsa_forward_progress 0
		.amdhsa_shared_vgpr_count 0
		.amdhsa_exception_fp_ieee_invalid_op 0
		.amdhsa_exception_fp_denorm_src 0
		.amdhsa_exception_fp_ieee_div_zero 0
		.amdhsa_exception_fp_ieee_overflow 0
		.amdhsa_exception_fp_ieee_underflow 0
		.amdhsa_exception_fp_ieee_inexact 0
		.amdhsa_exception_int_div_zero 0
	.end_amdhsa_kernel
	.section	.text._ZN2at6native12_GLOBAL__N_127reflection_pad2d_out_kernelIiEEvPKT_PS3_lliiiiiii,"axG",@progbits,_ZN2at6native12_GLOBAL__N_127reflection_pad2d_out_kernelIiEEvPKT_PS3_lliiiiiii,comdat
.Lfunc_end2:
	.size	_ZN2at6native12_GLOBAL__N_127reflection_pad2d_out_kernelIiEEvPKT_PS3_lliiiiiii, .Lfunc_end2-_ZN2at6native12_GLOBAL__N_127reflection_pad2d_out_kernelIiEEvPKT_PS3_lliiiiiii
                                        ; -- End function
	.section	.AMDGPU.csdata,"",@progbits
; Kernel info:
; codeLenInByte = 1896
; NumSgprs: 36
; NumVgprs: 16
; ScratchSize: 0
; MemoryBound: 0
; FloatMode: 240
; IeeeMode: 1
; LDSByteSize: 0 bytes/workgroup (compile time only)
; SGPRBlocks: 4
; VGPRBlocks: 1
; NumSGPRsForWavesPerEU: 36
; NumVGPRsForWavesPerEU: 16
; Occupancy: 16
; WaveLimiterHint : 0
; COMPUTE_PGM_RSRC2:SCRATCH_EN: 0
; COMPUTE_PGM_RSRC2:USER_SGPR: 13
; COMPUTE_PGM_RSRC2:TRAP_HANDLER: 0
; COMPUTE_PGM_RSRC2:TGID_X_EN: 1
; COMPUTE_PGM_RSRC2:TGID_Y_EN: 1
; COMPUTE_PGM_RSRC2:TGID_Z_EN: 1
; COMPUTE_PGM_RSRC2:TIDIG_COMP_CNT: 0
	.section	.text._ZN2at6native12_GLOBAL__N_127reflection_pad2d_out_kernelIlEEvPKT_PS3_lliiiiiii,"axG",@progbits,_ZN2at6native12_GLOBAL__N_127reflection_pad2d_out_kernelIlEEvPKT_PS3_lliiiiiii,comdat
	.globl	_ZN2at6native12_GLOBAL__N_127reflection_pad2d_out_kernelIlEEvPKT_PS3_lliiiiiii ; -- Begin function _ZN2at6native12_GLOBAL__N_127reflection_pad2d_out_kernelIlEEvPKT_PS3_lliiiiiii
	.p2align	8
	.type	_ZN2at6native12_GLOBAL__N_127reflection_pad2d_out_kernelIlEEvPKT_PS3_lliiiiiii,@function
_ZN2at6native12_GLOBAL__N_127reflection_pad2d_out_kernelIlEEvPKT_PS3_lliiiiiii: ; @_ZN2at6native12_GLOBAL__N_127reflection_pad2d_out_kernelIlEEvPKT_PS3_lliiiiiii
; %bb.0:
	s_clause 0x2
	s_load_b32 s2, s[0:1], 0x4c
	s_load_b128 s[16:19], s[0:1], 0x20
	s_load_b256 s[4:11], s[0:1], 0x0
	s_waitcnt lgkmcnt(0)
	s_and_b32 s2, s2, 0xffff
	s_ashr_i32 s21, s18, 31
	s_add_u32 s29, s18, s8
	v_mad_u64_u32 v[1:2], null, s13, s2, v[0:1]
	s_addc_u32 s30, s21, s9
	s_ashr_i32 s2, s19, 31
	s_add_u32 s26, s29, s19
	s_addc_u32 s3, s30, s2
	s_ashr_i32 s13, s16, 31
	s_add_u32 s31, s16, s10
	;; [unrolled: 3-line block ×3, first 2 shown]
	s_addc_u32 s27, s33, s2
	s_mul_hi_u32 s2, s26, s28
	s_mul_i32 s12, s26, s27
	v_mov_b32_e32 v2, 0
	s_mul_i32 s17, s3, s28
	s_add_i32 s2, s2, s12
	s_mul_i32 s22, s26, s28
	s_add_i32 s23, s2, s17
	s_mov_b32 s2, exec_lo
	v_cmpx_gt_i64_e64 s[22:23], v[1:2]
	s_cbranch_execz .LBB3_5
; %bb.1:
	s_mov_b32 s20, s18
	s_mov_b32 s12, s16
	s_load_b128 s[16:19], s[0:1], 0x30
	s_mov_b32 s2, 0
	s_delay_alu instid0(SALU_CYCLE_1)
	s_cmp_lg_u64 s[2:3], 0
	s_cbranch_scc0 .LBB3_6
; %bb.2:
	s_ashr_i32 s22, s3, 31
	s_delay_alu instid0(SALU_CYCLE_1) | instskip(SKIP_2) | instid1(SALU_CYCLE_1)
	s_add_u32 s0, s26, s22
	s_mov_b32 s23, s22
	s_addc_u32 s1, s3, s22
	s_xor_b64 s[24:25], s[0:1], s[22:23]
	s_delay_alu instid0(SALU_CYCLE_1) | instskip(SKIP_3) | instid1(VALU_DEP_1)
	v_cvt_f32_u32_e32 v0, s24
	v_cvt_f32_u32_e32 v2, s25
	s_sub_u32 s0, 0, s24
	s_subb_u32 s1, 0, s25
	v_fmamk_f32 v0, v2, 0x4f800000, v0
	s_delay_alu instid0(VALU_DEP_1) | instskip(SKIP_2) | instid1(VALU_DEP_1)
	v_rcp_f32_e32 v0, v0
	s_waitcnt_depctr 0xfff
	v_mul_f32_e32 v0, 0x5f7ffffc, v0
	v_mul_f32_e32 v2, 0x2f800000, v0
	s_delay_alu instid0(VALU_DEP_1) | instskip(NEXT) | instid1(VALU_DEP_1)
	v_trunc_f32_e32 v2, v2
	v_fmamk_f32 v0, v2, 0xcf800000, v0
	v_cvt_u32_f32_e32 v2, v2
	s_delay_alu instid0(VALU_DEP_2) | instskip(NEXT) | instid1(VALU_DEP_2)
	v_cvt_u32_f32_e32 v0, v0
	v_mul_lo_u32 v3, s0, v2
	s_delay_alu instid0(VALU_DEP_2) | instskip(SKIP_1) | instid1(VALU_DEP_2)
	v_mul_hi_u32 v4, s0, v0
	v_mul_lo_u32 v5, s1, v0
	v_add_nc_u32_e32 v3, v4, v3
	v_mul_lo_u32 v4, s0, v0
	s_delay_alu instid0(VALU_DEP_2) | instskip(NEXT) | instid1(VALU_DEP_2)
	v_add_nc_u32_e32 v3, v3, v5
	v_mul_hi_u32 v5, v0, v4
	s_delay_alu instid0(VALU_DEP_2)
	v_mul_lo_u32 v6, v0, v3
	v_mul_hi_u32 v7, v0, v3
	v_mul_hi_u32 v8, v2, v4
	v_mul_lo_u32 v4, v2, v4
	v_mul_hi_u32 v9, v2, v3
	v_mul_lo_u32 v3, v2, v3
	v_add_co_u32 v5, vcc_lo, v5, v6
	v_add_co_ci_u32_e32 v6, vcc_lo, 0, v7, vcc_lo
	s_delay_alu instid0(VALU_DEP_2) | instskip(NEXT) | instid1(VALU_DEP_2)
	v_add_co_u32 v4, vcc_lo, v5, v4
	v_add_co_ci_u32_e32 v4, vcc_lo, v6, v8, vcc_lo
	v_add_co_ci_u32_e32 v5, vcc_lo, 0, v9, vcc_lo
	v_ashrrev_i32_e64 v8, 31, 0
	s_delay_alu instid0(VALU_DEP_3) | instskip(NEXT) | instid1(VALU_DEP_3)
	v_add_co_u32 v3, vcc_lo, v4, v3
	v_add_co_ci_u32_e32 v4, vcc_lo, 0, v5, vcc_lo
	s_delay_alu instid0(VALU_DEP_2) | instskip(NEXT) | instid1(VALU_DEP_2)
	v_add_co_u32 v0, vcc_lo, v0, v3
	v_add_co_ci_u32_e32 v2, vcc_lo, v2, v4, vcc_lo
	s_delay_alu instid0(VALU_DEP_2) | instskip(SKIP_1) | instid1(VALU_DEP_3)
	v_mul_hi_u32 v3, s0, v0
	v_mul_lo_u32 v5, s1, v0
	v_mul_lo_u32 v4, s0, v2
	s_delay_alu instid0(VALU_DEP_1) | instskip(SKIP_1) | instid1(VALU_DEP_2)
	v_add_nc_u32_e32 v3, v3, v4
	v_mul_lo_u32 v4, s0, v0
	v_add_nc_u32_e32 v3, v3, v5
	s_delay_alu instid0(VALU_DEP_2) | instskip(NEXT) | instid1(VALU_DEP_2)
	v_mul_hi_u32 v5, v0, v4
	v_mul_lo_u32 v6, v0, v3
	v_mul_hi_u32 v7, v0, v3
	v_mul_hi_u32 v9, v2, v4
	v_mul_lo_u32 v4, v2, v4
	v_mul_hi_u32 v10, v2, v3
	v_mul_lo_u32 v3, v2, v3
	v_add_co_u32 v5, vcc_lo, v5, v6
	v_add_co_ci_u32_e32 v6, vcc_lo, 0, v7, vcc_lo
	s_delay_alu instid0(VALU_DEP_2) | instskip(NEXT) | instid1(VALU_DEP_2)
	v_add_co_u32 v4, vcc_lo, v5, v4
	v_add_co_ci_u32_e32 v4, vcc_lo, v6, v9, vcc_lo
	v_add_co_ci_u32_e32 v5, vcc_lo, 0, v10, vcc_lo
	v_add_co_u32 v6, vcc_lo, v1, v8
	v_add_co_ci_u32_e32 v7, vcc_lo, 0, v8, vcc_lo
	s_delay_alu instid0(VALU_DEP_4) | instskip(NEXT) | instid1(VALU_DEP_4)
	v_add_co_u32 v3, vcc_lo, v4, v3
	v_add_co_ci_u32_e32 v4, vcc_lo, 0, v5, vcc_lo
	s_delay_alu instid0(VALU_DEP_4) | instskip(NEXT) | instid1(VALU_DEP_3)
	v_xor_b32_e32 v9, v6, v8
	v_add_co_u32 v0, vcc_lo, v0, v3
	s_delay_alu instid0(VALU_DEP_3) | instskip(SKIP_1) | instid1(VALU_DEP_3)
	v_add_co_ci_u32_e32 v10, vcc_lo, v2, v4, vcc_lo
	v_xor_b32_e32 v11, v7, v8
	v_mul_hi_u32 v12, v9, v0
	s_delay_alu instid0(VALU_DEP_3) | instskip(NEXT) | instid1(VALU_DEP_3)
	v_mad_u64_u32 v[2:3], null, v9, v10, 0
	v_mad_u64_u32 v[4:5], null, v11, v0, 0
	;; [unrolled: 1-line block ×3, first 2 shown]
	s_delay_alu instid0(VALU_DEP_3) | instskip(NEXT) | instid1(VALU_DEP_4)
	v_add_co_u32 v0, vcc_lo, v12, v2
	v_add_co_ci_u32_e32 v2, vcc_lo, 0, v3, vcc_lo
	s_delay_alu instid0(VALU_DEP_2) | instskip(NEXT) | instid1(VALU_DEP_2)
	v_add_co_u32 v0, vcc_lo, v0, v4
	v_add_co_ci_u32_e32 v0, vcc_lo, v2, v5, vcc_lo
	v_add_co_ci_u32_e32 v2, vcc_lo, 0, v7, vcc_lo
	s_delay_alu instid0(VALU_DEP_2) | instskip(NEXT) | instid1(VALU_DEP_2)
	v_add_co_u32 v0, vcc_lo, v0, v6
	v_add_co_ci_u32_e32 v4, vcc_lo, 0, v2, vcc_lo
	s_delay_alu instid0(VALU_DEP_2) | instskip(SKIP_1) | instid1(VALU_DEP_3)
	v_mul_lo_u32 v5, s25, v0
	v_mad_u64_u32 v[2:3], null, s24, v0, 0
	v_mul_lo_u32 v6, s24, v4
	s_delay_alu instid0(VALU_DEP_2) | instskip(NEXT) | instid1(VALU_DEP_2)
	v_sub_co_u32 v2, vcc_lo, v9, v2
	v_add3_u32 v3, v3, v6, v5
	s_delay_alu instid0(VALU_DEP_1) | instskip(NEXT) | instid1(VALU_DEP_1)
	v_sub_nc_u32_e32 v5, v11, v3
	v_subrev_co_ci_u32_e64 v5, s0, s25, v5, vcc_lo
	v_add_co_u32 v6, s0, v0, 2
	s_delay_alu instid0(VALU_DEP_1) | instskip(SKIP_3) | instid1(VALU_DEP_3)
	v_add_co_ci_u32_e64 v7, s0, 0, v4, s0
	v_sub_co_u32 v9, s0, v2, s24
	v_sub_co_ci_u32_e32 v3, vcc_lo, v11, v3, vcc_lo
	v_subrev_co_ci_u32_e64 v5, s0, 0, v5, s0
	v_cmp_le_u32_e32 vcc_lo, s24, v9
	s_delay_alu instid0(VALU_DEP_3) | instskip(SKIP_1) | instid1(VALU_DEP_4)
	v_cmp_eq_u32_e64 s0, s25, v3
	v_cndmask_b32_e64 v9, 0, -1, vcc_lo
	v_cmp_le_u32_e32 vcc_lo, s25, v5
	v_cndmask_b32_e64 v10, 0, -1, vcc_lo
	v_cmp_le_u32_e32 vcc_lo, s24, v2
	;; [unrolled: 2-line block ×3, first 2 shown]
	v_cndmask_b32_e64 v11, 0, -1, vcc_lo
	v_cmp_eq_u32_e32 vcc_lo, s25, v5
	s_delay_alu instid0(VALU_DEP_2) | instskip(SKIP_3) | instid1(VALU_DEP_3)
	v_cndmask_b32_e64 v2, v11, v2, s0
	v_cndmask_b32_e32 v5, v10, v9, vcc_lo
	v_add_co_u32 v9, vcc_lo, v0, 1
	v_add_co_ci_u32_e32 v10, vcc_lo, 0, v4, vcc_lo
	v_cmp_ne_u32_e32 vcc_lo, 0, v5
	s_delay_alu instid0(VALU_DEP_3) | instskip(NEXT) | instid1(VALU_DEP_3)
	v_cndmask_b32_e32 v5, v9, v6, vcc_lo
	v_cndmask_b32_e32 v3, v10, v7, vcc_lo
	v_cmp_ne_u32_e32 vcc_lo, 0, v2
	v_xor_b32_e32 v6, s22, v8
	s_delay_alu instid0(VALU_DEP_4) | instskip(NEXT) | instid1(VALU_DEP_4)
	v_cndmask_b32_e32 v0, v0, v5, vcc_lo
	v_cndmask_b32_e32 v2, v4, v3, vcc_lo
	s_delay_alu instid0(VALU_DEP_2) | instskip(NEXT) | instid1(VALU_DEP_2)
	v_xor_b32_e32 v0, v0, v6
	v_xor_b32_e32 v3, v2, v6
	s_delay_alu instid0(VALU_DEP_2) | instskip(NEXT) | instid1(VALU_DEP_2)
	v_sub_co_u32 v2, vcc_lo, v0, v6
	v_sub_co_ci_u32_e32 v3, vcc_lo, v3, v6, vcc_lo
	s_and_not1_b32 vcc_lo, exec_lo, s2
	s_cbranch_vccnz .LBB3_4
.LBB3_3:
	v_cvt_f32_u32_e32 v0, s26
	s_sub_i32 s0, 0, s26
	s_delay_alu instid0(VALU_DEP_1) | instskip(SKIP_2) | instid1(VALU_DEP_1)
	v_rcp_iflag_f32_e32 v0, v0
	s_waitcnt_depctr 0xfff
	v_mul_f32_e32 v0, 0x4f7ffffe, v0
	v_cvt_u32_f32_e32 v0, v0
	s_delay_alu instid0(VALU_DEP_1) | instskip(NEXT) | instid1(VALU_DEP_1)
	v_mul_lo_u32 v2, s0, v0
	v_mul_hi_u32 v2, v0, v2
	s_delay_alu instid0(VALU_DEP_1) | instskip(NEXT) | instid1(VALU_DEP_1)
	v_add_nc_u32_e32 v0, v0, v2
	v_mul_hi_u32 v0, v1, v0
	s_delay_alu instid0(VALU_DEP_1) | instskip(SKIP_1) | instid1(VALU_DEP_2)
	v_mul_lo_u32 v2, v0, s26
	v_add_nc_u32_e32 v3, 1, v0
	v_sub_nc_u32_e32 v2, v1, v2
	s_delay_alu instid0(VALU_DEP_1) | instskip(SKIP_1) | instid1(VALU_DEP_2)
	v_subrev_nc_u32_e32 v4, s26, v2
	v_cmp_le_u32_e32 vcc_lo, s26, v2
	v_cndmask_b32_e32 v2, v2, v4, vcc_lo
	v_cndmask_b32_e32 v0, v0, v3, vcc_lo
	s_delay_alu instid0(VALU_DEP_2) | instskip(NEXT) | instid1(VALU_DEP_2)
	v_cmp_le_u32_e32 vcc_lo, s26, v2
	v_add_nc_u32_e32 v3, 1, v0
	s_delay_alu instid0(VALU_DEP_1)
	v_dual_cndmask_b32 v2, v0, v3 :: v_dual_mov_b32 v3, 0
.LBB3_4:
	s_delay_alu instid0(VALU_DEP_1) | instskip(NEXT) | instid1(VALU_DEP_2)
	v_mul_lo_u32 v0, v3, s26
	v_mul_lo_u32 v6, v2, s3
	v_mad_u64_u32 v[4:5], null, v2, s26, 0
	s_sub_u32 s0, 0, s12
	s_subb_u32 s1, 0, s13
	s_sub_u32 s22, 0, s20
	s_subb_u32 s23, 0, s21
	s_waitcnt lgkmcnt(0)
	s_add_i32 s2, s15, s17
	s_add_i32 s14, s14, s16
	v_add3_u32 v5, v5, v6, v0
	v_sub_co_u32 v0, vcc_lo, v1, v4
	s_mul_i32 s2, s2, s18
	s_delay_alu instid0(VALU_DEP_2) | instskip(NEXT) | instid1(VALU_DEP_2)
	v_sub_co_ci_u32_e32 v1, vcc_lo, 0, v5, vcc_lo
	v_sub_co_u32 v4, vcc_lo, v0, s20
	s_add_i32 s2, s14, s2
	s_delay_alu instid0(VALU_DEP_2) | instskip(SKIP_2) | instid1(VALU_DEP_3)
	v_subrev_co_ci_u32_e32 v5, vcc_lo, s21, v1, vcc_lo
	v_sub_co_u32 v6, vcc_lo, v0, s29
	v_subrev_co_ci_u32_e32 v7, vcc_lo, s30, v1, vcc_lo
	v_ashrrev_i32_e32 v9, 31, v5
	s_delay_alu instid0(VALU_DEP_3) | instskip(NEXT) | instid1(VALU_DEP_3)
	v_add_co_u32 v6, vcc_lo, v6, 1
	v_add_co_ci_u32_e32 v7, vcc_lo, 0, v7, vcc_lo
	v_sub_co_u32 v8, vcc_lo, v2, s31
	v_subrev_co_ci_u32_e32 v10, vcc_lo, s33, v3, vcc_lo
	v_sub_co_u32 v11, vcc_lo, v2, s12
	v_subrev_co_ci_u32_e32 v12, vcc_lo, s13, v3, vcc_lo
	s_mul_i32 s11, s2, s11
	s_mul_hi_u32 s14, s2, s10
	v_add_co_u32 v8, vcc_lo, v8, 1
	s_mul_i32 s15, s2, s10
	v_cmp_gt_i64_e64 s10, s[22:23], 0
	s_add_i32 s14, s14, s11
	v_cmp_gt_i64_e64 s11, s[0:1], 0
	v_add_co_ci_u32_e32 v10, vcc_lo, 0, v10, vcc_lo
	v_xor_b32_e32 v14, v5, v9
	v_ashrrev_i32_e32 v5, 31, v12
	s_and_b32 s10, s10, exec_lo
	v_xor_b32_e32 v15, v4, v9
	v_ashrrev_i32_e32 v4, 31, v10
	s_cselect_b32 s16, s23, 0
	v_cmp_gt_i64_e64 s10, s[20:21], 0
	s_cselect_b32 s17, s22, 0
	s_and_b32 s11, s11, exec_lo
	v_cmp_gt_i64_e64 s11, s[12:13], 0
	v_xor_b32_e32 v11, v11, v5
	v_xor_b32_e32 v12, v12, v5
	;; [unrolled: 1-line block ×3, first 2 shown]
	s_cselect_b32 s18, s1, 0
	s_cselect_b32 s19, s0, 0
	s_and_b32 s0, s10, exec_lo
	v_xor_b32_e32 v10, v10, v4
	v_sub_co_u32 v11, vcc_lo, v11, v5
	s_cselect_b32 s1, s21, 0
	s_cselect_b32 s0, s20, 0
	s_and_b32 s10, s11, exec_lo
	s_cselect_b32 s11, s13, 0
	s_cselect_b32 s10, s12, 0
	v_sub_co_ci_u32_e32 v5, vcc_lo, v12, v5, vcc_lo
	v_sub_co_u32 v8, vcc_lo, v8, v4
	s_not_b64 s[0:1], s[0:1]
	s_not_b64 s[10:11], s[10:11]
	v_sub_co_ci_u32_e32 v4, vcc_lo, v10, v4, vcc_lo
	s_add_u32 s12, s31, s12
	s_addc_u32 s13, s33, s13
	s_add_u32 s10, s12, s10
	s_addc_u32 s11, s13, s11
	v_add_co_u32 v8, vcc_lo, v2, v8
	s_add_u32 s10, s10, s19
	s_addc_u32 s11, s11, s18
	v_add_co_ci_u32_e32 v4, vcc_lo, v3, v4, vcc_lo
	v_ashrrev_i32_e32 v13, 31, v7
	s_add_u32 s10, s10, s15
	s_addc_u32 s11, s11, s14
	v_sub_co_u32 v8, vcc_lo, s10, v8
	v_sub_co_ci_u32_e32 v4, vcc_lo, s11, v4, vcc_lo
	v_xor_b32_e32 v6, v6, v13
	v_xor_b32_e32 v7, v7, v13
	s_delay_alu instid0(VALU_DEP_4) | instskip(NEXT) | instid1(VALU_DEP_4)
	v_add_co_u32 v8, vcc_lo, v8, v11
	v_add_co_ci_u32_e32 v4, vcc_lo, v4, v5, vcc_lo
	s_delay_alu instid0(VALU_DEP_4) | instskip(NEXT) | instid1(VALU_DEP_4)
	v_sub_co_u32 v6, vcc_lo, v6, v13
	v_sub_co_ci_u32_e32 v7, vcc_lo, v7, v13, vcc_lo
	s_delay_alu instid0(VALU_DEP_3)
	v_mul_lo_u32 v10, v4, s8
	v_mad_u64_u32 v[4:5], null, v8, s8, 0
	s_add_u32 s8, s29, s20
	v_mul_lo_u32 v11, v8, s9
	s_addc_u32 s9, s30, s21
	v_add_co_u32 v6, vcc_lo, v0, v6
	s_add_u32 s0, s8, s0
	s_addc_u32 s1, s9, s1
	v_add_co_ci_u32_e32 v7, vcc_lo, v1, v7, vcc_lo
	s_add_u32 s0, s0, s17
	s_addc_u32 s1, s1, s16
	v_sub_co_u32 v6, vcc_lo, s0, v6
	s_delay_alu instid0(VALU_DEP_2) | instskip(SKIP_2) | instid1(VALU_DEP_3)
	v_sub_co_ci_u32_e32 v7, vcc_lo, s1, v7, vcc_lo
	v_sub_co_u32 v8, vcc_lo, v15, v9
	v_sub_co_ci_u32_e32 v9, vcc_lo, v14, v9, vcc_lo
	v_lshlrev_b64 v[6:7], 3, v[6:7]
	v_add3_u32 v5, v5, v11, v10
	v_lshlrev_b64 v[0:1], 3, v[0:1]
	s_delay_alu instid0(VALU_DEP_4) | instskip(NEXT) | instid1(VALU_DEP_4)
	v_lshlrev_b64 v[8:9], 3, v[8:9]
	v_add_co_u32 v6, vcc_lo, s4, v6
	v_add_co_ci_u32_e32 v7, vcc_lo, s5, v7, vcc_lo
	v_lshlrev_b64 v[4:5], 3, v[4:5]
	s_delay_alu instid0(VALU_DEP_3) | instskip(NEXT) | instid1(VALU_DEP_3)
	v_add_co_u32 v6, vcc_lo, v6, v8
	v_add_co_ci_u32_e32 v7, vcc_lo, v7, v9, vcc_lo
	s_delay_alu instid0(VALU_DEP_2) | instskip(NEXT) | instid1(VALU_DEP_2)
	v_add_co_u32 v4, vcc_lo, v6, v4
	v_add_co_ci_u32_e32 v5, vcc_lo, v7, v5, vcc_lo
	v_mad_u64_u32 v[6:7], null, s28, s2, v[2:3]
	global_load_b64 v[4:5], v[4:5], off
	v_mov_b32_e32 v2, v7
	s_delay_alu instid0(VALU_DEP_1) | instskip(SKIP_2) | instid1(VALU_DEP_3)
	v_mad_u64_u32 v[7:8], null, s27, s2, v[2:3]
	v_mul_lo_u32 v8, v6, s3
	v_mad_u64_u32 v[2:3], null, v6, s26, 0
	v_mul_lo_u32 v7, v7, s26
	s_delay_alu instid0(VALU_DEP_1) | instskip(NEXT) | instid1(VALU_DEP_1)
	v_add3_u32 v3, v3, v8, v7
	v_lshlrev_b64 v[2:3], 3, v[2:3]
	s_delay_alu instid0(VALU_DEP_1) | instskip(NEXT) | instid1(VALU_DEP_2)
	v_add_co_u32 v2, vcc_lo, s6, v2
	v_add_co_ci_u32_e32 v3, vcc_lo, s7, v3, vcc_lo
	s_delay_alu instid0(VALU_DEP_2) | instskip(NEXT) | instid1(VALU_DEP_2)
	v_add_co_u32 v0, vcc_lo, v2, v0
	v_add_co_ci_u32_e32 v1, vcc_lo, v3, v1, vcc_lo
	s_waitcnt vmcnt(0)
	global_store_b64 v[0:1], v[4:5], off
.LBB3_5:
	s_nop 0
	s_sendmsg sendmsg(MSG_DEALLOC_VGPRS)
	s_endpgm
.LBB3_6:
                                        ; implicit-def: $vgpr2_vgpr3
	s_branch .LBB3_3
	.section	.rodata,"a",@progbits
	.p2align	6, 0x0
	.amdhsa_kernel _ZN2at6native12_GLOBAL__N_127reflection_pad2d_out_kernelIlEEvPKT_PS3_lliiiiiii
		.amdhsa_group_segment_fixed_size 0
		.amdhsa_private_segment_fixed_size 0
		.amdhsa_kernarg_size 320
		.amdhsa_user_sgpr_count 13
		.amdhsa_user_sgpr_dispatch_ptr 0
		.amdhsa_user_sgpr_queue_ptr 0
		.amdhsa_user_sgpr_kernarg_segment_ptr 1
		.amdhsa_user_sgpr_dispatch_id 0
		.amdhsa_user_sgpr_private_segment_size 0
		.amdhsa_wavefront_size32 1
		.amdhsa_uses_dynamic_stack 0
		.amdhsa_enable_private_segment 0
		.amdhsa_system_sgpr_workgroup_id_x 1
		.amdhsa_system_sgpr_workgroup_id_y 1
		.amdhsa_system_sgpr_workgroup_id_z 1
		.amdhsa_system_sgpr_workgroup_info 0
		.amdhsa_system_vgpr_workitem_id 0
		.amdhsa_next_free_vgpr 16
		.amdhsa_next_free_sgpr 34
		.amdhsa_reserve_vcc 1
		.amdhsa_float_round_mode_32 0
		.amdhsa_float_round_mode_16_64 0
		.amdhsa_float_denorm_mode_32 3
		.amdhsa_float_denorm_mode_16_64 3
		.amdhsa_dx10_clamp 1
		.amdhsa_ieee_mode 1
		.amdhsa_fp16_overflow 0
		.amdhsa_workgroup_processor_mode 1
		.amdhsa_memory_ordered 1
		.amdhsa_forward_progress 0
		.amdhsa_shared_vgpr_count 0
		.amdhsa_exception_fp_ieee_invalid_op 0
		.amdhsa_exception_fp_denorm_src 0
		.amdhsa_exception_fp_ieee_div_zero 0
		.amdhsa_exception_fp_ieee_overflow 0
		.amdhsa_exception_fp_ieee_underflow 0
		.amdhsa_exception_fp_ieee_inexact 0
		.amdhsa_exception_int_div_zero 0
	.end_amdhsa_kernel
	.section	.text._ZN2at6native12_GLOBAL__N_127reflection_pad2d_out_kernelIlEEvPKT_PS3_lliiiiiii,"axG",@progbits,_ZN2at6native12_GLOBAL__N_127reflection_pad2d_out_kernelIlEEvPKT_PS3_lliiiiiii,comdat
.Lfunc_end3:
	.size	_ZN2at6native12_GLOBAL__N_127reflection_pad2d_out_kernelIlEEvPKT_PS3_lliiiiiii, .Lfunc_end3-_ZN2at6native12_GLOBAL__N_127reflection_pad2d_out_kernelIlEEvPKT_PS3_lliiiiiii
                                        ; -- End function
	.section	.AMDGPU.csdata,"",@progbits
; Kernel info:
; codeLenInByte = 1892
; NumSgprs: 36
; NumVgprs: 16
; ScratchSize: 0
; MemoryBound: 0
; FloatMode: 240
; IeeeMode: 1
; LDSByteSize: 0 bytes/workgroup (compile time only)
; SGPRBlocks: 4
; VGPRBlocks: 1
; NumSGPRsForWavesPerEU: 36
; NumVGPRsForWavesPerEU: 16
; Occupancy: 16
; WaveLimiterHint : 0
; COMPUTE_PGM_RSRC2:SCRATCH_EN: 0
; COMPUTE_PGM_RSRC2:USER_SGPR: 13
; COMPUTE_PGM_RSRC2:TRAP_HANDLER: 0
; COMPUTE_PGM_RSRC2:TGID_X_EN: 1
; COMPUTE_PGM_RSRC2:TGID_Y_EN: 1
; COMPUTE_PGM_RSRC2:TGID_Z_EN: 1
; COMPUTE_PGM_RSRC2:TIDIG_COMP_CNT: 0
	.section	.text._ZN2at6native12_GLOBAL__N_127reflection_pad2d_out_kernelIsEEvPKT_PS3_lliiiiiii,"axG",@progbits,_ZN2at6native12_GLOBAL__N_127reflection_pad2d_out_kernelIsEEvPKT_PS3_lliiiiiii,comdat
	.globl	_ZN2at6native12_GLOBAL__N_127reflection_pad2d_out_kernelIsEEvPKT_PS3_lliiiiiii ; -- Begin function _ZN2at6native12_GLOBAL__N_127reflection_pad2d_out_kernelIsEEvPKT_PS3_lliiiiiii
	.p2align	8
	.type	_ZN2at6native12_GLOBAL__N_127reflection_pad2d_out_kernelIsEEvPKT_PS3_lliiiiiii,@function
_ZN2at6native12_GLOBAL__N_127reflection_pad2d_out_kernelIsEEvPKT_PS3_lliiiiiii: ; @_ZN2at6native12_GLOBAL__N_127reflection_pad2d_out_kernelIsEEvPKT_PS3_lliiiiiii
; %bb.0:
	s_clause 0x2
	s_load_b32 s2, s[0:1], 0x4c
	s_load_b128 s[16:19], s[0:1], 0x20
	s_load_b256 s[4:11], s[0:1], 0x0
	s_waitcnt lgkmcnt(0)
	s_and_b32 s2, s2, 0xffff
	s_ashr_i32 s21, s18, 31
	s_add_u32 s29, s18, s8
	v_mad_u64_u32 v[1:2], null, s13, s2, v[0:1]
	s_addc_u32 s30, s21, s9
	s_ashr_i32 s2, s19, 31
	s_add_u32 s26, s29, s19
	s_addc_u32 s3, s30, s2
	s_ashr_i32 s13, s16, 31
	s_add_u32 s31, s16, s10
	;; [unrolled: 3-line block ×3, first 2 shown]
	s_addc_u32 s27, s33, s2
	s_mul_hi_u32 s2, s26, s28
	s_mul_i32 s12, s26, s27
	v_mov_b32_e32 v2, 0
	s_mul_i32 s17, s3, s28
	s_add_i32 s2, s2, s12
	s_mul_i32 s22, s26, s28
	s_add_i32 s23, s2, s17
	s_mov_b32 s2, exec_lo
	v_cmpx_gt_i64_e64 s[22:23], v[1:2]
	s_cbranch_execz .LBB4_5
; %bb.1:
	s_mov_b32 s20, s18
	s_mov_b32 s12, s16
	s_load_b128 s[16:19], s[0:1], 0x30
	s_mov_b32 s2, 0
	s_delay_alu instid0(SALU_CYCLE_1)
	s_cmp_lg_u64 s[2:3], 0
	s_cbranch_scc0 .LBB4_6
; %bb.2:
	s_ashr_i32 s22, s3, 31
	s_delay_alu instid0(SALU_CYCLE_1) | instskip(SKIP_2) | instid1(SALU_CYCLE_1)
	s_add_u32 s0, s26, s22
	s_mov_b32 s23, s22
	s_addc_u32 s1, s3, s22
	s_xor_b64 s[24:25], s[0:1], s[22:23]
	s_delay_alu instid0(SALU_CYCLE_1) | instskip(SKIP_3) | instid1(VALU_DEP_1)
	v_cvt_f32_u32_e32 v0, s24
	v_cvt_f32_u32_e32 v2, s25
	s_sub_u32 s0, 0, s24
	s_subb_u32 s1, 0, s25
	v_fmamk_f32 v0, v2, 0x4f800000, v0
	s_delay_alu instid0(VALU_DEP_1) | instskip(SKIP_2) | instid1(VALU_DEP_1)
	v_rcp_f32_e32 v0, v0
	s_waitcnt_depctr 0xfff
	v_mul_f32_e32 v0, 0x5f7ffffc, v0
	v_mul_f32_e32 v2, 0x2f800000, v0
	s_delay_alu instid0(VALU_DEP_1) | instskip(NEXT) | instid1(VALU_DEP_1)
	v_trunc_f32_e32 v2, v2
	v_fmamk_f32 v0, v2, 0xcf800000, v0
	v_cvt_u32_f32_e32 v2, v2
	s_delay_alu instid0(VALU_DEP_2) | instskip(NEXT) | instid1(VALU_DEP_2)
	v_cvt_u32_f32_e32 v0, v0
	v_mul_lo_u32 v3, s0, v2
	s_delay_alu instid0(VALU_DEP_2) | instskip(SKIP_1) | instid1(VALU_DEP_2)
	v_mul_hi_u32 v4, s0, v0
	v_mul_lo_u32 v5, s1, v0
	v_add_nc_u32_e32 v3, v4, v3
	v_mul_lo_u32 v4, s0, v0
	s_delay_alu instid0(VALU_DEP_2) | instskip(NEXT) | instid1(VALU_DEP_2)
	v_add_nc_u32_e32 v3, v3, v5
	v_mul_hi_u32 v5, v0, v4
	s_delay_alu instid0(VALU_DEP_2)
	v_mul_lo_u32 v6, v0, v3
	v_mul_hi_u32 v7, v0, v3
	v_mul_hi_u32 v8, v2, v4
	v_mul_lo_u32 v4, v2, v4
	v_mul_hi_u32 v9, v2, v3
	v_mul_lo_u32 v3, v2, v3
	v_add_co_u32 v5, vcc_lo, v5, v6
	v_add_co_ci_u32_e32 v6, vcc_lo, 0, v7, vcc_lo
	s_delay_alu instid0(VALU_DEP_2) | instskip(NEXT) | instid1(VALU_DEP_2)
	v_add_co_u32 v4, vcc_lo, v5, v4
	v_add_co_ci_u32_e32 v4, vcc_lo, v6, v8, vcc_lo
	v_add_co_ci_u32_e32 v5, vcc_lo, 0, v9, vcc_lo
	v_ashrrev_i32_e64 v8, 31, 0
	s_delay_alu instid0(VALU_DEP_3) | instskip(NEXT) | instid1(VALU_DEP_3)
	v_add_co_u32 v3, vcc_lo, v4, v3
	v_add_co_ci_u32_e32 v4, vcc_lo, 0, v5, vcc_lo
	s_delay_alu instid0(VALU_DEP_2) | instskip(NEXT) | instid1(VALU_DEP_2)
	v_add_co_u32 v0, vcc_lo, v0, v3
	v_add_co_ci_u32_e32 v2, vcc_lo, v2, v4, vcc_lo
	s_delay_alu instid0(VALU_DEP_2) | instskip(SKIP_1) | instid1(VALU_DEP_3)
	v_mul_hi_u32 v3, s0, v0
	v_mul_lo_u32 v5, s1, v0
	v_mul_lo_u32 v4, s0, v2
	s_delay_alu instid0(VALU_DEP_1) | instskip(SKIP_1) | instid1(VALU_DEP_2)
	v_add_nc_u32_e32 v3, v3, v4
	v_mul_lo_u32 v4, s0, v0
	v_add_nc_u32_e32 v3, v3, v5
	s_delay_alu instid0(VALU_DEP_2) | instskip(NEXT) | instid1(VALU_DEP_2)
	v_mul_hi_u32 v5, v0, v4
	v_mul_lo_u32 v6, v0, v3
	v_mul_hi_u32 v7, v0, v3
	v_mul_hi_u32 v9, v2, v4
	v_mul_lo_u32 v4, v2, v4
	v_mul_hi_u32 v10, v2, v3
	v_mul_lo_u32 v3, v2, v3
	v_add_co_u32 v5, vcc_lo, v5, v6
	v_add_co_ci_u32_e32 v6, vcc_lo, 0, v7, vcc_lo
	s_delay_alu instid0(VALU_DEP_2) | instskip(NEXT) | instid1(VALU_DEP_2)
	v_add_co_u32 v4, vcc_lo, v5, v4
	v_add_co_ci_u32_e32 v4, vcc_lo, v6, v9, vcc_lo
	v_add_co_ci_u32_e32 v5, vcc_lo, 0, v10, vcc_lo
	v_add_co_u32 v6, vcc_lo, v1, v8
	v_add_co_ci_u32_e32 v7, vcc_lo, 0, v8, vcc_lo
	s_delay_alu instid0(VALU_DEP_4) | instskip(NEXT) | instid1(VALU_DEP_4)
	v_add_co_u32 v3, vcc_lo, v4, v3
	v_add_co_ci_u32_e32 v4, vcc_lo, 0, v5, vcc_lo
	s_delay_alu instid0(VALU_DEP_4) | instskip(NEXT) | instid1(VALU_DEP_3)
	v_xor_b32_e32 v9, v6, v8
	v_add_co_u32 v0, vcc_lo, v0, v3
	s_delay_alu instid0(VALU_DEP_3) | instskip(SKIP_1) | instid1(VALU_DEP_3)
	v_add_co_ci_u32_e32 v10, vcc_lo, v2, v4, vcc_lo
	v_xor_b32_e32 v11, v7, v8
	v_mul_hi_u32 v12, v9, v0
	s_delay_alu instid0(VALU_DEP_3) | instskip(NEXT) | instid1(VALU_DEP_3)
	v_mad_u64_u32 v[2:3], null, v9, v10, 0
	v_mad_u64_u32 v[4:5], null, v11, v0, 0
	v_mad_u64_u32 v[6:7], null, v11, v10, 0
	s_delay_alu instid0(VALU_DEP_3) | instskip(NEXT) | instid1(VALU_DEP_4)
	v_add_co_u32 v0, vcc_lo, v12, v2
	v_add_co_ci_u32_e32 v2, vcc_lo, 0, v3, vcc_lo
	s_delay_alu instid0(VALU_DEP_2) | instskip(NEXT) | instid1(VALU_DEP_2)
	v_add_co_u32 v0, vcc_lo, v0, v4
	v_add_co_ci_u32_e32 v0, vcc_lo, v2, v5, vcc_lo
	v_add_co_ci_u32_e32 v2, vcc_lo, 0, v7, vcc_lo
	s_delay_alu instid0(VALU_DEP_2) | instskip(NEXT) | instid1(VALU_DEP_2)
	v_add_co_u32 v0, vcc_lo, v0, v6
	v_add_co_ci_u32_e32 v4, vcc_lo, 0, v2, vcc_lo
	s_delay_alu instid0(VALU_DEP_2) | instskip(SKIP_1) | instid1(VALU_DEP_3)
	v_mul_lo_u32 v5, s25, v0
	v_mad_u64_u32 v[2:3], null, s24, v0, 0
	v_mul_lo_u32 v6, s24, v4
	s_delay_alu instid0(VALU_DEP_2) | instskip(NEXT) | instid1(VALU_DEP_2)
	v_sub_co_u32 v2, vcc_lo, v9, v2
	v_add3_u32 v3, v3, v6, v5
	s_delay_alu instid0(VALU_DEP_1) | instskip(NEXT) | instid1(VALU_DEP_1)
	v_sub_nc_u32_e32 v5, v11, v3
	v_subrev_co_ci_u32_e64 v5, s0, s25, v5, vcc_lo
	v_add_co_u32 v6, s0, v0, 2
	s_delay_alu instid0(VALU_DEP_1) | instskip(SKIP_3) | instid1(VALU_DEP_3)
	v_add_co_ci_u32_e64 v7, s0, 0, v4, s0
	v_sub_co_u32 v9, s0, v2, s24
	v_sub_co_ci_u32_e32 v3, vcc_lo, v11, v3, vcc_lo
	v_subrev_co_ci_u32_e64 v5, s0, 0, v5, s0
	v_cmp_le_u32_e32 vcc_lo, s24, v9
	s_delay_alu instid0(VALU_DEP_3) | instskip(SKIP_1) | instid1(VALU_DEP_4)
	v_cmp_eq_u32_e64 s0, s25, v3
	v_cndmask_b32_e64 v9, 0, -1, vcc_lo
	v_cmp_le_u32_e32 vcc_lo, s25, v5
	v_cndmask_b32_e64 v10, 0, -1, vcc_lo
	v_cmp_le_u32_e32 vcc_lo, s24, v2
	;; [unrolled: 2-line block ×3, first 2 shown]
	v_cndmask_b32_e64 v11, 0, -1, vcc_lo
	v_cmp_eq_u32_e32 vcc_lo, s25, v5
	s_delay_alu instid0(VALU_DEP_2) | instskip(SKIP_3) | instid1(VALU_DEP_3)
	v_cndmask_b32_e64 v2, v11, v2, s0
	v_cndmask_b32_e32 v5, v10, v9, vcc_lo
	v_add_co_u32 v9, vcc_lo, v0, 1
	v_add_co_ci_u32_e32 v10, vcc_lo, 0, v4, vcc_lo
	v_cmp_ne_u32_e32 vcc_lo, 0, v5
	s_delay_alu instid0(VALU_DEP_3) | instskip(NEXT) | instid1(VALU_DEP_3)
	v_cndmask_b32_e32 v5, v9, v6, vcc_lo
	v_cndmask_b32_e32 v3, v10, v7, vcc_lo
	v_cmp_ne_u32_e32 vcc_lo, 0, v2
	v_xor_b32_e32 v6, s22, v8
	s_delay_alu instid0(VALU_DEP_4) | instskip(NEXT) | instid1(VALU_DEP_4)
	v_cndmask_b32_e32 v0, v0, v5, vcc_lo
	v_cndmask_b32_e32 v2, v4, v3, vcc_lo
	s_delay_alu instid0(VALU_DEP_2) | instskip(NEXT) | instid1(VALU_DEP_2)
	v_xor_b32_e32 v0, v0, v6
	v_xor_b32_e32 v3, v2, v6
	s_delay_alu instid0(VALU_DEP_2) | instskip(NEXT) | instid1(VALU_DEP_2)
	v_sub_co_u32 v2, vcc_lo, v0, v6
	v_sub_co_ci_u32_e32 v3, vcc_lo, v3, v6, vcc_lo
	s_and_not1_b32 vcc_lo, exec_lo, s2
	s_cbranch_vccnz .LBB4_4
.LBB4_3:
	v_cvt_f32_u32_e32 v0, s26
	s_sub_i32 s0, 0, s26
	s_delay_alu instid0(VALU_DEP_1) | instskip(SKIP_2) | instid1(VALU_DEP_1)
	v_rcp_iflag_f32_e32 v0, v0
	s_waitcnt_depctr 0xfff
	v_mul_f32_e32 v0, 0x4f7ffffe, v0
	v_cvt_u32_f32_e32 v0, v0
	s_delay_alu instid0(VALU_DEP_1) | instskip(NEXT) | instid1(VALU_DEP_1)
	v_mul_lo_u32 v2, s0, v0
	v_mul_hi_u32 v2, v0, v2
	s_delay_alu instid0(VALU_DEP_1) | instskip(NEXT) | instid1(VALU_DEP_1)
	v_add_nc_u32_e32 v0, v0, v2
	v_mul_hi_u32 v0, v1, v0
	s_delay_alu instid0(VALU_DEP_1) | instskip(SKIP_1) | instid1(VALU_DEP_2)
	v_mul_lo_u32 v2, v0, s26
	v_add_nc_u32_e32 v3, 1, v0
	v_sub_nc_u32_e32 v2, v1, v2
	s_delay_alu instid0(VALU_DEP_1) | instskip(SKIP_1) | instid1(VALU_DEP_2)
	v_subrev_nc_u32_e32 v4, s26, v2
	v_cmp_le_u32_e32 vcc_lo, s26, v2
	v_cndmask_b32_e32 v2, v2, v4, vcc_lo
	v_cndmask_b32_e32 v0, v0, v3, vcc_lo
	s_delay_alu instid0(VALU_DEP_2) | instskip(NEXT) | instid1(VALU_DEP_2)
	v_cmp_le_u32_e32 vcc_lo, s26, v2
	v_add_nc_u32_e32 v3, 1, v0
	s_delay_alu instid0(VALU_DEP_1)
	v_dual_cndmask_b32 v2, v0, v3 :: v_dual_mov_b32 v3, 0
.LBB4_4:
	s_delay_alu instid0(VALU_DEP_1) | instskip(NEXT) | instid1(VALU_DEP_2)
	v_mul_lo_u32 v0, v3, s26
	v_mul_lo_u32 v6, v2, s3
	v_mad_u64_u32 v[4:5], null, v2, s26, 0
	s_sub_u32 s0, 0, s12
	s_subb_u32 s1, 0, s13
	s_sub_u32 s22, 0, s20
	s_subb_u32 s23, 0, s21
	s_waitcnt lgkmcnt(0)
	s_add_i32 s2, s15, s17
	s_add_i32 s14, s14, s16
	v_add3_u32 v5, v5, v6, v0
	v_sub_co_u32 v0, vcc_lo, v1, v4
	s_mul_i32 s2, s2, s18
	s_delay_alu instid0(VALU_DEP_2) | instskip(NEXT) | instid1(VALU_DEP_2)
	v_sub_co_ci_u32_e32 v1, vcc_lo, 0, v5, vcc_lo
	v_sub_co_u32 v4, vcc_lo, v0, s20
	s_add_i32 s2, s14, s2
	s_delay_alu instid0(VALU_DEP_2) | instskip(SKIP_2) | instid1(VALU_DEP_3)
	v_subrev_co_ci_u32_e32 v5, vcc_lo, s21, v1, vcc_lo
	v_sub_co_u32 v6, vcc_lo, v0, s29
	v_subrev_co_ci_u32_e32 v7, vcc_lo, s30, v1, vcc_lo
	v_ashrrev_i32_e32 v9, 31, v5
	s_delay_alu instid0(VALU_DEP_3) | instskip(NEXT) | instid1(VALU_DEP_3)
	v_add_co_u32 v6, vcc_lo, v6, 1
	v_add_co_ci_u32_e32 v7, vcc_lo, 0, v7, vcc_lo
	v_sub_co_u32 v8, vcc_lo, v2, s31
	v_subrev_co_ci_u32_e32 v10, vcc_lo, s33, v3, vcc_lo
	v_sub_co_u32 v11, vcc_lo, v2, s12
	v_subrev_co_ci_u32_e32 v12, vcc_lo, s13, v3, vcc_lo
	s_mul_i32 s11, s2, s11
	s_mul_hi_u32 s14, s2, s10
	v_add_co_u32 v8, vcc_lo, v8, 1
	s_mul_i32 s15, s2, s10
	v_cmp_gt_i64_e64 s10, s[22:23], 0
	s_add_i32 s14, s14, s11
	v_cmp_gt_i64_e64 s11, s[0:1], 0
	v_add_co_ci_u32_e32 v10, vcc_lo, 0, v10, vcc_lo
	v_xor_b32_e32 v14, v5, v9
	v_ashrrev_i32_e32 v5, 31, v12
	s_and_b32 s10, s10, exec_lo
	v_xor_b32_e32 v15, v4, v9
	v_ashrrev_i32_e32 v4, 31, v10
	s_cselect_b32 s16, s23, 0
	v_cmp_gt_i64_e64 s10, s[20:21], 0
	s_cselect_b32 s17, s22, 0
	s_and_b32 s11, s11, exec_lo
	v_cmp_gt_i64_e64 s11, s[12:13], 0
	v_xor_b32_e32 v11, v11, v5
	v_xor_b32_e32 v12, v12, v5
	;; [unrolled: 1-line block ×3, first 2 shown]
	s_cselect_b32 s18, s1, 0
	s_cselect_b32 s19, s0, 0
	s_and_b32 s0, s10, exec_lo
	v_xor_b32_e32 v10, v10, v4
	v_sub_co_u32 v11, vcc_lo, v11, v5
	s_cselect_b32 s1, s21, 0
	s_cselect_b32 s0, s20, 0
	s_and_b32 s10, s11, exec_lo
	s_cselect_b32 s11, s13, 0
	s_cselect_b32 s10, s12, 0
	v_sub_co_ci_u32_e32 v5, vcc_lo, v12, v5, vcc_lo
	v_sub_co_u32 v8, vcc_lo, v8, v4
	s_not_b64 s[0:1], s[0:1]
	s_not_b64 s[10:11], s[10:11]
	v_sub_co_ci_u32_e32 v4, vcc_lo, v10, v4, vcc_lo
	s_add_u32 s12, s31, s12
	s_addc_u32 s13, s33, s13
	s_add_u32 s10, s12, s10
	s_addc_u32 s11, s13, s11
	v_add_co_u32 v8, vcc_lo, v2, v8
	s_add_u32 s10, s10, s19
	s_addc_u32 s11, s11, s18
	v_add_co_ci_u32_e32 v4, vcc_lo, v3, v4, vcc_lo
	v_ashrrev_i32_e32 v13, 31, v7
	s_add_u32 s10, s10, s15
	s_addc_u32 s11, s11, s14
	v_sub_co_u32 v8, vcc_lo, s10, v8
	v_sub_co_ci_u32_e32 v4, vcc_lo, s11, v4, vcc_lo
	v_xor_b32_e32 v6, v6, v13
	v_xor_b32_e32 v7, v7, v13
	s_delay_alu instid0(VALU_DEP_4) | instskip(NEXT) | instid1(VALU_DEP_4)
	v_add_co_u32 v8, vcc_lo, v8, v11
	v_add_co_ci_u32_e32 v4, vcc_lo, v4, v5, vcc_lo
	s_delay_alu instid0(VALU_DEP_4) | instskip(NEXT) | instid1(VALU_DEP_4)
	v_sub_co_u32 v6, vcc_lo, v6, v13
	v_sub_co_ci_u32_e32 v7, vcc_lo, v7, v13, vcc_lo
	s_delay_alu instid0(VALU_DEP_3)
	v_mul_lo_u32 v10, v4, s8
	v_mad_u64_u32 v[4:5], null, v8, s8, 0
	s_add_u32 s8, s29, s20
	v_mul_lo_u32 v11, v8, s9
	s_addc_u32 s9, s30, s21
	v_add_co_u32 v6, vcc_lo, v0, v6
	s_add_u32 s0, s8, s0
	s_addc_u32 s1, s9, s1
	v_add_co_ci_u32_e32 v7, vcc_lo, v1, v7, vcc_lo
	s_add_u32 s0, s0, s17
	s_addc_u32 s1, s1, s16
	v_sub_co_u32 v6, vcc_lo, s0, v6
	s_delay_alu instid0(VALU_DEP_2) | instskip(SKIP_2) | instid1(VALU_DEP_3)
	v_sub_co_ci_u32_e32 v7, vcc_lo, s1, v7, vcc_lo
	v_sub_co_u32 v8, vcc_lo, v15, v9
	v_sub_co_ci_u32_e32 v9, vcc_lo, v14, v9, vcc_lo
	v_lshlrev_b64 v[6:7], 1, v[6:7]
	v_add3_u32 v5, v5, v11, v10
	v_lshlrev_b64 v[0:1], 1, v[0:1]
	s_delay_alu instid0(VALU_DEP_4) | instskip(NEXT) | instid1(VALU_DEP_4)
	v_lshlrev_b64 v[8:9], 1, v[8:9]
	v_add_co_u32 v6, vcc_lo, s4, v6
	v_add_co_ci_u32_e32 v7, vcc_lo, s5, v7, vcc_lo
	v_lshlrev_b64 v[4:5], 1, v[4:5]
	s_delay_alu instid0(VALU_DEP_3) | instskip(NEXT) | instid1(VALU_DEP_3)
	v_add_co_u32 v6, vcc_lo, v6, v8
	v_add_co_ci_u32_e32 v7, vcc_lo, v7, v9, vcc_lo
	s_delay_alu instid0(VALU_DEP_2) | instskip(NEXT) | instid1(VALU_DEP_2)
	v_add_co_u32 v4, vcc_lo, v6, v4
	v_add_co_ci_u32_e32 v5, vcc_lo, v7, v5, vcc_lo
	global_load_u16 v7, v[4:5], off
	v_mad_u64_u32 v[4:5], null, s28, s2, v[2:3]
	s_delay_alu instid0(VALU_DEP_1) | instskip(NEXT) | instid1(VALU_DEP_1)
	v_mov_b32_e32 v2, v5
	v_mad_u64_u32 v[5:6], null, s27, s2, v[2:3]
	s_delay_alu instid0(VALU_DEP_3) | instskip(SKIP_1) | instid1(VALU_DEP_3)
	v_mul_lo_u32 v6, v4, s3
	v_mad_u64_u32 v[2:3], null, v4, s26, 0
	v_mul_lo_u32 v5, v5, s26
	s_delay_alu instid0(VALU_DEP_1) | instskip(NEXT) | instid1(VALU_DEP_1)
	v_add3_u32 v3, v3, v6, v5
	v_lshlrev_b64 v[2:3], 1, v[2:3]
	s_delay_alu instid0(VALU_DEP_1) | instskip(NEXT) | instid1(VALU_DEP_2)
	v_add_co_u32 v2, vcc_lo, s6, v2
	v_add_co_ci_u32_e32 v3, vcc_lo, s7, v3, vcc_lo
	s_delay_alu instid0(VALU_DEP_2) | instskip(NEXT) | instid1(VALU_DEP_2)
	v_add_co_u32 v0, vcc_lo, v2, v0
	v_add_co_ci_u32_e32 v1, vcc_lo, v3, v1, vcc_lo
	s_waitcnt vmcnt(0)
	global_store_b16 v[0:1], v7, off
.LBB4_5:
	s_nop 0
	s_sendmsg sendmsg(MSG_DEALLOC_VGPRS)
	s_endpgm
.LBB4_6:
                                        ; implicit-def: $vgpr2_vgpr3
	s_branch .LBB4_3
	.section	.rodata,"a",@progbits
	.p2align	6, 0x0
	.amdhsa_kernel _ZN2at6native12_GLOBAL__N_127reflection_pad2d_out_kernelIsEEvPKT_PS3_lliiiiiii
		.amdhsa_group_segment_fixed_size 0
		.amdhsa_private_segment_fixed_size 0
		.amdhsa_kernarg_size 320
		.amdhsa_user_sgpr_count 13
		.amdhsa_user_sgpr_dispatch_ptr 0
		.amdhsa_user_sgpr_queue_ptr 0
		.amdhsa_user_sgpr_kernarg_segment_ptr 1
		.amdhsa_user_sgpr_dispatch_id 0
		.amdhsa_user_sgpr_private_segment_size 0
		.amdhsa_wavefront_size32 1
		.amdhsa_uses_dynamic_stack 0
		.amdhsa_enable_private_segment 0
		.amdhsa_system_sgpr_workgroup_id_x 1
		.amdhsa_system_sgpr_workgroup_id_y 1
		.amdhsa_system_sgpr_workgroup_id_z 1
		.amdhsa_system_sgpr_workgroup_info 0
		.amdhsa_system_vgpr_workitem_id 0
		.amdhsa_next_free_vgpr 16
		.amdhsa_next_free_sgpr 34
		.amdhsa_reserve_vcc 1
		.amdhsa_float_round_mode_32 0
		.amdhsa_float_round_mode_16_64 0
		.amdhsa_float_denorm_mode_32 3
		.amdhsa_float_denorm_mode_16_64 3
		.amdhsa_dx10_clamp 1
		.amdhsa_ieee_mode 1
		.amdhsa_fp16_overflow 0
		.amdhsa_workgroup_processor_mode 1
		.amdhsa_memory_ordered 1
		.amdhsa_forward_progress 0
		.amdhsa_shared_vgpr_count 0
		.amdhsa_exception_fp_ieee_invalid_op 0
		.amdhsa_exception_fp_denorm_src 0
		.amdhsa_exception_fp_ieee_div_zero 0
		.amdhsa_exception_fp_ieee_overflow 0
		.amdhsa_exception_fp_ieee_underflow 0
		.amdhsa_exception_fp_ieee_inexact 0
		.amdhsa_exception_int_div_zero 0
	.end_amdhsa_kernel
	.section	.text._ZN2at6native12_GLOBAL__N_127reflection_pad2d_out_kernelIsEEvPKT_PS3_lliiiiiii,"axG",@progbits,_ZN2at6native12_GLOBAL__N_127reflection_pad2d_out_kernelIsEEvPKT_PS3_lliiiiiii,comdat
.Lfunc_end4:
	.size	_ZN2at6native12_GLOBAL__N_127reflection_pad2d_out_kernelIsEEvPKT_PS3_lliiiiiii, .Lfunc_end4-_ZN2at6native12_GLOBAL__N_127reflection_pad2d_out_kernelIsEEvPKT_PS3_lliiiiiii
                                        ; -- End function
	.section	.AMDGPU.csdata,"",@progbits
; Kernel info:
; codeLenInByte = 1896
; NumSgprs: 36
; NumVgprs: 16
; ScratchSize: 0
; MemoryBound: 0
; FloatMode: 240
; IeeeMode: 1
; LDSByteSize: 0 bytes/workgroup (compile time only)
; SGPRBlocks: 4
; VGPRBlocks: 1
; NumSGPRsForWavesPerEU: 36
; NumVGPRsForWavesPerEU: 16
; Occupancy: 16
; WaveLimiterHint : 0
; COMPUTE_PGM_RSRC2:SCRATCH_EN: 0
; COMPUTE_PGM_RSRC2:USER_SGPR: 13
; COMPUTE_PGM_RSRC2:TRAP_HANDLER: 0
; COMPUTE_PGM_RSRC2:TGID_X_EN: 1
; COMPUTE_PGM_RSRC2:TGID_Y_EN: 1
; COMPUTE_PGM_RSRC2:TGID_Z_EN: 1
; COMPUTE_PGM_RSRC2:TIDIG_COMP_CNT: 0
	.section	.text._ZN2at6native12_GLOBAL__N_127reflection_pad2d_out_kernelIdEEvPKT_PS3_lliiiiiii,"axG",@progbits,_ZN2at6native12_GLOBAL__N_127reflection_pad2d_out_kernelIdEEvPKT_PS3_lliiiiiii,comdat
	.globl	_ZN2at6native12_GLOBAL__N_127reflection_pad2d_out_kernelIdEEvPKT_PS3_lliiiiiii ; -- Begin function _ZN2at6native12_GLOBAL__N_127reflection_pad2d_out_kernelIdEEvPKT_PS3_lliiiiiii
	.p2align	8
	.type	_ZN2at6native12_GLOBAL__N_127reflection_pad2d_out_kernelIdEEvPKT_PS3_lliiiiiii,@function
_ZN2at6native12_GLOBAL__N_127reflection_pad2d_out_kernelIdEEvPKT_PS3_lliiiiiii: ; @_ZN2at6native12_GLOBAL__N_127reflection_pad2d_out_kernelIdEEvPKT_PS3_lliiiiiii
; %bb.0:
	s_clause 0x2
	s_load_b32 s2, s[0:1], 0x4c
	s_load_b128 s[16:19], s[0:1], 0x20
	s_load_b256 s[4:11], s[0:1], 0x0
	s_waitcnt lgkmcnt(0)
	s_and_b32 s2, s2, 0xffff
	s_ashr_i32 s21, s18, 31
	s_add_u32 s29, s18, s8
	v_mad_u64_u32 v[1:2], null, s13, s2, v[0:1]
	s_addc_u32 s30, s21, s9
	s_ashr_i32 s2, s19, 31
	s_add_u32 s26, s29, s19
	s_addc_u32 s3, s30, s2
	s_ashr_i32 s13, s16, 31
	s_add_u32 s31, s16, s10
	;; [unrolled: 3-line block ×3, first 2 shown]
	s_addc_u32 s27, s33, s2
	s_mul_hi_u32 s2, s26, s28
	s_mul_i32 s12, s26, s27
	v_mov_b32_e32 v2, 0
	s_mul_i32 s17, s3, s28
	s_add_i32 s2, s2, s12
	s_mul_i32 s22, s26, s28
	s_add_i32 s23, s2, s17
	s_mov_b32 s2, exec_lo
	v_cmpx_gt_i64_e64 s[22:23], v[1:2]
	s_cbranch_execz .LBB5_5
; %bb.1:
	s_mov_b32 s20, s18
	s_mov_b32 s12, s16
	s_load_b128 s[16:19], s[0:1], 0x30
	s_mov_b32 s2, 0
	s_delay_alu instid0(SALU_CYCLE_1)
	s_cmp_lg_u64 s[2:3], 0
	s_cbranch_scc0 .LBB5_6
; %bb.2:
	s_ashr_i32 s22, s3, 31
	s_delay_alu instid0(SALU_CYCLE_1) | instskip(SKIP_2) | instid1(SALU_CYCLE_1)
	s_add_u32 s0, s26, s22
	s_mov_b32 s23, s22
	s_addc_u32 s1, s3, s22
	s_xor_b64 s[24:25], s[0:1], s[22:23]
	s_delay_alu instid0(SALU_CYCLE_1) | instskip(SKIP_3) | instid1(VALU_DEP_1)
	v_cvt_f32_u32_e32 v0, s24
	v_cvt_f32_u32_e32 v2, s25
	s_sub_u32 s0, 0, s24
	s_subb_u32 s1, 0, s25
	v_fmamk_f32 v0, v2, 0x4f800000, v0
	s_delay_alu instid0(VALU_DEP_1) | instskip(SKIP_2) | instid1(VALU_DEP_1)
	v_rcp_f32_e32 v0, v0
	s_waitcnt_depctr 0xfff
	v_mul_f32_e32 v0, 0x5f7ffffc, v0
	v_mul_f32_e32 v2, 0x2f800000, v0
	s_delay_alu instid0(VALU_DEP_1) | instskip(NEXT) | instid1(VALU_DEP_1)
	v_trunc_f32_e32 v2, v2
	v_fmamk_f32 v0, v2, 0xcf800000, v0
	v_cvt_u32_f32_e32 v2, v2
	s_delay_alu instid0(VALU_DEP_2) | instskip(NEXT) | instid1(VALU_DEP_2)
	v_cvt_u32_f32_e32 v0, v0
	v_mul_lo_u32 v3, s0, v2
	s_delay_alu instid0(VALU_DEP_2) | instskip(SKIP_1) | instid1(VALU_DEP_2)
	v_mul_hi_u32 v4, s0, v0
	v_mul_lo_u32 v5, s1, v0
	v_add_nc_u32_e32 v3, v4, v3
	v_mul_lo_u32 v4, s0, v0
	s_delay_alu instid0(VALU_DEP_2) | instskip(NEXT) | instid1(VALU_DEP_2)
	v_add_nc_u32_e32 v3, v3, v5
	v_mul_hi_u32 v5, v0, v4
	s_delay_alu instid0(VALU_DEP_2)
	v_mul_lo_u32 v6, v0, v3
	v_mul_hi_u32 v7, v0, v3
	v_mul_hi_u32 v8, v2, v4
	v_mul_lo_u32 v4, v2, v4
	v_mul_hi_u32 v9, v2, v3
	v_mul_lo_u32 v3, v2, v3
	v_add_co_u32 v5, vcc_lo, v5, v6
	v_add_co_ci_u32_e32 v6, vcc_lo, 0, v7, vcc_lo
	s_delay_alu instid0(VALU_DEP_2) | instskip(NEXT) | instid1(VALU_DEP_2)
	v_add_co_u32 v4, vcc_lo, v5, v4
	v_add_co_ci_u32_e32 v4, vcc_lo, v6, v8, vcc_lo
	v_add_co_ci_u32_e32 v5, vcc_lo, 0, v9, vcc_lo
	v_ashrrev_i32_e64 v8, 31, 0
	s_delay_alu instid0(VALU_DEP_3) | instskip(NEXT) | instid1(VALU_DEP_3)
	v_add_co_u32 v3, vcc_lo, v4, v3
	v_add_co_ci_u32_e32 v4, vcc_lo, 0, v5, vcc_lo
	s_delay_alu instid0(VALU_DEP_2) | instskip(NEXT) | instid1(VALU_DEP_2)
	v_add_co_u32 v0, vcc_lo, v0, v3
	v_add_co_ci_u32_e32 v2, vcc_lo, v2, v4, vcc_lo
	s_delay_alu instid0(VALU_DEP_2) | instskip(SKIP_1) | instid1(VALU_DEP_3)
	v_mul_hi_u32 v3, s0, v0
	v_mul_lo_u32 v5, s1, v0
	v_mul_lo_u32 v4, s0, v2
	s_delay_alu instid0(VALU_DEP_1) | instskip(SKIP_1) | instid1(VALU_DEP_2)
	v_add_nc_u32_e32 v3, v3, v4
	v_mul_lo_u32 v4, s0, v0
	v_add_nc_u32_e32 v3, v3, v5
	s_delay_alu instid0(VALU_DEP_2) | instskip(NEXT) | instid1(VALU_DEP_2)
	v_mul_hi_u32 v5, v0, v4
	v_mul_lo_u32 v6, v0, v3
	v_mul_hi_u32 v7, v0, v3
	v_mul_hi_u32 v9, v2, v4
	v_mul_lo_u32 v4, v2, v4
	v_mul_hi_u32 v10, v2, v3
	v_mul_lo_u32 v3, v2, v3
	v_add_co_u32 v5, vcc_lo, v5, v6
	v_add_co_ci_u32_e32 v6, vcc_lo, 0, v7, vcc_lo
	s_delay_alu instid0(VALU_DEP_2) | instskip(NEXT) | instid1(VALU_DEP_2)
	v_add_co_u32 v4, vcc_lo, v5, v4
	v_add_co_ci_u32_e32 v4, vcc_lo, v6, v9, vcc_lo
	v_add_co_ci_u32_e32 v5, vcc_lo, 0, v10, vcc_lo
	v_add_co_u32 v6, vcc_lo, v1, v8
	v_add_co_ci_u32_e32 v7, vcc_lo, 0, v8, vcc_lo
	s_delay_alu instid0(VALU_DEP_4) | instskip(NEXT) | instid1(VALU_DEP_4)
	v_add_co_u32 v3, vcc_lo, v4, v3
	v_add_co_ci_u32_e32 v4, vcc_lo, 0, v5, vcc_lo
	s_delay_alu instid0(VALU_DEP_4) | instskip(NEXT) | instid1(VALU_DEP_3)
	v_xor_b32_e32 v9, v6, v8
	v_add_co_u32 v0, vcc_lo, v0, v3
	s_delay_alu instid0(VALU_DEP_3) | instskip(SKIP_1) | instid1(VALU_DEP_3)
	v_add_co_ci_u32_e32 v10, vcc_lo, v2, v4, vcc_lo
	v_xor_b32_e32 v11, v7, v8
	v_mul_hi_u32 v12, v9, v0
	s_delay_alu instid0(VALU_DEP_3) | instskip(NEXT) | instid1(VALU_DEP_3)
	v_mad_u64_u32 v[2:3], null, v9, v10, 0
	v_mad_u64_u32 v[4:5], null, v11, v0, 0
	v_mad_u64_u32 v[6:7], null, v11, v10, 0
	s_delay_alu instid0(VALU_DEP_3) | instskip(NEXT) | instid1(VALU_DEP_4)
	v_add_co_u32 v0, vcc_lo, v12, v2
	v_add_co_ci_u32_e32 v2, vcc_lo, 0, v3, vcc_lo
	s_delay_alu instid0(VALU_DEP_2) | instskip(NEXT) | instid1(VALU_DEP_2)
	v_add_co_u32 v0, vcc_lo, v0, v4
	v_add_co_ci_u32_e32 v0, vcc_lo, v2, v5, vcc_lo
	v_add_co_ci_u32_e32 v2, vcc_lo, 0, v7, vcc_lo
	s_delay_alu instid0(VALU_DEP_2) | instskip(NEXT) | instid1(VALU_DEP_2)
	v_add_co_u32 v0, vcc_lo, v0, v6
	v_add_co_ci_u32_e32 v4, vcc_lo, 0, v2, vcc_lo
	s_delay_alu instid0(VALU_DEP_2) | instskip(SKIP_1) | instid1(VALU_DEP_3)
	v_mul_lo_u32 v5, s25, v0
	v_mad_u64_u32 v[2:3], null, s24, v0, 0
	v_mul_lo_u32 v6, s24, v4
	s_delay_alu instid0(VALU_DEP_2) | instskip(NEXT) | instid1(VALU_DEP_2)
	v_sub_co_u32 v2, vcc_lo, v9, v2
	v_add3_u32 v3, v3, v6, v5
	s_delay_alu instid0(VALU_DEP_1) | instskip(NEXT) | instid1(VALU_DEP_1)
	v_sub_nc_u32_e32 v5, v11, v3
	v_subrev_co_ci_u32_e64 v5, s0, s25, v5, vcc_lo
	v_add_co_u32 v6, s0, v0, 2
	s_delay_alu instid0(VALU_DEP_1) | instskip(SKIP_3) | instid1(VALU_DEP_3)
	v_add_co_ci_u32_e64 v7, s0, 0, v4, s0
	v_sub_co_u32 v9, s0, v2, s24
	v_sub_co_ci_u32_e32 v3, vcc_lo, v11, v3, vcc_lo
	v_subrev_co_ci_u32_e64 v5, s0, 0, v5, s0
	v_cmp_le_u32_e32 vcc_lo, s24, v9
	s_delay_alu instid0(VALU_DEP_3) | instskip(SKIP_1) | instid1(VALU_DEP_4)
	v_cmp_eq_u32_e64 s0, s25, v3
	v_cndmask_b32_e64 v9, 0, -1, vcc_lo
	v_cmp_le_u32_e32 vcc_lo, s25, v5
	v_cndmask_b32_e64 v10, 0, -1, vcc_lo
	v_cmp_le_u32_e32 vcc_lo, s24, v2
	;; [unrolled: 2-line block ×3, first 2 shown]
	v_cndmask_b32_e64 v11, 0, -1, vcc_lo
	v_cmp_eq_u32_e32 vcc_lo, s25, v5
	s_delay_alu instid0(VALU_DEP_2) | instskip(SKIP_3) | instid1(VALU_DEP_3)
	v_cndmask_b32_e64 v2, v11, v2, s0
	v_cndmask_b32_e32 v5, v10, v9, vcc_lo
	v_add_co_u32 v9, vcc_lo, v0, 1
	v_add_co_ci_u32_e32 v10, vcc_lo, 0, v4, vcc_lo
	v_cmp_ne_u32_e32 vcc_lo, 0, v5
	s_delay_alu instid0(VALU_DEP_3) | instskip(NEXT) | instid1(VALU_DEP_3)
	v_cndmask_b32_e32 v5, v9, v6, vcc_lo
	v_cndmask_b32_e32 v3, v10, v7, vcc_lo
	v_cmp_ne_u32_e32 vcc_lo, 0, v2
	v_xor_b32_e32 v6, s22, v8
	s_delay_alu instid0(VALU_DEP_4) | instskip(NEXT) | instid1(VALU_DEP_4)
	v_cndmask_b32_e32 v0, v0, v5, vcc_lo
	v_cndmask_b32_e32 v2, v4, v3, vcc_lo
	s_delay_alu instid0(VALU_DEP_2) | instskip(NEXT) | instid1(VALU_DEP_2)
	v_xor_b32_e32 v0, v0, v6
	v_xor_b32_e32 v3, v2, v6
	s_delay_alu instid0(VALU_DEP_2) | instskip(NEXT) | instid1(VALU_DEP_2)
	v_sub_co_u32 v2, vcc_lo, v0, v6
	v_sub_co_ci_u32_e32 v3, vcc_lo, v3, v6, vcc_lo
	s_and_not1_b32 vcc_lo, exec_lo, s2
	s_cbranch_vccnz .LBB5_4
.LBB5_3:
	v_cvt_f32_u32_e32 v0, s26
	s_sub_i32 s0, 0, s26
	s_delay_alu instid0(VALU_DEP_1) | instskip(SKIP_2) | instid1(VALU_DEP_1)
	v_rcp_iflag_f32_e32 v0, v0
	s_waitcnt_depctr 0xfff
	v_mul_f32_e32 v0, 0x4f7ffffe, v0
	v_cvt_u32_f32_e32 v0, v0
	s_delay_alu instid0(VALU_DEP_1) | instskip(NEXT) | instid1(VALU_DEP_1)
	v_mul_lo_u32 v2, s0, v0
	v_mul_hi_u32 v2, v0, v2
	s_delay_alu instid0(VALU_DEP_1) | instskip(NEXT) | instid1(VALU_DEP_1)
	v_add_nc_u32_e32 v0, v0, v2
	v_mul_hi_u32 v0, v1, v0
	s_delay_alu instid0(VALU_DEP_1) | instskip(SKIP_1) | instid1(VALU_DEP_2)
	v_mul_lo_u32 v2, v0, s26
	v_add_nc_u32_e32 v3, 1, v0
	v_sub_nc_u32_e32 v2, v1, v2
	s_delay_alu instid0(VALU_DEP_1) | instskip(SKIP_1) | instid1(VALU_DEP_2)
	v_subrev_nc_u32_e32 v4, s26, v2
	v_cmp_le_u32_e32 vcc_lo, s26, v2
	v_cndmask_b32_e32 v2, v2, v4, vcc_lo
	v_cndmask_b32_e32 v0, v0, v3, vcc_lo
	s_delay_alu instid0(VALU_DEP_2) | instskip(NEXT) | instid1(VALU_DEP_2)
	v_cmp_le_u32_e32 vcc_lo, s26, v2
	v_add_nc_u32_e32 v3, 1, v0
	s_delay_alu instid0(VALU_DEP_1)
	v_dual_cndmask_b32 v2, v0, v3 :: v_dual_mov_b32 v3, 0
.LBB5_4:
	s_delay_alu instid0(VALU_DEP_1) | instskip(NEXT) | instid1(VALU_DEP_2)
	v_mul_lo_u32 v0, v3, s26
	v_mul_lo_u32 v6, v2, s3
	v_mad_u64_u32 v[4:5], null, v2, s26, 0
	s_sub_u32 s0, 0, s12
	s_subb_u32 s1, 0, s13
	s_sub_u32 s22, 0, s20
	s_subb_u32 s23, 0, s21
	s_waitcnt lgkmcnt(0)
	s_add_i32 s2, s15, s17
	s_add_i32 s14, s14, s16
	v_add3_u32 v5, v5, v6, v0
	v_sub_co_u32 v0, vcc_lo, v1, v4
	s_mul_i32 s2, s2, s18
	s_delay_alu instid0(VALU_DEP_2) | instskip(NEXT) | instid1(VALU_DEP_2)
	v_sub_co_ci_u32_e32 v1, vcc_lo, 0, v5, vcc_lo
	v_sub_co_u32 v4, vcc_lo, v0, s20
	s_add_i32 s2, s14, s2
	s_delay_alu instid0(VALU_DEP_2) | instskip(SKIP_2) | instid1(VALU_DEP_3)
	v_subrev_co_ci_u32_e32 v5, vcc_lo, s21, v1, vcc_lo
	v_sub_co_u32 v6, vcc_lo, v0, s29
	v_subrev_co_ci_u32_e32 v7, vcc_lo, s30, v1, vcc_lo
	v_ashrrev_i32_e32 v9, 31, v5
	s_delay_alu instid0(VALU_DEP_3) | instskip(NEXT) | instid1(VALU_DEP_3)
	v_add_co_u32 v6, vcc_lo, v6, 1
	v_add_co_ci_u32_e32 v7, vcc_lo, 0, v7, vcc_lo
	v_sub_co_u32 v8, vcc_lo, v2, s31
	v_subrev_co_ci_u32_e32 v10, vcc_lo, s33, v3, vcc_lo
	v_sub_co_u32 v11, vcc_lo, v2, s12
	v_subrev_co_ci_u32_e32 v12, vcc_lo, s13, v3, vcc_lo
	s_mul_i32 s11, s2, s11
	s_mul_hi_u32 s14, s2, s10
	v_add_co_u32 v8, vcc_lo, v8, 1
	s_mul_i32 s15, s2, s10
	v_cmp_gt_i64_e64 s10, s[22:23], 0
	s_add_i32 s14, s14, s11
	v_cmp_gt_i64_e64 s11, s[0:1], 0
	v_add_co_ci_u32_e32 v10, vcc_lo, 0, v10, vcc_lo
	v_xor_b32_e32 v14, v5, v9
	v_ashrrev_i32_e32 v5, 31, v12
	s_and_b32 s10, s10, exec_lo
	v_xor_b32_e32 v15, v4, v9
	v_ashrrev_i32_e32 v4, 31, v10
	s_cselect_b32 s16, s23, 0
	v_cmp_gt_i64_e64 s10, s[20:21], 0
	s_cselect_b32 s17, s22, 0
	s_and_b32 s11, s11, exec_lo
	v_cmp_gt_i64_e64 s11, s[12:13], 0
	v_xor_b32_e32 v11, v11, v5
	v_xor_b32_e32 v12, v12, v5
	;; [unrolled: 1-line block ×3, first 2 shown]
	s_cselect_b32 s18, s1, 0
	s_cselect_b32 s19, s0, 0
	s_and_b32 s0, s10, exec_lo
	v_xor_b32_e32 v10, v10, v4
	v_sub_co_u32 v11, vcc_lo, v11, v5
	s_cselect_b32 s1, s21, 0
	s_cselect_b32 s0, s20, 0
	s_and_b32 s10, s11, exec_lo
	s_cselect_b32 s11, s13, 0
	s_cselect_b32 s10, s12, 0
	v_sub_co_ci_u32_e32 v5, vcc_lo, v12, v5, vcc_lo
	v_sub_co_u32 v8, vcc_lo, v8, v4
	s_not_b64 s[0:1], s[0:1]
	s_not_b64 s[10:11], s[10:11]
	v_sub_co_ci_u32_e32 v4, vcc_lo, v10, v4, vcc_lo
	s_add_u32 s12, s31, s12
	s_addc_u32 s13, s33, s13
	s_add_u32 s10, s12, s10
	s_addc_u32 s11, s13, s11
	v_add_co_u32 v8, vcc_lo, v2, v8
	s_add_u32 s10, s10, s19
	s_addc_u32 s11, s11, s18
	v_add_co_ci_u32_e32 v4, vcc_lo, v3, v4, vcc_lo
	v_ashrrev_i32_e32 v13, 31, v7
	s_add_u32 s10, s10, s15
	s_addc_u32 s11, s11, s14
	v_sub_co_u32 v8, vcc_lo, s10, v8
	v_sub_co_ci_u32_e32 v4, vcc_lo, s11, v4, vcc_lo
	v_xor_b32_e32 v6, v6, v13
	v_xor_b32_e32 v7, v7, v13
	s_delay_alu instid0(VALU_DEP_4) | instskip(NEXT) | instid1(VALU_DEP_4)
	v_add_co_u32 v8, vcc_lo, v8, v11
	v_add_co_ci_u32_e32 v4, vcc_lo, v4, v5, vcc_lo
	s_delay_alu instid0(VALU_DEP_4) | instskip(NEXT) | instid1(VALU_DEP_4)
	v_sub_co_u32 v6, vcc_lo, v6, v13
	v_sub_co_ci_u32_e32 v7, vcc_lo, v7, v13, vcc_lo
	s_delay_alu instid0(VALU_DEP_3)
	v_mul_lo_u32 v10, v4, s8
	v_mad_u64_u32 v[4:5], null, v8, s8, 0
	s_add_u32 s8, s29, s20
	v_mul_lo_u32 v11, v8, s9
	s_addc_u32 s9, s30, s21
	v_add_co_u32 v6, vcc_lo, v0, v6
	s_add_u32 s0, s8, s0
	s_addc_u32 s1, s9, s1
	v_add_co_ci_u32_e32 v7, vcc_lo, v1, v7, vcc_lo
	s_add_u32 s0, s0, s17
	s_addc_u32 s1, s1, s16
	v_sub_co_u32 v6, vcc_lo, s0, v6
	s_delay_alu instid0(VALU_DEP_2) | instskip(SKIP_2) | instid1(VALU_DEP_3)
	v_sub_co_ci_u32_e32 v7, vcc_lo, s1, v7, vcc_lo
	v_sub_co_u32 v8, vcc_lo, v15, v9
	v_sub_co_ci_u32_e32 v9, vcc_lo, v14, v9, vcc_lo
	v_lshlrev_b64 v[6:7], 3, v[6:7]
	v_add3_u32 v5, v5, v11, v10
	v_lshlrev_b64 v[0:1], 3, v[0:1]
	s_delay_alu instid0(VALU_DEP_4) | instskip(NEXT) | instid1(VALU_DEP_4)
	v_lshlrev_b64 v[8:9], 3, v[8:9]
	v_add_co_u32 v6, vcc_lo, s4, v6
	v_add_co_ci_u32_e32 v7, vcc_lo, s5, v7, vcc_lo
	v_lshlrev_b64 v[4:5], 3, v[4:5]
	s_delay_alu instid0(VALU_DEP_3) | instskip(NEXT) | instid1(VALU_DEP_3)
	v_add_co_u32 v6, vcc_lo, v6, v8
	v_add_co_ci_u32_e32 v7, vcc_lo, v7, v9, vcc_lo
	s_delay_alu instid0(VALU_DEP_2) | instskip(NEXT) | instid1(VALU_DEP_2)
	v_add_co_u32 v4, vcc_lo, v6, v4
	v_add_co_ci_u32_e32 v5, vcc_lo, v7, v5, vcc_lo
	v_mad_u64_u32 v[6:7], null, s28, s2, v[2:3]
	global_load_b64 v[4:5], v[4:5], off
	v_mov_b32_e32 v2, v7
	s_delay_alu instid0(VALU_DEP_1) | instskip(SKIP_2) | instid1(VALU_DEP_3)
	v_mad_u64_u32 v[7:8], null, s27, s2, v[2:3]
	v_mul_lo_u32 v8, v6, s3
	v_mad_u64_u32 v[2:3], null, v6, s26, 0
	v_mul_lo_u32 v7, v7, s26
	s_delay_alu instid0(VALU_DEP_1) | instskip(NEXT) | instid1(VALU_DEP_1)
	v_add3_u32 v3, v3, v8, v7
	v_lshlrev_b64 v[2:3], 3, v[2:3]
	s_delay_alu instid0(VALU_DEP_1) | instskip(NEXT) | instid1(VALU_DEP_2)
	v_add_co_u32 v2, vcc_lo, s6, v2
	v_add_co_ci_u32_e32 v3, vcc_lo, s7, v3, vcc_lo
	s_delay_alu instid0(VALU_DEP_2) | instskip(NEXT) | instid1(VALU_DEP_2)
	v_add_co_u32 v0, vcc_lo, v2, v0
	v_add_co_ci_u32_e32 v1, vcc_lo, v3, v1, vcc_lo
	s_waitcnt vmcnt(0)
	global_store_b64 v[0:1], v[4:5], off
.LBB5_5:
	s_nop 0
	s_sendmsg sendmsg(MSG_DEALLOC_VGPRS)
	s_endpgm
.LBB5_6:
                                        ; implicit-def: $vgpr2_vgpr3
	s_branch .LBB5_3
	.section	.rodata,"a",@progbits
	.p2align	6, 0x0
	.amdhsa_kernel _ZN2at6native12_GLOBAL__N_127reflection_pad2d_out_kernelIdEEvPKT_PS3_lliiiiiii
		.amdhsa_group_segment_fixed_size 0
		.amdhsa_private_segment_fixed_size 0
		.amdhsa_kernarg_size 320
		.amdhsa_user_sgpr_count 13
		.amdhsa_user_sgpr_dispatch_ptr 0
		.amdhsa_user_sgpr_queue_ptr 0
		.amdhsa_user_sgpr_kernarg_segment_ptr 1
		.amdhsa_user_sgpr_dispatch_id 0
		.amdhsa_user_sgpr_private_segment_size 0
		.amdhsa_wavefront_size32 1
		.amdhsa_uses_dynamic_stack 0
		.amdhsa_enable_private_segment 0
		.amdhsa_system_sgpr_workgroup_id_x 1
		.amdhsa_system_sgpr_workgroup_id_y 1
		.amdhsa_system_sgpr_workgroup_id_z 1
		.amdhsa_system_sgpr_workgroup_info 0
		.amdhsa_system_vgpr_workitem_id 0
		.amdhsa_next_free_vgpr 16
		.amdhsa_next_free_sgpr 34
		.amdhsa_reserve_vcc 1
		.amdhsa_float_round_mode_32 0
		.amdhsa_float_round_mode_16_64 0
		.amdhsa_float_denorm_mode_32 3
		.amdhsa_float_denorm_mode_16_64 3
		.amdhsa_dx10_clamp 1
		.amdhsa_ieee_mode 1
		.amdhsa_fp16_overflow 0
		.amdhsa_workgroup_processor_mode 1
		.amdhsa_memory_ordered 1
		.amdhsa_forward_progress 0
		.amdhsa_shared_vgpr_count 0
		.amdhsa_exception_fp_ieee_invalid_op 0
		.amdhsa_exception_fp_denorm_src 0
		.amdhsa_exception_fp_ieee_div_zero 0
		.amdhsa_exception_fp_ieee_overflow 0
		.amdhsa_exception_fp_ieee_underflow 0
		.amdhsa_exception_fp_ieee_inexact 0
		.amdhsa_exception_int_div_zero 0
	.end_amdhsa_kernel
	.section	.text._ZN2at6native12_GLOBAL__N_127reflection_pad2d_out_kernelIdEEvPKT_PS3_lliiiiiii,"axG",@progbits,_ZN2at6native12_GLOBAL__N_127reflection_pad2d_out_kernelIdEEvPKT_PS3_lliiiiiii,comdat
.Lfunc_end5:
	.size	_ZN2at6native12_GLOBAL__N_127reflection_pad2d_out_kernelIdEEvPKT_PS3_lliiiiiii, .Lfunc_end5-_ZN2at6native12_GLOBAL__N_127reflection_pad2d_out_kernelIdEEvPKT_PS3_lliiiiiii
                                        ; -- End function
	.section	.AMDGPU.csdata,"",@progbits
; Kernel info:
; codeLenInByte = 1892
; NumSgprs: 36
; NumVgprs: 16
; ScratchSize: 0
; MemoryBound: 0
; FloatMode: 240
; IeeeMode: 1
; LDSByteSize: 0 bytes/workgroup (compile time only)
; SGPRBlocks: 4
; VGPRBlocks: 1
; NumSGPRsForWavesPerEU: 36
; NumVGPRsForWavesPerEU: 16
; Occupancy: 16
; WaveLimiterHint : 0
; COMPUTE_PGM_RSRC2:SCRATCH_EN: 0
; COMPUTE_PGM_RSRC2:USER_SGPR: 13
; COMPUTE_PGM_RSRC2:TRAP_HANDLER: 0
; COMPUTE_PGM_RSRC2:TGID_X_EN: 1
; COMPUTE_PGM_RSRC2:TGID_Y_EN: 1
; COMPUTE_PGM_RSRC2:TGID_Z_EN: 1
; COMPUTE_PGM_RSRC2:TIDIG_COMP_CNT: 0
	.section	.text._ZN2at6native12_GLOBAL__N_127reflection_pad2d_out_kernelIfEEvPKT_PS3_lliiiiiii,"axG",@progbits,_ZN2at6native12_GLOBAL__N_127reflection_pad2d_out_kernelIfEEvPKT_PS3_lliiiiiii,comdat
	.globl	_ZN2at6native12_GLOBAL__N_127reflection_pad2d_out_kernelIfEEvPKT_PS3_lliiiiiii ; -- Begin function _ZN2at6native12_GLOBAL__N_127reflection_pad2d_out_kernelIfEEvPKT_PS3_lliiiiiii
	.p2align	8
	.type	_ZN2at6native12_GLOBAL__N_127reflection_pad2d_out_kernelIfEEvPKT_PS3_lliiiiiii,@function
_ZN2at6native12_GLOBAL__N_127reflection_pad2d_out_kernelIfEEvPKT_PS3_lliiiiiii: ; @_ZN2at6native12_GLOBAL__N_127reflection_pad2d_out_kernelIfEEvPKT_PS3_lliiiiiii
; %bb.0:
	s_clause 0x2
	s_load_b32 s2, s[0:1], 0x4c
	s_load_b128 s[16:19], s[0:1], 0x20
	s_load_b256 s[4:11], s[0:1], 0x0
	s_waitcnt lgkmcnt(0)
	s_and_b32 s2, s2, 0xffff
	s_ashr_i32 s21, s18, 31
	s_add_u32 s29, s18, s8
	v_mad_u64_u32 v[1:2], null, s13, s2, v[0:1]
	s_addc_u32 s30, s21, s9
	s_ashr_i32 s2, s19, 31
	s_add_u32 s26, s29, s19
	s_addc_u32 s3, s30, s2
	s_ashr_i32 s13, s16, 31
	s_add_u32 s31, s16, s10
	;; [unrolled: 3-line block ×3, first 2 shown]
	s_addc_u32 s27, s33, s2
	s_mul_hi_u32 s2, s26, s28
	s_mul_i32 s12, s26, s27
	v_mov_b32_e32 v2, 0
	s_mul_i32 s17, s3, s28
	s_add_i32 s2, s2, s12
	s_mul_i32 s22, s26, s28
	s_add_i32 s23, s2, s17
	s_mov_b32 s2, exec_lo
	v_cmpx_gt_i64_e64 s[22:23], v[1:2]
	s_cbranch_execz .LBB6_5
; %bb.1:
	s_mov_b32 s20, s18
	s_mov_b32 s12, s16
	s_load_b128 s[16:19], s[0:1], 0x30
	s_mov_b32 s2, 0
	s_delay_alu instid0(SALU_CYCLE_1)
	s_cmp_lg_u64 s[2:3], 0
	s_cbranch_scc0 .LBB6_6
; %bb.2:
	s_ashr_i32 s22, s3, 31
	s_delay_alu instid0(SALU_CYCLE_1) | instskip(SKIP_2) | instid1(SALU_CYCLE_1)
	s_add_u32 s0, s26, s22
	s_mov_b32 s23, s22
	s_addc_u32 s1, s3, s22
	s_xor_b64 s[24:25], s[0:1], s[22:23]
	s_delay_alu instid0(SALU_CYCLE_1) | instskip(SKIP_3) | instid1(VALU_DEP_1)
	v_cvt_f32_u32_e32 v0, s24
	v_cvt_f32_u32_e32 v2, s25
	s_sub_u32 s0, 0, s24
	s_subb_u32 s1, 0, s25
	v_fmamk_f32 v0, v2, 0x4f800000, v0
	s_delay_alu instid0(VALU_DEP_1) | instskip(SKIP_2) | instid1(VALU_DEP_1)
	v_rcp_f32_e32 v0, v0
	s_waitcnt_depctr 0xfff
	v_mul_f32_e32 v0, 0x5f7ffffc, v0
	v_mul_f32_e32 v2, 0x2f800000, v0
	s_delay_alu instid0(VALU_DEP_1) | instskip(NEXT) | instid1(VALU_DEP_1)
	v_trunc_f32_e32 v2, v2
	v_fmamk_f32 v0, v2, 0xcf800000, v0
	v_cvt_u32_f32_e32 v2, v2
	s_delay_alu instid0(VALU_DEP_2) | instskip(NEXT) | instid1(VALU_DEP_2)
	v_cvt_u32_f32_e32 v0, v0
	v_mul_lo_u32 v3, s0, v2
	s_delay_alu instid0(VALU_DEP_2) | instskip(SKIP_1) | instid1(VALU_DEP_2)
	v_mul_hi_u32 v4, s0, v0
	v_mul_lo_u32 v5, s1, v0
	v_add_nc_u32_e32 v3, v4, v3
	v_mul_lo_u32 v4, s0, v0
	s_delay_alu instid0(VALU_DEP_2) | instskip(NEXT) | instid1(VALU_DEP_2)
	v_add_nc_u32_e32 v3, v3, v5
	v_mul_hi_u32 v5, v0, v4
	s_delay_alu instid0(VALU_DEP_2)
	v_mul_lo_u32 v6, v0, v3
	v_mul_hi_u32 v7, v0, v3
	v_mul_hi_u32 v8, v2, v4
	v_mul_lo_u32 v4, v2, v4
	v_mul_hi_u32 v9, v2, v3
	v_mul_lo_u32 v3, v2, v3
	v_add_co_u32 v5, vcc_lo, v5, v6
	v_add_co_ci_u32_e32 v6, vcc_lo, 0, v7, vcc_lo
	s_delay_alu instid0(VALU_DEP_2) | instskip(NEXT) | instid1(VALU_DEP_2)
	v_add_co_u32 v4, vcc_lo, v5, v4
	v_add_co_ci_u32_e32 v4, vcc_lo, v6, v8, vcc_lo
	v_add_co_ci_u32_e32 v5, vcc_lo, 0, v9, vcc_lo
	v_ashrrev_i32_e64 v8, 31, 0
	s_delay_alu instid0(VALU_DEP_3) | instskip(NEXT) | instid1(VALU_DEP_3)
	v_add_co_u32 v3, vcc_lo, v4, v3
	v_add_co_ci_u32_e32 v4, vcc_lo, 0, v5, vcc_lo
	s_delay_alu instid0(VALU_DEP_2) | instskip(NEXT) | instid1(VALU_DEP_2)
	v_add_co_u32 v0, vcc_lo, v0, v3
	v_add_co_ci_u32_e32 v2, vcc_lo, v2, v4, vcc_lo
	s_delay_alu instid0(VALU_DEP_2) | instskip(SKIP_1) | instid1(VALU_DEP_3)
	v_mul_hi_u32 v3, s0, v0
	v_mul_lo_u32 v5, s1, v0
	v_mul_lo_u32 v4, s0, v2
	s_delay_alu instid0(VALU_DEP_1) | instskip(SKIP_1) | instid1(VALU_DEP_2)
	v_add_nc_u32_e32 v3, v3, v4
	v_mul_lo_u32 v4, s0, v0
	v_add_nc_u32_e32 v3, v3, v5
	s_delay_alu instid0(VALU_DEP_2) | instskip(NEXT) | instid1(VALU_DEP_2)
	v_mul_hi_u32 v5, v0, v4
	v_mul_lo_u32 v6, v0, v3
	v_mul_hi_u32 v7, v0, v3
	v_mul_hi_u32 v9, v2, v4
	v_mul_lo_u32 v4, v2, v4
	v_mul_hi_u32 v10, v2, v3
	v_mul_lo_u32 v3, v2, v3
	v_add_co_u32 v5, vcc_lo, v5, v6
	v_add_co_ci_u32_e32 v6, vcc_lo, 0, v7, vcc_lo
	s_delay_alu instid0(VALU_DEP_2) | instskip(NEXT) | instid1(VALU_DEP_2)
	v_add_co_u32 v4, vcc_lo, v5, v4
	v_add_co_ci_u32_e32 v4, vcc_lo, v6, v9, vcc_lo
	v_add_co_ci_u32_e32 v5, vcc_lo, 0, v10, vcc_lo
	v_add_co_u32 v6, vcc_lo, v1, v8
	v_add_co_ci_u32_e32 v7, vcc_lo, 0, v8, vcc_lo
	s_delay_alu instid0(VALU_DEP_4) | instskip(NEXT) | instid1(VALU_DEP_4)
	v_add_co_u32 v3, vcc_lo, v4, v3
	v_add_co_ci_u32_e32 v4, vcc_lo, 0, v5, vcc_lo
	s_delay_alu instid0(VALU_DEP_4) | instskip(NEXT) | instid1(VALU_DEP_3)
	v_xor_b32_e32 v9, v6, v8
	v_add_co_u32 v0, vcc_lo, v0, v3
	s_delay_alu instid0(VALU_DEP_3) | instskip(SKIP_1) | instid1(VALU_DEP_3)
	v_add_co_ci_u32_e32 v10, vcc_lo, v2, v4, vcc_lo
	v_xor_b32_e32 v11, v7, v8
	v_mul_hi_u32 v12, v9, v0
	s_delay_alu instid0(VALU_DEP_3) | instskip(NEXT) | instid1(VALU_DEP_3)
	v_mad_u64_u32 v[2:3], null, v9, v10, 0
	v_mad_u64_u32 v[4:5], null, v11, v0, 0
	;; [unrolled: 1-line block ×3, first 2 shown]
	s_delay_alu instid0(VALU_DEP_3) | instskip(NEXT) | instid1(VALU_DEP_4)
	v_add_co_u32 v0, vcc_lo, v12, v2
	v_add_co_ci_u32_e32 v2, vcc_lo, 0, v3, vcc_lo
	s_delay_alu instid0(VALU_DEP_2) | instskip(NEXT) | instid1(VALU_DEP_2)
	v_add_co_u32 v0, vcc_lo, v0, v4
	v_add_co_ci_u32_e32 v0, vcc_lo, v2, v5, vcc_lo
	v_add_co_ci_u32_e32 v2, vcc_lo, 0, v7, vcc_lo
	s_delay_alu instid0(VALU_DEP_2) | instskip(NEXT) | instid1(VALU_DEP_2)
	v_add_co_u32 v0, vcc_lo, v0, v6
	v_add_co_ci_u32_e32 v4, vcc_lo, 0, v2, vcc_lo
	s_delay_alu instid0(VALU_DEP_2) | instskip(SKIP_1) | instid1(VALU_DEP_3)
	v_mul_lo_u32 v5, s25, v0
	v_mad_u64_u32 v[2:3], null, s24, v0, 0
	v_mul_lo_u32 v6, s24, v4
	s_delay_alu instid0(VALU_DEP_2) | instskip(NEXT) | instid1(VALU_DEP_2)
	v_sub_co_u32 v2, vcc_lo, v9, v2
	v_add3_u32 v3, v3, v6, v5
	s_delay_alu instid0(VALU_DEP_1) | instskip(NEXT) | instid1(VALU_DEP_1)
	v_sub_nc_u32_e32 v5, v11, v3
	v_subrev_co_ci_u32_e64 v5, s0, s25, v5, vcc_lo
	v_add_co_u32 v6, s0, v0, 2
	s_delay_alu instid0(VALU_DEP_1) | instskip(SKIP_3) | instid1(VALU_DEP_3)
	v_add_co_ci_u32_e64 v7, s0, 0, v4, s0
	v_sub_co_u32 v9, s0, v2, s24
	v_sub_co_ci_u32_e32 v3, vcc_lo, v11, v3, vcc_lo
	v_subrev_co_ci_u32_e64 v5, s0, 0, v5, s0
	v_cmp_le_u32_e32 vcc_lo, s24, v9
	s_delay_alu instid0(VALU_DEP_3) | instskip(SKIP_1) | instid1(VALU_DEP_4)
	v_cmp_eq_u32_e64 s0, s25, v3
	v_cndmask_b32_e64 v9, 0, -1, vcc_lo
	v_cmp_le_u32_e32 vcc_lo, s25, v5
	v_cndmask_b32_e64 v10, 0, -1, vcc_lo
	v_cmp_le_u32_e32 vcc_lo, s24, v2
	;; [unrolled: 2-line block ×3, first 2 shown]
	v_cndmask_b32_e64 v11, 0, -1, vcc_lo
	v_cmp_eq_u32_e32 vcc_lo, s25, v5
	s_delay_alu instid0(VALU_DEP_2) | instskip(SKIP_3) | instid1(VALU_DEP_3)
	v_cndmask_b32_e64 v2, v11, v2, s0
	v_cndmask_b32_e32 v5, v10, v9, vcc_lo
	v_add_co_u32 v9, vcc_lo, v0, 1
	v_add_co_ci_u32_e32 v10, vcc_lo, 0, v4, vcc_lo
	v_cmp_ne_u32_e32 vcc_lo, 0, v5
	s_delay_alu instid0(VALU_DEP_3) | instskip(NEXT) | instid1(VALU_DEP_3)
	v_cndmask_b32_e32 v5, v9, v6, vcc_lo
	v_cndmask_b32_e32 v3, v10, v7, vcc_lo
	v_cmp_ne_u32_e32 vcc_lo, 0, v2
	v_xor_b32_e32 v6, s22, v8
	s_delay_alu instid0(VALU_DEP_4) | instskip(NEXT) | instid1(VALU_DEP_4)
	v_cndmask_b32_e32 v0, v0, v5, vcc_lo
	v_cndmask_b32_e32 v2, v4, v3, vcc_lo
	s_delay_alu instid0(VALU_DEP_2) | instskip(NEXT) | instid1(VALU_DEP_2)
	v_xor_b32_e32 v0, v0, v6
	v_xor_b32_e32 v3, v2, v6
	s_delay_alu instid0(VALU_DEP_2) | instskip(NEXT) | instid1(VALU_DEP_2)
	v_sub_co_u32 v2, vcc_lo, v0, v6
	v_sub_co_ci_u32_e32 v3, vcc_lo, v3, v6, vcc_lo
	s_and_not1_b32 vcc_lo, exec_lo, s2
	s_cbranch_vccnz .LBB6_4
.LBB6_3:
	v_cvt_f32_u32_e32 v0, s26
	s_sub_i32 s0, 0, s26
	s_delay_alu instid0(VALU_DEP_1) | instskip(SKIP_2) | instid1(VALU_DEP_1)
	v_rcp_iflag_f32_e32 v0, v0
	s_waitcnt_depctr 0xfff
	v_mul_f32_e32 v0, 0x4f7ffffe, v0
	v_cvt_u32_f32_e32 v0, v0
	s_delay_alu instid0(VALU_DEP_1) | instskip(NEXT) | instid1(VALU_DEP_1)
	v_mul_lo_u32 v2, s0, v0
	v_mul_hi_u32 v2, v0, v2
	s_delay_alu instid0(VALU_DEP_1) | instskip(NEXT) | instid1(VALU_DEP_1)
	v_add_nc_u32_e32 v0, v0, v2
	v_mul_hi_u32 v0, v1, v0
	s_delay_alu instid0(VALU_DEP_1) | instskip(SKIP_1) | instid1(VALU_DEP_2)
	v_mul_lo_u32 v2, v0, s26
	v_add_nc_u32_e32 v3, 1, v0
	v_sub_nc_u32_e32 v2, v1, v2
	s_delay_alu instid0(VALU_DEP_1) | instskip(SKIP_1) | instid1(VALU_DEP_2)
	v_subrev_nc_u32_e32 v4, s26, v2
	v_cmp_le_u32_e32 vcc_lo, s26, v2
	v_cndmask_b32_e32 v2, v2, v4, vcc_lo
	v_cndmask_b32_e32 v0, v0, v3, vcc_lo
	s_delay_alu instid0(VALU_DEP_2) | instskip(NEXT) | instid1(VALU_DEP_2)
	v_cmp_le_u32_e32 vcc_lo, s26, v2
	v_add_nc_u32_e32 v3, 1, v0
	s_delay_alu instid0(VALU_DEP_1)
	v_dual_cndmask_b32 v2, v0, v3 :: v_dual_mov_b32 v3, 0
.LBB6_4:
	s_delay_alu instid0(VALU_DEP_1) | instskip(NEXT) | instid1(VALU_DEP_2)
	v_mul_lo_u32 v0, v3, s26
	v_mul_lo_u32 v6, v2, s3
	v_mad_u64_u32 v[4:5], null, v2, s26, 0
	s_sub_u32 s0, 0, s12
	s_subb_u32 s1, 0, s13
	s_sub_u32 s22, 0, s20
	s_subb_u32 s23, 0, s21
	s_waitcnt lgkmcnt(0)
	s_add_i32 s2, s15, s17
	s_add_i32 s14, s14, s16
	v_add3_u32 v5, v5, v6, v0
	v_sub_co_u32 v0, vcc_lo, v1, v4
	s_mul_i32 s2, s2, s18
	s_delay_alu instid0(VALU_DEP_2) | instskip(NEXT) | instid1(VALU_DEP_2)
	v_sub_co_ci_u32_e32 v1, vcc_lo, 0, v5, vcc_lo
	v_sub_co_u32 v4, vcc_lo, v0, s20
	s_add_i32 s2, s14, s2
	s_delay_alu instid0(VALU_DEP_2) | instskip(SKIP_2) | instid1(VALU_DEP_3)
	v_subrev_co_ci_u32_e32 v5, vcc_lo, s21, v1, vcc_lo
	v_sub_co_u32 v6, vcc_lo, v0, s29
	v_subrev_co_ci_u32_e32 v7, vcc_lo, s30, v1, vcc_lo
	v_ashrrev_i32_e32 v9, 31, v5
	s_delay_alu instid0(VALU_DEP_3) | instskip(NEXT) | instid1(VALU_DEP_3)
	v_add_co_u32 v6, vcc_lo, v6, 1
	v_add_co_ci_u32_e32 v7, vcc_lo, 0, v7, vcc_lo
	v_sub_co_u32 v8, vcc_lo, v2, s31
	v_subrev_co_ci_u32_e32 v10, vcc_lo, s33, v3, vcc_lo
	v_sub_co_u32 v11, vcc_lo, v2, s12
	v_subrev_co_ci_u32_e32 v12, vcc_lo, s13, v3, vcc_lo
	s_mul_i32 s11, s2, s11
	s_mul_hi_u32 s14, s2, s10
	v_add_co_u32 v8, vcc_lo, v8, 1
	s_mul_i32 s15, s2, s10
	v_cmp_gt_i64_e64 s10, s[22:23], 0
	s_add_i32 s14, s14, s11
	v_cmp_gt_i64_e64 s11, s[0:1], 0
	v_add_co_ci_u32_e32 v10, vcc_lo, 0, v10, vcc_lo
	v_xor_b32_e32 v14, v5, v9
	v_ashrrev_i32_e32 v5, 31, v12
	s_and_b32 s10, s10, exec_lo
	v_xor_b32_e32 v15, v4, v9
	v_ashrrev_i32_e32 v4, 31, v10
	s_cselect_b32 s16, s23, 0
	v_cmp_gt_i64_e64 s10, s[20:21], 0
	s_cselect_b32 s17, s22, 0
	s_and_b32 s11, s11, exec_lo
	v_cmp_gt_i64_e64 s11, s[12:13], 0
	v_xor_b32_e32 v11, v11, v5
	v_xor_b32_e32 v12, v12, v5
	;; [unrolled: 1-line block ×3, first 2 shown]
	s_cselect_b32 s18, s1, 0
	s_cselect_b32 s19, s0, 0
	s_and_b32 s0, s10, exec_lo
	v_xor_b32_e32 v10, v10, v4
	v_sub_co_u32 v11, vcc_lo, v11, v5
	s_cselect_b32 s1, s21, 0
	s_cselect_b32 s0, s20, 0
	s_and_b32 s10, s11, exec_lo
	s_cselect_b32 s11, s13, 0
	s_cselect_b32 s10, s12, 0
	v_sub_co_ci_u32_e32 v5, vcc_lo, v12, v5, vcc_lo
	v_sub_co_u32 v8, vcc_lo, v8, v4
	s_not_b64 s[0:1], s[0:1]
	s_not_b64 s[10:11], s[10:11]
	v_sub_co_ci_u32_e32 v4, vcc_lo, v10, v4, vcc_lo
	s_add_u32 s12, s31, s12
	s_addc_u32 s13, s33, s13
	s_add_u32 s10, s12, s10
	s_addc_u32 s11, s13, s11
	v_add_co_u32 v8, vcc_lo, v2, v8
	s_add_u32 s10, s10, s19
	s_addc_u32 s11, s11, s18
	v_add_co_ci_u32_e32 v4, vcc_lo, v3, v4, vcc_lo
	v_ashrrev_i32_e32 v13, 31, v7
	s_add_u32 s10, s10, s15
	s_addc_u32 s11, s11, s14
	v_sub_co_u32 v8, vcc_lo, s10, v8
	v_sub_co_ci_u32_e32 v4, vcc_lo, s11, v4, vcc_lo
	v_xor_b32_e32 v6, v6, v13
	v_xor_b32_e32 v7, v7, v13
	s_delay_alu instid0(VALU_DEP_4) | instskip(NEXT) | instid1(VALU_DEP_4)
	v_add_co_u32 v8, vcc_lo, v8, v11
	v_add_co_ci_u32_e32 v4, vcc_lo, v4, v5, vcc_lo
	s_delay_alu instid0(VALU_DEP_4) | instskip(NEXT) | instid1(VALU_DEP_4)
	v_sub_co_u32 v6, vcc_lo, v6, v13
	v_sub_co_ci_u32_e32 v7, vcc_lo, v7, v13, vcc_lo
	s_delay_alu instid0(VALU_DEP_3)
	v_mul_lo_u32 v10, v4, s8
	v_mad_u64_u32 v[4:5], null, v8, s8, 0
	s_add_u32 s8, s29, s20
	v_mul_lo_u32 v11, v8, s9
	s_addc_u32 s9, s30, s21
	v_add_co_u32 v6, vcc_lo, v0, v6
	s_add_u32 s0, s8, s0
	s_addc_u32 s1, s9, s1
	v_add_co_ci_u32_e32 v7, vcc_lo, v1, v7, vcc_lo
	s_add_u32 s0, s0, s17
	s_addc_u32 s1, s1, s16
	v_sub_co_u32 v6, vcc_lo, s0, v6
	s_delay_alu instid0(VALU_DEP_2) | instskip(SKIP_2) | instid1(VALU_DEP_3)
	v_sub_co_ci_u32_e32 v7, vcc_lo, s1, v7, vcc_lo
	v_sub_co_u32 v8, vcc_lo, v15, v9
	v_sub_co_ci_u32_e32 v9, vcc_lo, v14, v9, vcc_lo
	v_lshlrev_b64 v[6:7], 2, v[6:7]
	v_add3_u32 v5, v5, v11, v10
	v_lshlrev_b64 v[0:1], 2, v[0:1]
	s_delay_alu instid0(VALU_DEP_4) | instskip(NEXT) | instid1(VALU_DEP_4)
	v_lshlrev_b64 v[8:9], 2, v[8:9]
	v_add_co_u32 v6, vcc_lo, s4, v6
	v_add_co_ci_u32_e32 v7, vcc_lo, s5, v7, vcc_lo
	v_lshlrev_b64 v[4:5], 2, v[4:5]
	s_delay_alu instid0(VALU_DEP_3) | instskip(NEXT) | instid1(VALU_DEP_3)
	v_add_co_u32 v6, vcc_lo, v6, v8
	v_add_co_ci_u32_e32 v7, vcc_lo, v7, v9, vcc_lo
	s_delay_alu instid0(VALU_DEP_2) | instskip(NEXT) | instid1(VALU_DEP_2)
	v_add_co_u32 v4, vcc_lo, v6, v4
	v_add_co_ci_u32_e32 v5, vcc_lo, v7, v5, vcc_lo
	global_load_b32 v7, v[4:5], off
	v_mad_u64_u32 v[4:5], null, s28, s2, v[2:3]
	s_delay_alu instid0(VALU_DEP_1) | instskip(NEXT) | instid1(VALU_DEP_1)
	v_mov_b32_e32 v2, v5
	v_mad_u64_u32 v[5:6], null, s27, s2, v[2:3]
	s_delay_alu instid0(VALU_DEP_3) | instskip(SKIP_1) | instid1(VALU_DEP_3)
	v_mul_lo_u32 v6, v4, s3
	v_mad_u64_u32 v[2:3], null, v4, s26, 0
	v_mul_lo_u32 v5, v5, s26
	s_delay_alu instid0(VALU_DEP_1) | instskip(NEXT) | instid1(VALU_DEP_1)
	v_add3_u32 v3, v3, v6, v5
	v_lshlrev_b64 v[2:3], 2, v[2:3]
	s_delay_alu instid0(VALU_DEP_1) | instskip(NEXT) | instid1(VALU_DEP_2)
	v_add_co_u32 v2, vcc_lo, s6, v2
	v_add_co_ci_u32_e32 v3, vcc_lo, s7, v3, vcc_lo
	s_delay_alu instid0(VALU_DEP_2) | instskip(NEXT) | instid1(VALU_DEP_2)
	v_add_co_u32 v0, vcc_lo, v2, v0
	v_add_co_ci_u32_e32 v1, vcc_lo, v3, v1, vcc_lo
	s_waitcnt vmcnt(0)
	global_store_b32 v[0:1], v7, off
.LBB6_5:
	s_nop 0
	s_sendmsg sendmsg(MSG_DEALLOC_VGPRS)
	s_endpgm
.LBB6_6:
                                        ; implicit-def: $vgpr2_vgpr3
	s_branch .LBB6_3
	.section	.rodata,"a",@progbits
	.p2align	6, 0x0
	.amdhsa_kernel _ZN2at6native12_GLOBAL__N_127reflection_pad2d_out_kernelIfEEvPKT_PS3_lliiiiiii
		.amdhsa_group_segment_fixed_size 0
		.amdhsa_private_segment_fixed_size 0
		.amdhsa_kernarg_size 320
		.amdhsa_user_sgpr_count 13
		.amdhsa_user_sgpr_dispatch_ptr 0
		.amdhsa_user_sgpr_queue_ptr 0
		.amdhsa_user_sgpr_kernarg_segment_ptr 1
		.amdhsa_user_sgpr_dispatch_id 0
		.amdhsa_user_sgpr_private_segment_size 0
		.amdhsa_wavefront_size32 1
		.amdhsa_uses_dynamic_stack 0
		.amdhsa_enable_private_segment 0
		.amdhsa_system_sgpr_workgroup_id_x 1
		.amdhsa_system_sgpr_workgroup_id_y 1
		.amdhsa_system_sgpr_workgroup_id_z 1
		.amdhsa_system_sgpr_workgroup_info 0
		.amdhsa_system_vgpr_workitem_id 0
		.amdhsa_next_free_vgpr 16
		.amdhsa_next_free_sgpr 34
		.amdhsa_reserve_vcc 1
		.amdhsa_float_round_mode_32 0
		.amdhsa_float_round_mode_16_64 0
		.amdhsa_float_denorm_mode_32 3
		.amdhsa_float_denorm_mode_16_64 3
		.amdhsa_dx10_clamp 1
		.amdhsa_ieee_mode 1
		.amdhsa_fp16_overflow 0
		.amdhsa_workgroup_processor_mode 1
		.amdhsa_memory_ordered 1
		.amdhsa_forward_progress 0
		.amdhsa_shared_vgpr_count 0
		.amdhsa_exception_fp_ieee_invalid_op 0
		.amdhsa_exception_fp_denorm_src 0
		.amdhsa_exception_fp_ieee_div_zero 0
		.amdhsa_exception_fp_ieee_overflow 0
		.amdhsa_exception_fp_ieee_underflow 0
		.amdhsa_exception_fp_ieee_inexact 0
		.amdhsa_exception_int_div_zero 0
	.end_amdhsa_kernel
	.section	.text._ZN2at6native12_GLOBAL__N_127reflection_pad2d_out_kernelIfEEvPKT_PS3_lliiiiiii,"axG",@progbits,_ZN2at6native12_GLOBAL__N_127reflection_pad2d_out_kernelIfEEvPKT_PS3_lliiiiiii,comdat
.Lfunc_end6:
	.size	_ZN2at6native12_GLOBAL__N_127reflection_pad2d_out_kernelIfEEvPKT_PS3_lliiiiiii, .Lfunc_end6-_ZN2at6native12_GLOBAL__N_127reflection_pad2d_out_kernelIfEEvPKT_PS3_lliiiiiii
                                        ; -- End function
	.section	.AMDGPU.csdata,"",@progbits
; Kernel info:
; codeLenInByte = 1896
; NumSgprs: 36
; NumVgprs: 16
; ScratchSize: 0
; MemoryBound: 0
; FloatMode: 240
; IeeeMode: 1
; LDSByteSize: 0 bytes/workgroup (compile time only)
; SGPRBlocks: 4
; VGPRBlocks: 1
; NumSGPRsForWavesPerEU: 36
; NumVGPRsForWavesPerEU: 16
; Occupancy: 16
; WaveLimiterHint : 0
; COMPUTE_PGM_RSRC2:SCRATCH_EN: 0
; COMPUTE_PGM_RSRC2:USER_SGPR: 13
; COMPUTE_PGM_RSRC2:TRAP_HANDLER: 0
; COMPUTE_PGM_RSRC2:TGID_X_EN: 1
; COMPUTE_PGM_RSRC2:TGID_Y_EN: 1
; COMPUTE_PGM_RSRC2:TGID_Z_EN: 1
; COMPUTE_PGM_RSRC2:TIDIG_COMP_CNT: 0
	.section	.text._ZN2at6native12_GLOBAL__N_127reflection_pad2d_out_kernelIN3c107complexIdEEEEvPKT_PS6_lliiiiiii,"axG",@progbits,_ZN2at6native12_GLOBAL__N_127reflection_pad2d_out_kernelIN3c107complexIdEEEEvPKT_PS6_lliiiiiii,comdat
	.globl	_ZN2at6native12_GLOBAL__N_127reflection_pad2d_out_kernelIN3c107complexIdEEEEvPKT_PS6_lliiiiiii ; -- Begin function _ZN2at6native12_GLOBAL__N_127reflection_pad2d_out_kernelIN3c107complexIdEEEEvPKT_PS6_lliiiiiii
	.p2align	8
	.type	_ZN2at6native12_GLOBAL__N_127reflection_pad2d_out_kernelIN3c107complexIdEEEEvPKT_PS6_lliiiiiii,@function
_ZN2at6native12_GLOBAL__N_127reflection_pad2d_out_kernelIN3c107complexIdEEEEvPKT_PS6_lliiiiiii: ; @_ZN2at6native12_GLOBAL__N_127reflection_pad2d_out_kernelIN3c107complexIdEEEEvPKT_PS6_lliiiiiii
; %bb.0:
	s_clause 0x2
	s_load_b32 s2, s[0:1], 0x4c
	s_load_b128 s[16:19], s[0:1], 0x20
	s_load_b256 s[4:11], s[0:1], 0x0
	s_waitcnt lgkmcnt(0)
	s_and_b32 s2, s2, 0xffff
	s_ashr_i32 s21, s18, 31
	s_add_u32 s29, s18, s8
	v_mad_u64_u32 v[1:2], null, s13, s2, v[0:1]
	s_addc_u32 s30, s21, s9
	s_ashr_i32 s2, s19, 31
	s_add_u32 s26, s29, s19
	s_addc_u32 s3, s30, s2
	s_ashr_i32 s13, s16, 31
	s_add_u32 s31, s16, s10
	;; [unrolled: 3-line block ×3, first 2 shown]
	s_addc_u32 s27, s33, s2
	s_mul_hi_u32 s2, s26, s28
	s_mul_i32 s12, s26, s27
	v_mov_b32_e32 v2, 0
	s_mul_i32 s17, s3, s28
	s_add_i32 s2, s2, s12
	s_mul_i32 s22, s26, s28
	s_add_i32 s23, s2, s17
	s_mov_b32 s2, exec_lo
	v_cmpx_gt_i64_e64 s[22:23], v[1:2]
	s_cbranch_execz .LBB7_5
; %bb.1:
	s_mov_b32 s20, s18
	s_mov_b32 s12, s16
	s_load_b128 s[16:19], s[0:1], 0x30
	s_mov_b32 s2, 0
	s_delay_alu instid0(SALU_CYCLE_1)
	s_cmp_lg_u64 s[2:3], 0
	s_cbranch_scc0 .LBB7_6
; %bb.2:
	s_ashr_i32 s22, s3, 31
	s_delay_alu instid0(SALU_CYCLE_1) | instskip(SKIP_2) | instid1(SALU_CYCLE_1)
	s_add_u32 s0, s26, s22
	s_mov_b32 s23, s22
	s_addc_u32 s1, s3, s22
	s_xor_b64 s[24:25], s[0:1], s[22:23]
	s_delay_alu instid0(SALU_CYCLE_1) | instskip(SKIP_3) | instid1(VALU_DEP_1)
	v_cvt_f32_u32_e32 v0, s24
	v_cvt_f32_u32_e32 v2, s25
	s_sub_u32 s0, 0, s24
	s_subb_u32 s1, 0, s25
	v_fmamk_f32 v0, v2, 0x4f800000, v0
	s_delay_alu instid0(VALU_DEP_1) | instskip(SKIP_2) | instid1(VALU_DEP_1)
	v_rcp_f32_e32 v0, v0
	s_waitcnt_depctr 0xfff
	v_mul_f32_e32 v0, 0x5f7ffffc, v0
	v_mul_f32_e32 v2, 0x2f800000, v0
	s_delay_alu instid0(VALU_DEP_1) | instskip(NEXT) | instid1(VALU_DEP_1)
	v_trunc_f32_e32 v2, v2
	v_fmamk_f32 v0, v2, 0xcf800000, v0
	v_cvt_u32_f32_e32 v2, v2
	s_delay_alu instid0(VALU_DEP_2) | instskip(NEXT) | instid1(VALU_DEP_2)
	v_cvt_u32_f32_e32 v0, v0
	v_mul_lo_u32 v3, s0, v2
	s_delay_alu instid0(VALU_DEP_2) | instskip(SKIP_1) | instid1(VALU_DEP_2)
	v_mul_hi_u32 v4, s0, v0
	v_mul_lo_u32 v5, s1, v0
	v_add_nc_u32_e32 v3, v4, v3
	v_mul_lo_u32 v4, s0, v0
	s_delay_alu instid0(VALU_DEP_2) | instskip(NEXT) | instid1(VALU_DEP_2)
	v_add_nc_u32_e32 v3, v3, v5
	v_mul_hi_u32 v5, v0, v4
	s_delay_alu instid0(VALU_DEP_2)
	v_mul_lo_u32 v6, v0, v3
	v_mul_hi_u32 v7, v0, v3
	v_mul_hi_u32 v8, v2, v4
	v_mul_lo_u32 v4, v2, v4
	v_mul_hi_u32 v9, v2, v3
	v_mul_lo_u32 v3, v2, v3
	v_add_co_u32 v5, vcc_lo, v5, v6
	v_add_co_ci_u32_e32 v6, vcc_lo, 0, v7, vcc_lo
	s_delay_alu instid0(VALU_DEP_2) | instskip(NEXT) | instid1(VALU_DEP_2)
	v_add_co_u32 v4, vcc_lo, v5, v4
	v_add_co_ci_u32_e32 v4, vcc_lo, v6, v8, vcc_lo
	v_add_co_ci_u32_e32 v5, vcc_lo, 0, v9, vcc_lo
	v_ashrrev_i32_e64 v8, 31, 0
	s_delay_alu instid0(VALU_DEP_3) | instskip(NEXT) | instid1(VALU_DEP_3)
	v_add_co_u32 v3, vcc_lo, v4, v3
	v_add_co_ci_u32_e32 v4, vcc_lo, 0, v5, vcc_lo
	s_delay_alu instid0(VALU_DEP_2) | instskip(NEXT) | instid1(VALU_DEP_2)
	v_add_co_u32 v0, vcc_lo, v0, v3
	v_add_co_ci_u32_e32 v2, vcc_lo, v2, v4, vcc_lo
	s_delay_alu instid0(VALU_DEP_2) | instskip(SKIP_1) | instid1(VALU_DEP_3)
	v_mul_hi_u32 v3, s0, v0
	v_mul_lo_u32 v5, s1, v0
	v_mul_lo_u32 v4, s0, v2
	s_delay_alu instid0(VALU_DEP_1) | instskip(SKIP_1) | instid1(VALU_DEP_2)
	v_add_nc_u32_e32 v3, v3, v4
	v_mul_lo_u32 v4, s0, v0
	v_add_nc_u32_e32 v3, v3, v5
	s_delay_alu instid0(VALU_DEP_2) | instskip(NEXT) | instid1(VALU_DEP_2)
	v_mul_hi_u32 v5, v0, v4
	v_mul_lo_u32 v6, v0, v3
	v_mul_hi_u32 v7, v0, v3
	v_mul_hi_u32 v9, v2, v4
	v_mul_lo_u32 v4, v2, v4
	v_mul_hi_u32 v10, v2, v3
	v_mul_lo_u32 v3, v2, v3
	v_add_co_u32 v5, vcc_lo, v5, v6
	v_add_co_ci_u32_e32 v6, vcc_lo, 0, v7, vcc_lo
	s_delay_alu instid0(VALU_DEP_2) | instskip(NEXT) | instid1(VALU_DEP_2)
	v_add_co_u32 v4, vcc_lo, v5, v4
	v_add_co_ci_u32_e32 v4, vcc_lo, v6, v9, vcc_lo
	v_add_co_ci_u32_e32 v5, vcc_lo, 0, v10, vcc_lo
	v_add_co_u32 v6, vcc_lo, v1, v8
	v_add_co_ci_u32_e32 v7, vcc_lo, 0, v8, vcc_lo
	s_delay_alu instid0(VALU_DEP_4) | instskip(NEXT) | instid1(VALU_DEP_4)
	v_add_co_u32 v3, vcc_lo, v4, v3
	v_add_co_ci_u32_e32 v4, vcc_lo, 0, v5, vcc_lo
	s_delay_alu instid0(VALU_DEP_4) | instskip(NEXT) | instid1(VALU_DEP_3)
	v_xor_b32_e32 v9, v6, v8
	v_add_co_u32 v0, vcc_lo, v0, v3
	s_delay_alu instid0(VALU_DEP_3) | instskip(SKIP_1) | instid1(VALU_DEP_3)
	v_add_co_ci_u32_e32 v10, vcc_lo, v2, v4, vcc_lo
	v_xor_b32_e32 v11, v7, v8
	v_mul_hi_u32 v12, v9, v0
	s_delay_alu instid0(VALU_DEP_3) | instskip(NEXT) | instid1(VALU_DEP_3)
	v_mad_u64_u32 v[2:3], null, v9, v10, 0
	v_mad_u64_u32 v[4:5], null, v11, v0, 0
	;; [unrolled: 1-line block ×3, first 2 shown]
	s_delay_alu instid0(VALU_DEP_3) | instskip(NEXT) | instid1(VALU_DEP_4)
	v_add_co_u32 v0, vcc_lo, v12, v2
	v_add_co_ci_u32_e32 v2, vcc_lo, 0, v3, vcc_lo
	s_delay_alu instid0(VALU_DEP_2) | instskip(NEXT) | instid1(VALU_DEP_2)
	v_add_co_u32 v0, vcc_lo, v0, v4
	v_add_co_ci_u32_e32 v0, vcc_lo, v2, v5, vcc_lo
	v_add_co_ci_u32_e32 v2, vcc_lo, 0, v7, vcc_lo
	s_delay_alu instid0(VALU_DEP_2) | instskip(NEXT) | instid1(VALU_DEP_2)
	v_add_co_u32 v0, vcc_lo, v0, v6
	v_add_co_ci_u32_e32 v4, vcc_lo, 0, v2, vcc_lo
	s_delay_alu instid0(VALU_DEP_2) | instskip(SKIP_1) | instid1(VALU_DEP_3)
	v_mul_lo_u32 v5, s25, v0
	v_mad_u64_u32 v[2:3], null, s24, v0, 0
	v_mul_lo_u32 v6, s24, v4
	s_delay_alu instid0(VALU_DEP_2) | instskip(NEXT) | instid1(VALU_DEP_2)
	v_sub_co_u32 v2, vcc_lo, v9, v2
	v_add3_u32 v3, v3, v6, v5
	s_delay_alu instid0(VALU_DEP_1) | instskip(NEXT) | instid1(VALU_DEP_1)
	v_sub_nc_u32_e32 v5, v11, v3
	v_subrev_co_ci_u32_e64 v5, s0, s25, v5, vcc_lo
	v_add_co_u32 v6, s0, v0, 2
	s_delay_alu instid0(VALU_DEP_1) | instskip(SKIP_3) | instid1(VALU_DEP_3)
	v_add_co_ci_u32_e64 v7, s0, 0, v4, s0
	v_sub_co_u32 v9, s0, v2, s24
	v_sub_co_ci_u32_e32 v3, vcc_lo, v11, v3, vcc_lo
	v_subrev_co_ci_u32_e64 v5, s0, 0, v5, s0
	v_cmp_le_u32_e32 vcc_lo, s24, v9
	s_delay_alu instid0(VALU_DEP_3) | instskip(SKIP_1) | instid1(VALU_DEP_4)
	v_cmp_eq_u32_e64 s0, s25, v3
	v_cndmask_b32_e64 v9, 0, -1, vcc_lo
	v_cmp_le_u32_e32 vcc_lo, s25, v5
	v_cndmask_b32_e64 v10, 0, -1, vcc_lo
	v_cmp_le_u32_e32 vcc_lo, s24, v2
	;; [unrolled: 2-line block ×3, first 2 shown]
	v_cndmask_b32_e64 v11, 0, -1, vcc_lo
	v_cmp_eq_u32_e32 vcc_lo, s25, v5
	s_delay_alu instid0(VALU_DEP_2) | instskip(SKIP_3) | instid1(VALU_DEP_3)
	v_cndmask_b32_e64 v2, v11, v2, s0
	v_cndmask_b32_e32 v5, v10, v9, vcc_lo
	v_add_co_u32 v9, vcc_lo, v0, 1
	v_add_co_ci_u32_e32 v10, vcc_lo, 0, v4, vcc_lo
	v_cmp_ne_u32_e32 vcc_lo, 0, v5
	s_delay_alu instid0(VALU_DEP_3) | instskip(NEXT) | instid1(VALU_DEP_3)
	v_cndmask_b32_e32 v5, v9, v6, vcc_lo
	v_cndmask_b32_e32 v3, v10, v7, vcc_lo
	v_cmp_ne_u32_e32 vcc_lo, 0, v2
	v_xor_b32_e32 v6, s22, v8
	s_delay_alu instid0(VALU_DEP_4) | instskip(NEXT) | instid1(VALU_DEP_4)
	v_cndmask_b32_e32 v0, v0, v5, vcc_lo
	v_cndmask_b32_e32 v2, v4, v3, vcc_lo
	s_delay_alu instid0(VALU_DEP_2) | instskip(NEXT) | instid1(VALU_DEP_2)
	v_xor_b32_e32 v0, v0, v6
	v_xor_b32_e32 v3, v2, v6
	s_delay_alu instid0(VALU_DEP_2) | instskip(NEXT) | instid1(VALU_DEP_2)
	v_sub_co_u32 v2, vcc_lo, v0, v6
	v_sub_co_ci_u32_e32 v3, vcc_lo, v3, v6, vcc_lo
	s_and_not1_b32 vcc_lo, exec_lo, s2
	s_cbranch_vccnz .LBB7_4
.LBB7_3:
	v_cvt_f32_u32_e32 v0, s26
	s_sub_i32 s0, 0, s26
	s_delay_alu instid0(VALU_DEP_1) | instskip(SKIP_2) | instid1(VALU_DEP_1)
	v_rcp_iflag_f32_e32 v0, v0
	s_waitcnt_depctr 0xfff
	v_mul_f32_e32 v0, 0x4f7ffffe, v0
	v_cvt_u32_f32_e32 v0, v0
	s_delay_alu instid0(VALU_DEP_1) | instskip(NEXT) | instid1(VALU_DEP_1)
	v_mul_lo_u32 v2, s0, v0
	v_mul_hi_u32 v2, v0, v2
	s_delay_alu instid0(VALU_DEP_1) | instskip(NEXT) | instid1(VALU_DEP_1)
	v_add_nc_u32_e32 v0, v0, v2
	v_mul_hi_u32 v0, v1, v0
	s_delay_alu instid0(VALU_DEP_1) | instskip(SKIP_1) | instid1(VALU_DEP_2)
	v_mul_lo_u32 v2, v0, s26
	v_add_nc_u32_e32 v3, 1, v0
	v_sub_nc_u32_e32 v2, v1, v2
	s_delay_alu instid0(VALU_DEP_1) | instskip(SKIP_1) | instid1(VALU_DEP_2)
	v_subrev_nc_u32_e32 v4, s26, v2
	v_cmp_le_u32_e32 vcc_lo, s26, v2
	v_cndmask_b32_e32 v2, v2, v4, vcc_lo
	v_cndmask_b32_e32 v0, v0, v3, vcc_lo
	s_delay_alu instid0(VALU_DEP_2) | instskip(NEXT) | instid1(VALU_DEP_2)
	v_cmp_le_u32_e32 vcc_lo, s26, v2
	v_add_nc_u32_e32 v3, 1, v0
	s_delay_alu instid0(VALU_DEP_1)
	v_dual_cndmask_b32 v2, v0, v3 :: v_dual_mov_b32 v3, 0
.LBB7_4:
	s_delay_alu instid0(VALU_DEP_1) | instskip(NEXT) | instid1(VALU_DEP_2)
	v_mul_lo_u32 v0, v3, s26
	v_mul_lo_u32 v6, v2, s3
	v_mad_u64_u32 v[4:5], null, v2, s26, 0
	s_sub_u32 s0, 0, s12
	s_subb_u32 s1, 0, s13
	s_sub_u32 s22, 0, s20
	s_subb_u32 s23, 0, s21
	s_waitcnt lgkmcnt(0)
	s_add_i32 s2, s15, s17
	s_add_i32 s14, s14, s16
	v_add3_u32 v5, v5, v6, v0
	v_sub_co_u32 v0, vcc_lo, v1, v4
	s_mul_i32 s2, s2, s18
	s_delay_alu instid0(VALU_DEP_2) | instskip(NEXT) | instid1(VALU_DEP_2)
	v_sub_co_ci_u32_e32 v1, vcc_lo, 0, v5, vcc_lo
	v_sub_co_u32 v4, vcc_lo, v0, s20
	s_add_i32 s2, s14, s2
	s_delay_alu instid0(VALU_DEP_2) | instskip(SKIP_2) | instid1(VALU_DEP_3)
	v_subrev_co_ci_u32_e32 v5, vcc_lo, s21, v1, vcc_lo
	v_sub_co_u32 v6, vcc_lo, v0, s29
	v_subrev_co_ci_u32_e32 v7, vcc_lo, s30, v1, vcc_lo
	v_ashrrev_i32_e32 v9, 31, v5
	s_delay_alu instid0(VALU_DEP_3) | instskip(NEXT) | instid1(VALU_DEP_3)
	v_add_co_u32 v6, vcc_lo, v6, 1
	v_add_co_ci_u32_e32 v7, vcc_lo, 0, v7, vcc_lo
	v_sub_co_u32 v8, vcc_lo, v2, s31
	v_subrev_co_ci_u32_e32 v10, vcc_lo, s33, v3, vcc_lo
	v_sub_co_u32 v11, vcc_lo, v2, s12
	v_subrev_co_ci_u32_e32 v12, vcc_lo, s13, v3, vcc_lo
	s_mul_i32 s11, s2, s11
	s_mul_hi_u32 s14, s2, s10
	v_add_co_u32 v8, vcc_lo, v8, 1
	s_mul_i32 s15, s2, s10
	v_cmp_gt_i64_e64 s10, s[22:23], 0
	s_add_i32 s14, s14, s11
	v_cmp_gt_i64_e64 s11, s[0:1], 0
	v_add_co_ci_u32_e32 v10, vcc_lo, 0, v10, vcc_lo
	v_xor_b32_e32 v14, v5, v9
	v_ashrrev_i32_e32 v5, 31, v12
	s_and_b32 s10, s10, exec_lo
	v_xor_b32_e32 v15, v4, v9
	v_ashrrev_i32_e32 v4, 31, v10
	s_cselect_b32 s16, s23, 0
	v_cmp_gt_i64_e64 s10, s[20:21], 0
	s_cselect_b32 s17, s22, 0
	s_and_b32 s11, s11, exec_lo
	v_cmp_gt_i64_e64 s11, s[12:13], 0
	v_xor_b32_e32 v11, v11, v5
	v_xor_b32_e32 v12, v12, v5
	;; [unrolled: 1-line block ×3, first 2 shown]
	s_cselect_b32 s18, s1, 0
	s_cselect_b32 s19, s0, 0
	s_and_b32 s0, s10, exec_lo
	v_xor_b32_e32 v10, v10, v4
	v_sub_co_u32 v11, vcc_lo, v11, v5
	s_cselect_b32 s1, s21, 0
	s_cselect_b32 s0, s20, 0
	s_and_b32 s10, s11, exec_lo
	s_cselect_b32 s11, s13, 0
	s_cselect_b32 s10, s12, 0
	v_sub_co_ci_u32_e32 v5, vcc_lo, v12, v5, vcc_lo
	v_sub_co_u32 v8, vcc_lo, v8, v4
	s_not_b64 s[0:1], s[0:1]
	s_not_b64 s[10:11], s[10:11]
	v_sub_co_ci_u32_e32 v4, vcc_lo, v10, v4, vcc_lo
	s_add_u32 s12, s31, s12
	s_addc_u32 s13, s33, s13
	s_add_u32 s10, s12, s10
	s_addc_u32 s11, s13, s11
	v_add_co_u32 v8, vcc_lo, v2, v8
	s_add_u32 s10, s10, s19
	s_addc_u32 s11, s11, s18
	v_add_co_ci_u32_e32 v4, vcc_lo, v3, v4, vcc_lo
	v_ashrrev_i32_e32 v13, 31, v7
	s_add_u32 s10, s10, s15
	s_addc_u32 s11, s11, s14
	v_sub_co_u32 v8, vcc_lo, s10, v8
	v_sub_co_ci_u32_e32 v4, vcc_lo, s11, v4, vcc_lo
	v_xor_b32_e32 v6, v6, v13
	v_xor_b32_e32 v7, v7, v13
	s_delay_alu instid0(VALU_DEP_4) | instskip(NEXT) | instid1(VALU_DEP_4)
	v_add_co_u32 v8, vcc_lo, v8, v11
	v_add_co_ci_u32_e32 v4, vcc_lo, v4, v5, vcc_lo
	s_delay_alu instid0(VALU_DEP_4) | instskip(NEXT) | instid1(VALU_DEP_4)
	v_sub_co_u32 v6, vcc_lo, v6, v13
	v_sub_co_ci_u32_e32 v7, vcc_lo, v7, v13, vcc_lo
	s_delay_alu instid0(VALU_DEP_3)
	v_mul_lo_u32 v10, v4, s8
	v_mad_u64_u32 v[4:5], null, v8, s8, 0
	s_add_u32 s8, s29, s20
	v_mul_lo_u32 v11, v8, s9
	s_addc_u32 s9, s30, s21
	v_add_co_u32 v6, vcc_lo, v0, v6
	s_add_u32 s0, s8, s0
	s_addc_u32 s1, s9, s1
	v_add_co_ci_u32_e32 v7, vcc_lo, v1, v7, vcc_lo
	s_add_u32 s0, s0, s17
	s_addc_u32 s1, s1, s16
	v_sub_co_u32 v6, vcc_lo, s0, v6
	s_delay_alu instid0(VALU_DEP_2) | instskip(SKIP_2) | instid1(VALU_DEP_3)
	v_sub_co_ci_u32_e32 v7, vcc_lo, s1, v7, vcc_lo
	v_sub_co_u32 v8, vcc_lo, v15, v9
	v_sub_co_ci_u32_e32 v9, vcc_lo, v14, v9, vcc_lo
	v_lshlrev_b64 v[6:7], 4, v[6:7]
	v_add3_u32 v5, v5, v11, v10
	v_lshlrev_b64 v[0:1], 4, v[0:1]
	s_delay_alu instid0(VALU_DEP_4) | instskip(NEXT) | instid1(VALU_DEP_4)
	v_lshlrev_b64 v[8:9], 4, v[8:9]
	v_add_co_u32 v6, vcc_lo, s4, v6
	v_add_co_ci_u32_e32 v7, vcc_lo, s5, v7, vcc_lo
	v_lshlrev_b64 v[4:5], 4, v[4:5]
	s_delay_alu instid0(VALU_DEP_3) | instskip(NEXT) | instid1(VALU_DEP_3)
	v_add_co_u32 v6, vcc_lo, v6, v8
	v_add_co_ci_u32_e32 v7, vcc_lo, v7, v9, vcc_lo
	v_mad_u64_u32 v[8:9], null, s28, s2, v[2:3]
	s_delay_alu instid0(VALU_DEP_3) | instskip(NEXT) | instid1(VALU_DEP_3)
	v_add_co_u32 v4, vcc_lo, v6, v4
	v_add_co_ci_u32_e32 v5, vcc_lo, v7, v5, vcc_lo
	s_delay_alu instid0(VALU_DEP_3) | instskip(SKIP_4) | instid1(VALU_DEP_3)
	v_mov_b32_e32 v2, v9
	global_load_b128 v[4:7], v[4:5], off
	v_mad_u64_u32 v[9:10], null, s27, s2, v[2:3]
	v_mul_lo_u32 v10, v8, s3
	v_mad_u64_u32 v[2:3], null, v8, s26, 0
	v_mul_lo_u32 v9, v9, s26
	s_delay_alu instid0(VALU_DEP_1) | instskip(NEXT) | instid1(VALU_DEP_1)
	v_add3_u32 v3, v3, v10, v9
	v_lshlrev_b64 v[2:3], 4, v[2:3]
	s_delay_alu instid0(VALU_DEP_1) | instskip(NEXT) | instid1(VALU_DEP_2)
	v_add_co_u32 v2, vcc_lo, s6, v2
	v_add_co_ci_u32_e32 v3, vcc_lo, s7, v3, vcc_lo
	s_delay_alu instid0(VALU_DEP_2) | instskip(NEXT) | instid1(VALU_DEP_2)
	v_add_co_u32 v0, vcc_lo, v2, v0
	v_add_co_ci_u32_e32 v1, vcc_lo, v3, v1, vcc_lo
	s_waitcnt vmcnt(0)
	global_store_b128 v[0:1], v[4:7], off
.LBB7_5:
	s_nop 0
	s_sendmsg sendmsg(MSG_DEALLOC_VGPRS)
	s_endpgm
.LBB7_6:
                                        ; implicit-def: $vgpr2_vgpr3
	s_branch .LBB7_3
	.section	.rodata,"a",@progbits
	.p2align	6, 0x0
	.amdhsa_kernel _ZN2at6native12_GLOBAL__N_127reflection_pad2d_out_kernelIN3c107complexIdEEEEvPKT_PS6_lliiiiiii
		.amdhsa_group_segment_fixed_size 0
		.amdhsa_private_segment_fixed_size 0
		.amdhsa_kernarg_size 320
		.amdhsa_user_sgpr_count 13
		.amdhsa_user_sgpr_dispatch_ptr 0
		.amdhsa_user_sgpr_queue_ptr 0
		.amdhsa_user_sgpr_kernarg_segment_ptr 1
		.amdhsa_user_sgpr_dispatch_id 0
		.amdhsa_user_sgpr_private_segment_size 0
		.amdhsa_wavefront_size32 1
		.amdhsa_uses_dynamic_stack 0
		.amdhsa_enable_private_segment 0
		.amdhsa_system_sgpr_workgroup_id_x 1
		.amdhsa_system_sgpr_workgroup_id_y 1
		.amdhsa_system_sgpr_workgroup_id_z 1
		.amdhsa_system_sgpr_workgroup_info 0
		.amdhsa_system_vgpr_workitem_id 0
		.amdhsa_next_free_vgpr 16
		.amdhsa_next_free_sgpr 34
		.amdhsa_reserve_vcc 1
		.amdhsa_float_round_mode_32 0
		.amdhsa_float_round_mode_16_64 0
		.amdhsa_float_denorm_mode_32 3
		.amdhsa_float_denorm_mode_16_64 3
		.amdhsa_dx10_clamp 1
		.amdhsa_ieee_mode 1
		.amdhsa_fp16_overflow 0
		.amdhsa_workgroup_processor_mode 1
		.amdhsa_memory_ordered 1
		.amdhsa_forward_progress 0
		.amdhsa_shared_vgpr_count 0
		.amdhsa_exception_fp_ieee_invalid_op 0
		.amdhsa_exception_fp_denorm_src 0
		.amdhsa_exception_fp_ieee_div_zero 0
		.amdhsa_exception_fp_ieee_overflow 0
		.amdhsa_exception_fp_ieee_underflow 0
		.amdhsa_exception_fp_ieee_inexact 0
		.amdhsa_exception_int_div_zero 0
	.end_amdhsa_kernel
	.section	.text._ZN2at6native12_GLOBAL__N_127reflection_pad2d_out_kernelIN3c107complexIdEEEEvPKT_PS6_lliiiiiii,"axG",@progbits,_ZN2at6native12_GLOBAL__N_127reflection_pad2d_out_kernelIN3c107complexIdEEEEvPKT_PS6_lliiiiiii,comdat
.Lfunc_end7:
	.size	_ZN2at6native12_GLOBAL__N_127reflection_pad2d_out_kernelIN3c107complexIdEEEEvPKT_PS6_lliiiiiii, .Lfunc_end7-_ZN2at6native12_GLOBAL__N_127reflection_pad2d_out_kernelIN3c107complexIdEEEEvPKT_PS6_lliiiiiii
                                        ; -- End function
	.section	.AMDGPU.csdata,"",@progbits
; Kernel info:
; codeLenInByte = 1892
; NumSgprs: 36
; NumVgprs: 16
; ScratchSize: 0
; MemoryBound: 0
; FloatMode: 240
; IeeeMode: 1
; LDSByteSize: 0 bytes/workgroup (compile time only)
; SGPRBlocks: 4
; VGPRBlocks: 1
; NumSGPRsForWavesPerEU: 36
; NumVGPRsForWavesPerEU: 16
; Occupancy: 16
; WaveLimiterHint : 0
; COMPUTE_PGM_RSRC2:SCRATCH_EN: 0
; COMPUTE_PGM_RSRC2:USER_SGPR: 13
; COMPUTE_PGM_RSRC2:TRAP_HANDLER: 0
; COMPUTE_PGM_RSRC2:TGID_X_EN: 1
; COMPUTE_PGM_RSRC2:TGID_Y_EN: 1
; COMPUTE_PGM_RSRC2:TGID_Z_EN: 1
; COMPUTE_PGM_RSRC2:TIDIG_COMP_CNT: 0
	.section	.text._ZN2at6native12_GLOBAL__N_127reflection_pad2d_out_kernelIN3c107complexIfEEEEvPKT_PS6_lliiiiiii,"axG",@progbits,_ZN2at6native12_GLOBAL__N_127reflection_pad2d_out_kernelIN3c107complexIfEEEEvPKT_PS6_lliiiiiii,comdat
	.globl	_ZN2at6native12_GLOBAL__N_127reflection_pad2d_out_kernelIN3c107complexIfEEEEvPKT_PS6_lliiiiiii ; -- Begin function _ZN2at6native12_GLOBAL__N_127reflection_pad2d_out_kernelIN3c107complexIfEEEEvPKT_PS6_lliiiiiii
	.p2align	8
	.type	_ZN2at6native12_GLOBAL__N_127reflection_pad2d_out_kernelIN3c107complexIfEEEEvPKT_PS6_lliiiiiii,@function
_ZN2at6native12_GLOBAL__N_127reflection_pad2d_out_kernelIN3c107complexIfEEEEvPKT_PS6_lliiiiiii: ; @_ZN2at6native12_GLOBAL__N_127reflection_pad2d_out_kernelIN3c107complexIfEEEEvPKT_PS6_lliiiiiii
; %bb.0:
	s_clause 0x2
	s_load_b32 s2, s[0:1], 0x4c
	s_load_b128 s[16:19], s[0:1], 0x20
	s_load_b256 s[4:11], s[0:1], 0x0
	s_waitcnt lgkmcnt(0)
	s_and_b32 s2, s2, 0xffff
	s_ashr_i32 s21, s18, 31
	s_add_u32 s29, s18, s8
	v_mad_u64_u32 v[1:2], null, s13, s2, v[0:1]
	s_addc_u32 s30, s21, s9
	s_ashr_i32 s2, s19, 31
	s_add_u32 s26, s29, s19
	s_addc_u32 s3, s30, s2
	s_ashr_i32 s13, s16, 31
	s_add_u32 s31, s16, s10
	;; [unrolled: 3-line block ×3, first 2 shown]
	s_addc_u32 s27, s33, s2
	s_mul_hi_u32 s2, s26, s28
	s_mul_i32 s12, s26, s27
	v_mov_b32_e32 v2, 0
	s_mul_i32 s17, s3, s28
	s_add_i32 s2, s2, s12
	s_mul_i32 s22, s26, s28
	s_add_i32 s23, s2, s17
	s_mov_b32 s2, exec_lo
	v_cmpx_gt_i64_e64 s[22:23], v[1:2]
	s_cbranch_execz .LBB8_5
; %bb.1:
	s_mov_b32 s20, s18
	s_mov_b32 s12, s16
	s_load_b128 s[16:19], s[0:1], 0x30
	s_mov_b32 s2, 0
	s_delay_alu instid0(SALU_CYCLE_1)
	s_cmp_lg_u64 s[2:3], 0
	s_cbranch_scc0 .LBB8_6
; %bb.2:
	s_ashr_i32 s22, s3, 31
	s_delay_alu instid0(SALU_CYCLE_1) | instskip(SKIP_2) | instid1(SALU_CYCLE_1)
	s_add_u32 s0, s26, s22
	s_mov_b32 s23, s22
	s_addc_u32 s1, s3, s22
	s_xor_b64 s[24:25], s[0:1], s[22:23]
	s_delay_alu instid0(SALU_CYCLE_1) | instskip(SKIP_3) | instid1(VALU_DEP_1)
	v_cvt_f32_u32_e32 v0, s24
	v_cvt_f32_u32_e32 v2, s25
	s_sub_u32 s0, 0, s24
	s_subb_u32 s1, 0, s25
	v_fmamk_f32 v0, v2, 0x4f800000, v0
	s_delay_alu instid0(VALU_DEP_1) | instskip(SKIP_2) | instid1(VALU_DEP_1)
	v_rcp_f32_e32 v0, v0
	s_waitcnt_depctr 0xfff
	v_mul_f32_e32 v0, 0x5f7ffffc, v0
	v_mul_f32_e32 v2, 0x2f800000, v0
	s_delay_alu instid0(VALU_DEP_1) | instskip(NEXT) | instid1(VALU_DEP_1)
	v_trunc_f32_e32 v2, v2
	v_fmamk_f32 v0, v2, 0xcf800000, v0
	v_cvt_u32_f32_e32 v2, v2
	s_delay_alu instid0(VALU_DEP_2) | instskip(NEXT) | instid1(VALU_DEP_2)
	v_cvt_u32_f32_e32 v0, v0
	v_mul_lo_u32 v3, s0, v2
	s_delay_alu instid0(VALU_DEP_2) | instskip(SKIP_1) | instid1(VALU_DEP_2)
	v_mul_hi_u32 v4, s0, v0
	v_mul_lo_u32 v5, s1, v0
	v_add_nc_u32_e32 v3, v4, v3
	v_mul_lo_u32 v4, s0, v0
	s_delay_alu instid0(VALU_DEP_2) | instskip(NEXT) | instid1(VALU_DEP_2)
	v_add_nc_u32_e32 v3, v3, v5
	v_mul_hi_u32 v5, v0, v4
	s_delay_alu instid0(VALU_DEP_2)
	v_mul_lo_u32 v6, v0, v3
	v_mul_hi_u32 v7, v0, v3
	v_mul_hi_u32 v8, v2, v4
	v_mul_lo_u32 v4, v2, v4
	v_mul_hi_u32 v9, v2, v3
	v_mul_lo_u32 v3, v2, v3
	v_add_co_u32 v5, vcc_lo, v5, v6
	v_add_co_ci_u32_e32 v6, vcc_lo, 0, v7, vcc_lo
	s_delay_alu instid0(VALU_DEP_2) | instskip(NEXT) | instid1(VALU_DEP_2)
	v_add_co_u32 v4, vcc_lo, v5, v4
	v_add_co_ci_u32_e32 v4, vcc_lo, v6, v8, vcc_lo
	v_add_co_ci_u32_e32 v5, vcc_lo, 0, v9, vcc_lo
	v_ashrrev_i32_e64 v8, 31, 0
	s_delay_alu instid0(VALU_DEP_3) | instskip(NEXT) | instid1(VALU_DEP_3)
	v_add_co_u32 v3, vcc_lo, v4, v3
	v_add_co_ci_u32_e32 v4, vcc_lo, 0, v5, vcc_lo
	s_delay_alu instid0(VALU_DEP_2) | instskip(NEXT) | instid1(VALU_DEP_2)
	v_add_co_u32 v0, vcc_lo, v0, v3
	v_add_co_ci_u32_e32 v2, vcc_lo, v2, v4, vcc_lo
	s_delay_alu instid0(VALU_DEP_2) | instskip(SKIP_1) | instid1(VALU_DEP_3)
	v_mul_hi_u32 v3, s0, v0
	v_mul_lo_u32 v5, s1, v0
	v_mul_lo_u32 v4, s0, v2
	s_delay_alu instid0(VALU_DEP_1) | instskip(SKIP_1) | instid1(VALU_DEP_2)
	v_add_nc_u32_e32 v3, v3, v4
	v_mul_lo_u32 v4, s0, v0
	v_add_nc_u32_e32 v3, v3, v5
	s_delay_alu instid0(VALU_DEP_2) | instskip(NEXT) | instid1(VALU_DEP_2)
	v_mul_hi_u32 v5, v0, v4
	v_mul_lo_u32 v6, v0, v3
	v_mul_hi_u32 v7, v0, v3
	v_mul_hi_u32 v9, v2, v4
	v_mul_lo_u32 v4, v2, v4
	v_mul_hi_u32 v10, v2, v3
	v_mul_lo_u32 v3, v2, v3
	v_add_co_u32 v5, vcc_lo, v5, v6
	v_add_co_ci_u32_e32 v6, vcc_lo, 0, v7, vcc_lo
	s_delay_alu instid0(VALU_DEP_2) | instskip(NEXT) | instid1(VALU_DEP_2)
	v_add_co_u32 v4, vcc_lo, v5, v4
	v_add_co_ci_u32_e32 v4, vcc_lo, v6, v9, vcc_lo
	v_add_co_ci_u32_e32 v5, vcc_lo, 0, v10, vcc_lo
	v_add_co_u32 v6, vcc_lo, v1, v8
	v_add_co_ci_u32_e32 v7, vcc_lo, 0, v8, vcc_lo
	s_delay_alu instid0(VALU_DEP_4) | instskip(NEXT) | instid1(VALU_DEP_4)
	v_add_co_u32 v3, vcc_lo, v4, v3
	v_add_co_ci_u32_e32 v4, vcc_lo, 0, v5, vcc_lo
	s_delay_alu instid0(VALU_DEP_4) | instskip(NEXT) | instid1(VALU_DEP_3)
	v_xor_b32_e32 v9, v6, v8
	v_add_co_u32 v0, vcc_lo, v0, v3
	s_delay_alu instid0(VALU_DEP_3) | instskip(SKIP_1) | instid1(VALU_DEP_3)
	v_add_co_ci_u32_e32 v10, vcc_lo, v2, v4, vcc_lo
	v_xor_b32_e32 v11, v7, v8
	v_mul_hi_u32 v12, v9, v0
	s_delay_alu instid0(VALU_DEP_3) | instskip(NEXT) | instid1(VALU_DEP_3)
	v_mad_u64_u32 v[2:3], null, v9, v10, 0
	v_mad_u64_u32 v[4:5], null, v11, v0, 0
	v_mad_u64_u32 v[6:7], null, v11, v10, 0
	s_delay_alu instid0(VALU_DEP_3) | instskip(NEXT) | instid1(VALU_DEP_4)
	v_add_co_u32 v0, vcc_lo, v12, v2
	v_add_co_ci_u32_e32 v2, vcc_lo, 0, v3, vcc_lo
	s_delay_alu instid0(VALU_DEP_2) | instskip(NEXT) | instid1(VALU_DEP_2)
	v_add_co_u32 v0, vcc_lo, v0, v4
	v_add_co_ci_u32_e32 v0, vcc_lo, v2, v5, vcc_lo
	v_add_co_ci_u32_e32 v2, vcc_lo, 0, v7, vcc_lo
	s_delay_alu instid0(VALU_DEP_2) | instskip(NEXT) | instid1(VALU_DEP_2)
	v_add_co_u32 v0, vcc_lo, v0, v6
	v_add_co_ci_u32_e32 v4, vcc_lo, 0, v2, vcc_lo
	s_delay_alu instid0(VALU_DEP_2) | instskip(SKIP_1) | instid1(VALU_DEP_3)
	v_mul_lo_u32 v5, s25, v0
	v_mad_u64_u32 v[2:3], null, s24, v0, 0
	v_mul_lo_u32 v6, s24, v4
	s_delay_alu instid0(VALU_DEP_2) | instskip(NEXT) | instid1(VALU_DEP_2)
	v_sub_co_u32 v2, vcc_lo, v9, v2
	v_add3_u32 v3, v3, v6, v5
	s_delay_alu instid0(VALU_DEP_1) | instskip(NEXT) | instid1(VALU_DEP_1)
	v_sub_nc_u32_e32 v5, v11, v3
	v_subrev_co_ci_u32_e64 v5, s0, s25, v5, vcc_lo
	v_add_co_u32 v6, s0, v0, 2
	s_delay_alu instid0(VALU_DEP_1) | instskip(SKIP_3) | instid1(VALU_DEP_3)
	v_add_co_ci_u32_e64 v7, s0, 0, v4, s0
	v_sub_co_u32 v9, s0, v2, s24
	v_sub_co_ci_u32_e32 v3, vcc_lo, v11, v3, vcc_lo
	v_subrev_co_ci_u32_e64 v5, s0, 0, v5, s0
	v_cmp_le_u32_e32 vcc_lo, s24, v9
	s_delay_alu instid0(VALU_DEP_3) | instskip(SKIP_1) | instid1(VALU_DEP_4)
	v_cmp_eq_u32_e64 s0, s25, v3
	v_cndmask_b32_e64 v9, 0, -1, vcc_lo
	v_cmp_le_u32_e32 vcc_lo, s25, v5
	v_cndmask_b32_e64 v10, 0, -1, vcc_lo
	v_cmp_le_u32_e32 vcc_lo, s24, v2
	;; [unrolled: 2-line block ×3, first 2 shown]
	v_cndmask_b32_e64 v11, 0, -1, vcc_lo
	v_cmp_eq_u32_e32 vcc_lo, s25, v5
	s_delay_alu instid0(VALU_DEP_2) | instskip(SKIP_3) | instid1(VALU_DEP_3)
	v_cndmask_b32_e64 v2, v11, v2, s0
	v_cndmask_b32_e32 v5, v10, v9, vcc_lo
	v_add_co_u32 v9, vcc_lo, v0, 1
	v_add_co_ci_u32_e32 v10, vcc_lo, 0, v4, vcc_lo
	v_cmp_ne_u32_e32 vcc_lo, 0, v5
	s_delay_alu instid0(VALU_DEP_3) | instskip(NEXT) | instid1(VALU_DEP_3)
	v_cndmask_b32_e32 v5, v9, v6, vcc_lo
	v_cndmask_b32_e32 v3, v10, v7, vcc_lo
	v_cmp_ne_u32_e32 vcc_lo, 0, v2
	v_xor_b32_e32 v6, s22, v8
	s_delay_alu instid0(VALU_DEP_4) | instskip(NEXT) | instid1(VALU_DEP_4)
	v_cndmask_b32_e32 v0, v0, v5, vcc_lo
	v_cndmask_b32_e32 v2, v4, v3, vcc_lo
	s_delay_alu instid0(VALU_DEP_2) | instskip(NEXT) | instid1(VALU_DEP_2)
	v_xor_b32_e32 v0, v0, v6
	v_xor_b32_e32 v3, v2, v6
	s_delay_alu instid0(VALU_DEP_2) | instskip(NEXT) | instid1(VALU_DEP_2)
	v_sub_co_u32 v2, vcc_lo, v0, v6
	v_sub_co_ci_u32_e32 v3, vcc_lo, v3, v6, vcc_lo
	s_and_not1_b32 vcc_lo, exec_lo, s2
	s_cbranch_vccnz .LBB8_4
.LBB8_3:
	v_cvt_f32_u32_e32 v0, s26
	s_sub_i32 s0, 0, s26
	s_delay_alu instid0(VALU_DEP_1) | instskip(SKIP_2) | instid1(VALU_DEP_1)
	v_rcp_iflag_f32_e32 v0, v0
	s_waitcnt_depctr 0xfff
	v_mul_f32_e32 v0, 0x4f7ffffe, v0
	v_cvt_u32_f32_e32 v0, v0
	s_delay_alu instid0(VALU_DEP_1) | instskip(NEXT) | instid1(VALU_DEP_1)
	v_mul_lo_u32 v2, s0, v0
	v_mul_hi_u32 v2, v0, v2
	s_delay_alu instid0(VALU_DEP_1) | instskip(NEXT) | instid1(VALU_DEP_1)
	v_add_nc_u32_e32 v0, v0, v2
	v_mul_hi_u32 v0, v1, v0
	s_delay_alu instid0(VALU_DEP_1) | instskip(SKIP_1) | instid1(VALU_DEP_2)
	v_mul_lo_u32 v2, v0, s26
	v_add_nc_u32_e32 v3, 1, v0
	v_sub_nc_u32_e32 v2, v1, v2
	s_delay_alu instid0(VALU_DEP_1) | instskip(SKIP_1) | instid1(VALU_DEP_2)
	v_subrev_nc_u32_e32 v4, s26, v2
	v_cmp_le_u32_e32 vcc_lo, s26, v2
	v_cndmask_b32_e32 v2, v2, v4, vcc_lo
	v_cndmask_b32_e32 v0, v0, v3, vcc_lo
	s_delay_alu instid0(VALU_DEP_2) | instskip(NEXT) | instid1(VALU_DEP_2)
	v_cmp_le_u32_e32 vcc_lo, s26, v2
	v_add_nc_u32_e32 v3, 1, v0
	s_delay_alu instid0(VALU_DEP_1)
	v_dual_cndmask_b32 v2, v0, v3 :: v_dual_mov_b32 v3, 0
.LBB8_4:
	s_delay_alu instid0(VALU_DEP_1) | instskip(NEXT) | instid1(VALU_DEP_2)
	v_mul_lo_u32 v0, v3, s26
	v_mul_lo_u32 v6, v2, s3
	v_mad_u64_u32 v[4:5], null, v2, s26, 0
	s_sub_u32 s0, 0, s12
	s_subb_u32 s1, 0, s13
	s_sub_u32 s22, 0, s20
	s_subb_u32 s23, 0, s21
	s_waitcnt lgkmcnt(0)
	s_add_i32 s2, s15, s17
	s_add_i32 s14, s14, s16
	v_add3_u32 v5, v5, v6, v0
	v_sub_co_u32 v0, vcc_lo, v1, v4
	s_mul_i32 s2, s2, s18
	s_delay_alu instid0(VALU_DEP_2) | instskip(NEXT) | instid1(VALU_DEP_2)
	v_sub_co_ci_u32_e32 v1, vcc_lo, 0, v5, vcc_lo
	v_sub_co_u32 v4, vcc_lo, v0, s20
	s_add_i32 s2, s14, s2
	s_delay_alu instid0(VALU_DEP_2) | instskip(SKIP_2) | instid1(VALU_DEP_3)
	v_subrev_co_ci_u32_e32 v5, vcc_lo, s21, v1, vcc_lo
	v_sub_co_u32 v6, vcc_lo, v0, s29
	v_subrev_co_ci_u32_e32 v7, vcc_lo, s30, v1, vcc_lo
	v_ashrrev_i32_e32 v9, 31, v5
	s_delay_alu instid0(VALU_DEP_3) | instskip(NEXT) | instid1(VALU_DEP_3)
	v_add_co_u32 v6, vcc_lo, v6, 1
	v_add_co_ci_u32_e32 v7, vcc_lo, 0, v7, vcc_lo
	v_sub_co_u32 v8, vcc_lo, v2, s31
	v_subrev_co_ci_u32_e32 v10, vcc_lo, s33, v3, vcc_lo
	v_sub_co_u32 v11, vcc_lo, v2, s12
	v_subrev_co_ci_u32_e32 v12, vcc_lo, s13, v3, vcc_lo
	s_mul_i32 s11, s2, s11
	s_mul_hi_u32 s14, s2, s10
	v_add_co_u32 v8, vcc_lo, v8, 1
	s_mul_i32 s15, s2, s10
	v_cmp_gt_i64_e64 s10, s[22:23], 0
	s_add_i32 s14, s14, s11
	v_cmp_gt_i64_e64 s11, s[0:1], 0
	v_add_co_ci_u32_e32 v10, vcc_lo, 0, v10, vcc_lo
	v_xor_b32_e32 v14, v5, v9
	v_ashrrev_i32_e32 v5, 31, v12
	s_and_b32 s10, s10, exec_lo
	v_xor_b32_e32 v15, v4, v9
	v_ashrrev_i32_e32 v4, 31, v10
	s_cselect_b32 s16, s23, 0
	v_cmp_gt_i64_e64 s10, s[20:21], 0
	s_cselect_b32 s17, s22, 0
	s_and_b32 s11, s11, exec_lo
	v_cmp_gt_i64_e64 s11, s[12:13], 0
	v_xor_b32_e32 v11, v11, v5
	v_xor_b32_e32 v12, v12, v5
	;; [unrolled: 1-line block ×3, first 2 shown]
	s_cselect_b32 s18, s1, 0
	s_cselect_b32 s19, s0, 0
	s_and_b32 s0, s10, exec_lo
	v_xor_b32_e32 v10, v10, v4
	v_sub_co_u32 v11, vcc_lo, v11, v5
	s_cselect_b32 s1, s21, 0
	s_cselect_b32 s0, s20, 0
	s_and_b32 s10, s11, exec_lo
	s_cselect_b32 s11, s13, 0
	s_cselect_b32 s10, s12, 0
	v_sub_co_ci_u32_e32 v5, vcc_lo, v12, v5, vcc_lo
	v_sub_co_u32 v8, vcc_lo, v8, v4
	s_not_b64 s[0:1], s[0:1]
	s_not_b64 s[10:11], s[10:11]
	v_sub_co_ci_u32_e32 v4, vcc_lo, v10, v4, vcc_lo
	s_add_u32 s12, s31, s12
	s_addc_u32 s13, s33, s13
	s_add_u32 s10, s12, s10
	s_addc_u32 s11, s13, s11
	v_add_co_u32 v8, vcc_lo, v2, v8
	s_add_u32 s10, s10, s19
	s_addc_u32 s11, s11, s18
	v_add_co_ci_u32_e32 v4, vcc_lo, v3, v4, vcc_lo
	v_ashrrev_i32_e32 v13, 31, v7
	s_add_u32 s10, s10, s15
	s_addc_u32 s11, s11, s14
	v_sub_co_u32 v8, vcc_lo, s10, v8
	v_sub_co_ci_u32_e32 v4, vcc_lo, s11, v4, vcc_lo
	v_xor_b32_e32 v6, v6, v13
	v_xor_b32_e32 v7, v7, v13
	s_delay_alu instid0(VALU_DEP_4) | instskip(NEXT) | instid1(VALU_DEP_4)
	v_add_co_u32 v8, vcc_lo, v8, v11
	v_add_co_ci_u32_e32 v4, vcc_lo, v4, v5, vcc_lo
	s_delay_alu instid0(VALU_DEP_4) | instskip(NEXT) | instid1(VALU_DEP_4)
	v_sub_co_u32 v6, vcc_lo, v6, v13
	v_sub_co_ci_u32_e32 v7, vcc_lo, v7, v13, vcc_lo
	s_delay_alu instid0(VALU_DEP_3)
	v_mul_lo_u32 v10, v4, s8
	v_mad_u64_u32 v[4:5], null, v8, s8, 0
	s_add_u32 s8, s29, s20
	v_mul_lo_u32 v11, v8, s9
	s_addc_u32 s9, s30, s21
	v_add_co_u32 v6, vcc_lo, v0, v6
	s_add_u32 s0, s8, s0
	s_addc_u32 s1, s9, s1
	v_add_co_ci_u32_e32 v7, vcc_lo, v1, v7, vcc_lo
	s_add_u32 s0, s0, s17
	s_addc_u32 s1, s1, s16
	v_sub_co_u32 v6, vcc_lo, s0, v6
	s_delay_alu instid0(VALU_DEP_2) | instskip(SKIP_2) | instid1(VALU_DEP_3)
	v_sub_co_ci_u32_e32 v7, vcc_lo, s1, v7, vcc_lo
	v_sub_co_u32 v8, vcc_lo, v15, v9
	v_sub_co_ci_u32_e32 v9, vcc_lo, v14, v9, vcc_lo
	v_lshlrev_b64 v[6:7], 3, v[6:7]
	v_add3_u32 v5, v5, v11, v10
	v_lshlrev_b64 v[0:1], 3, v[0:1]
	s_delay_alu instid0(VALU_DEP_4) | instskip(NEXT) | instid1(VALU_DEP_4)
	v_lshlrev_b64 v[8:9], 3, v[8:9]
	v_add_co_u32 v6, vcc_lo, s4, v6
	v_add_co_ci_u32_e32 v7, vcc_lo, s5, v7, vcc_lo
	v_lshlrev_b64 v[4:5], 3, v[4:5]
	s_delay_alu instid0(VALU_DEP_3) | instskip(NEXT) | instid1(VALU_DEP_3)
	v_add_co_u32 v6, vcc_lo, v6, v8
	v_add_co_ci_u32_e32 v7, vcc_lo, v7, v9, vcc_lo
	s_delay_alu instid0(VALU_DEP_2) | instskip(NEXT) | instid1(VALU_DEP_2)
	v_add_co_u32 v4, vcc_lo, v6, v4
	v_add_co_ci_u32_e32 v5, vcc_lo, v7, v5, vcc_lo
	v_mad_u64_u32 v[6:7], null, s28, s2, v[2:3]
	global_load_b64 v[4:5], v[4:5], off
	v_mov_b32_e32 v2, v7
	s_delay_alu instid0(VALU_DEP_1) | instskip(SKIP_2) | instid1(VALU_DEP_3)
	v_mad_u64_u32 v[7:8], null, s27, s2, v[2:3]
	v_mul_lo_u32 v8, v6, s3
	v_mad_u64_u32 v[2:3], null, v6, s26, 0
	v_mul_lo_u32 v7, v7, s26
	s_delay_alu instid0(VALU_DEP_1) | instskip(NEXT) | instid1(VALU_DEP_1)
	v_add3_u32 v3, v3, v8, v7
	v_lshlrev_b64 v[2:3], 3, v[2:3]
	s_delay_alu instid0(VALU_DEP_1) | instskip(NEXT) | instid1(VALU_DEP_2)
	v_add_co_u32 v2, vcc_lo, s6, v2
	v_add_co_ci_u32_e32 v3, vcc_lo, s7, v3, vcc_lo
	s_delay_alu instid0(VALU_DEP_2) | instskip(NEXT) | instid1(VALU_DEP_2)
	v_add_co_u32 v0, vcc_lo, v2, v0
	v_add_co_ci_u32_e32 v1, vcc_lo, v3, v1, vcc_lo
	s_waitcnt vmcnt(0)
	global_store_b64 v[0:1], v[4:5], off
.LBB8_5:
	s_nop 0
	s_sendmsg sendmsg(MSG_DEALLOC_VGPRS)
	s_endpgm
.LBB8_6:
                                        ; implicit-def: $vgpr2_vgpr3
	s_branch .LBB8_3
	.section	.rodata,"a",@progbits
	.p2align	6, 0x0
	.amdhsa_kernel _ZN2at6native12_GLOBAL__N_127reflection_pad2d_out_kernelIN3c107complexIfEEEEvPKT_PS6_lliiiiiii
		.amdhsa_group_segment_fixed_size 0
		.amdhsa_private_segment_fixed_size 0
		.amdhsa_kernarg_size 320
		.amdhsa_user_sgpr_count 13
		.amdhsa_user_sgpr_dispatch_ptr 0
		.amdhsa_user_sgpr_queue_ptr 0
		.amdhsa_user_sgpr_kernarg_segment_ptr 1
		.amdhsa_user_sgpr_dispatch_id 0
		.amdhsa_user_sgpr_private_segment_size 0
		.amdhsa_wavefront_size32 1
		.amdhsa_uses_dynamic_stack 0
		.amdhsa_enable_private_segment 0
		.amdhsa_system_sgpr_workgroup_id_x 1
		.amdhsa_system_sgpr_workgroup_id_y 1
		.amdhsa_system_sgpr_workgroup_id_z 1
		.amdhsa_system_sgpr_workgroup_info 0
		.amdhsa_system_vgpr_workitem_id 0
		.amdhsa_next_free_vgpr 16
		.amdhsa_next_free_sgpr 34
		.amdhsa_reserve_vcc 1
		.amdhsa_float_round_mode_32 0
		.amdhsa_float_round_mode_16_64 0
		.amdhsa_float_denorm_mode_32 3
		.amdhsa_float_denorm_mode_16_64 3
		.amdhsa_dx10_clamp 1
		.amdhsa_ieee_mode 1
		.amdhsa_fp16_overflow 0
		.amdhsa_workgroup_processor_mode 1
		.amdhsa_memory_ordered 1
		.amdhsa_forward_progress 0
		.amdhsa_shared_vgpr_count 0
		.amdhsa_exception_fp_ieee_invalid_op 0
		.amdhsa_exception_fp_denorm_src 0
		.amdhsa_exception_fp_ieee_div_zero 0
		.amdhsa_exception_fp_ieee_overflow 0
		.amdhsa_exception_fp_ieee_underflow 0
		.amdhsa_exception_fp_ieee_inexact 0
		.amdhsa_exception_int_div_zero 0
	.end_amdhsa_kernel
	.section	.text._ZN2at6native12_GLOBAL__N_127reflection_pad2d_out_kernelIN3c107complexIfEEEEvPKT_PS6_lliiiiiii,"axG",@progbits,_ZN2at6native12_GLOBAL__N_127reflection_pad2d_out_kernelIN3c107complexIfEEEEvPKT_PS6_lliiiiiii,comdat
.Lfunc_end8:
	.size	_ZN2at6native12_GLOBAL__N_127reflection_pad2d_out_kernelIN3c107complexIfEEEEvPKT_PS6_lliiiiiii, .Lfunc_end8-_ZN2at6native12_GLOBAL__N_127reflection_pad2d_out_kernelIN3c107complexIfEEEEvPKT_PS6_lliiiiiii
                                        ; -- End function
	.section	.AMDGPU.csdata,"",@progbits
; Kernel info:
; codeLenInByte = 1892
; NumSgprs: 36
; NumVgprs: 16
; ScratchSize: 0
; MemoryBound: 0
; FloatMode: 240
; IeeeMode: 1
; LDSByteSize: 0 bytes/workgroup (compile time only)
; SGPRBlocks: 4
; VGPRBlocks: 1
; NumSGPRsForWavesPerEU: 36
; NumVGPRsForWavesPerEU: 16
; Occupancy: 16
; WaveLimiterHint : 0
; COMPUTE_PGM_RSRC2:SCRATCH_EN: 0
; COMPUTE_PGM_RSRC2:USER_SGPR: 13
; COMPUTE_PGM_RSRC2:TRAP_HANDLER: 0
; COMPUTE_PGM_RSRC2:TGID_X_EN: 1
; COMPUTE_PGM_RSRC2:TGID_Y_EN: 1
; COMPUTE_PGM_RSRC2:TGID_Z_EN: 1
; COMPUTE_PGM_RSRC2:TIDIG_COMP_CNT: 0
	.section	.text._ZN2at6native12_GLOBAL__N_127reflection_pad2d_out_kernelIN3c104HalfEEEvPKT_PS5_lliiiiiii,"axG",@progbits,_ZN2at6native12_GLOBAL__N_127reflection_pad2d_out_kernelIN3c104HalfEEEvPKT_PS5_lliiiiiii,comdat
	.globl	_ZN2at6native12_GLOBAL__N_127reflection_pad2d_out_kernelIN3c104HalfEEEvPKT_PS5_lliiiiiii ; -- Begin function _ZN2at6native12_GLOBAL__N_127reflection_pad2d_out_kernelIN3c104HalfEEEvPKT_PS5_lliiiiiii
	.p2align	8
	.type	_ZN2at6native12_GLOBAL__N_127reflection_pad2d_out_kernelIN3c104HalfEEEvPKT_PS5_lliiiiiii,@function
_ZN2at6native12_GLOBAL__N_127reflection_pad2d_out_kernelIN3c104HalfEEEvPKT_PS5_lliiiiiii: ; @_ZN2at6native12_GLOBAL__N_127reflection_pad2d_out_kernelIN3c104HalfEEEvPKT_PS5_lliiiiiii
; %bb.0:
	s_clause 0x2
	s_load_b32 s2, s[0:1], 0x4c
	s_load_b128 s[16:19], s[0:1], 0x20
	s_load_b256 s[4:11], s[0:1], 0x0
	s_waitcnt lgkmcnt(0)
	s_and_b32 s2, s2, 0xffff
	s_ashr_i32 s21, s18, 31
	s_add_u32 s29, s18, s8
	v_mad_u64_u32 v[1:2], null, s13, s2, v[0:1]
	s_addc_u32 s30, s21, s9
	s_ashr_i32 s2, s19, 31
	s_add_u32 s26, s29, s19
	s_addc_u32 s3, s30, s2
	s_ashr_i32 s13, s16, 31
	s_add_u32 s31, s16, s10
	;; [unrolled: 3-line block ×3, first 2 shown]
	s_addc_u32 s27, s33, s2
	s_mul_hi_u32 s2, s26, s28
	s_mul_i32 s12, s26, s27
	v_mov_b32_e32 v2, 0
	s_mul_i32 s17, s3, s28
	s_add_i32 s2, s2, s12
	s_mul_i32 s22, s26, s28
	s_add_i32 s23, s2, s17
	s_mov_b32 s2, exec_lo
	v_cmpx_gt_i64_e64 s[22:23], v[1:2]
	s_cbranch_execz .LBB9_5
; %bb.1:
	s_mov_b32 s20, s18
	s_mov_b32 s12, s16
	s_load_b128 s[16:19], s[0:1], 0x30
	s_mov_b32 s2, 0
	s_delay_alu instid0(SALU_CYCLE_1)
	s_cmp_lg_u64 s[2:3], 0
	s_cbranch_scc0 .LBB9_6
; %bb.2:
	s_ashr_i32 s22, s3, 31
	s_delay_alu instid0(SALU_CYCLE_1) | instskip(SKIP_2) | instid1(SALU_CYCLE_1)
	s_add_u32 s0, s26, s22
	s_mov_b32 s23, s22
	s_addc_u32 s1, s3, s22
	s_xor_b64 s[24:25], s[0:1], s[22:23]
	s_delay_alu instid0(SALU_CYCLE_1) | instskip(SKIP_3) | instid1(VALU_DEP_1)
	v_cvt_f32_u32_e32 v0, s24
	v_cvt_f32_u32_e32 v2, s25
	s_sub_u32 s0, 0, s24
	s_subb_u32 s1, 0, s25
	v_fmamk_f32 v0, v2, 0x4f800000, v0
	s_delay_alu instid0(VALU_DEP_1) | instskip(SKIP_2) | instid1(VALU_DEP_1)
	v_rcp_f32_e32 v0, v0
	s_waitcnt_depctr 0xfff
	v_mul_f32_e32 v0, 0x5f7ffffc, v0
	v_mul_f32_e32 v2, 0x2f800000, v0
	s_delay_alu instid0(VALU_DEP_1) | instskip(NEXT) | instid1(VALU_DEP_1)
	v_trunc_f32_e32 v2, v2
	v_fmamk_f32 v0, v2, 0xcf800000, v0
	v_cvt_u32_f32_e32 v2, v2
	s_delay_alu instid0(VALU_DEP_2) | instskip(NEXT) | instid1(VALU_DEP_2)
	v_cvt_u32_f32_e32 v0, v0
	v_mul_lo_u32 v3, s0, v2
	s_delay_alu instid0(VALU_DEP_2) | instskip(SKIP_1) | instid1(VALU_DEP_2)
	v_mul_hi_u32 v4, s0, v0
	v_mul_lo_u32 v5, s1, v0
	v_add_nc_u32_e32 v3, v4, v3
	v_mul_lo_u32 v4, s0, v0
	s_delay_alu instid0(VALU_DEP_2) | instskip(NEXT) | instid1(VALU_DEP_2)
	v_add_nc_u32_e32 v3, v3, v5
	v_mul_hi_u32 v5, v0, v4
	s_delay_alu instid0(VALU_DEP_2)
	v_mul_lo_u32 v6, v0, v3
	v_mul_hi_u32 v7, v0, v3
	v_mul_hi_u32 v8, v2, v4
	v_mul_lo_u32 v4, v2, v4
	v_mul_hi_u32 v9, v2, v3
	v_mul_lo_u32 v3, v2, v3
	v_add_co_u32 v5, vcc_lo, v5, v6
	v_add_co_ci_u32_e32 v6, vcc_lo, 0, v7, vcc_lo
	s_delay_alu instid0(VALU_DEP_2) | instskip(NEXT) | instid1(VALU_DEP_2)
	v_add_co_u32 v4, vcc_lo, v5, v4
	v_add_co_ci_u32_e32 v4, vcc_lo, v6, v8, vcc_lo
	v_add_co_ci_u32_e32 v5, vcc_lo, 0, v9, vcc_lo
	v_ashrrev_i32_e64 v8, 31, 0
	s_delay_alu instid0(VALU_DEP_3) | instskip(NEXT) | instid1(VALU_DEP_3)
	v_add_co_u32 v3, vcc_lo, v4, v3
	v_add_co_ci_u32_e32 v4, vcc_lo, 0, v5, vcc_lo
	s_delay_alu instid0(VALU_DEP_2) | instskip(NEXT) | instid1(VALU_DEP_2)
	v_add_co_u32 v0, vcc_lo, v0, v3
	v_add_co_ci_u32_e32 v2, vcc_lo, v2, v4, vcc_lo
	s_delay_alu instid0(VALU_DEP_2) | instskip(SKIP_1) | instid1(VALU_DEP_3)
	v_mul_hi_u32 v3, s0, v0
	v_mul_lo_u32 v5, s1, v0
	v_mul_lo_u32 v4, s0, v2
	s_delay_alu instid0(VALU_DEP_1) | instskip(SKIP_1) | instid1(VALU_DEP_2)
	v_add_nc_u32_e32 v3, v3, v4
	v_mul_lo_u32 v4, s0, v0
	v_add_nc_u32_e32 v3, v3, v5
	s_delay_alu instid0(VALU_DEP_2) | instskip(NEXT) | instid1(VALU_DEP_2)
	v_mul_hi_u32 v5, v0, v4
	v_mul_lo_u32 v6, v0, v3
	v_mul_hi_u32 v7, v0, v3
	v_mul_hi_u32 v9, v2, v4
	v_mul_lo_u32 v4, v2, v4
	v_mul_hi_u32 v10, v2, v3
	v_mul_lo_u32 v3, v2, v3
	v_add_co_u32 v5, vcc_lo, v5, v6
	v_add_co_ci_u32_e32 v6, vcc_lo, 0, v7, vcc_lo
	s_delay_alu instid0(VALU_DEP_2) | instskip(NEXT) | instid1(VALU_DEP_2)
	v_add_co_u32 v4, vcc_lo, v5, v4
	v_add_co_ci_u32_e32 v4, vcc_lo, v6, v9, vcc_lo
	v_add_co_ci_u32_e32 v5, vcc_lo, 0, v10, vcc_lo
	v_add_co_u32 v6, vcc_lo, v1, v8
	v_add_co_ci_u32_e32 v7, vcc_lo, 0, v8, vcc_lo
	s_delay_alu instid0(VALU_DEP_4) | instskip(NEXT) | instid1(VALU_DEP_4)
	v_add_co_u32 v3, vcc_lo, v4, v3
	v_add_co_ci_u32_e32 v4, vcc_lo, 0, v5, vcc_lo
	s_delay_alu instid0(VALU_DEP_4) | instskip(NEXT) | instid1(VALU_DEP_3)
	v_xor_b32_e32 v9, v6, v8
	v_add_co_u32 v0, vcc_lo, v0, v3
	s_delay_alu instid0(VALU_DEP_3) | instskip(SKIP_1) | instid1(VALU_DEP_3)
	v_add_co_ci_u32_e32 v10, vcc_lo, v2, v4, vcc_lo
	v_xor_b32_e32 v11, v7, v8
	v_mul_hi_u32 v12, v9, v0
	s_delay_alu instid0(VALU_DEP_3) | instskip(NEXT) | instid1(VALU_DEP_3)
	v_mad_u64_u32 v[2:3], null, v9, v10, 0
	v_mad_u64_u32 v[4:5], null, v11, v0, 0
	v_mad_u64_u32 v[6:7], null, v11, v10, 0
	s_delay_alu instid0(VALU_DEP_3) | instskip(NEXT) | instid1(VALU_DEP_4)
	v_add_co_u32 v0, vcc_lo, v12, v2
	v_add_co_ci_u32_e32 v2, vcc_lo, 0, v3, vcc_lo
	s_delay_alu instid0(VALU_DEP_2) | instskip(NEXT) | instid1(VALU_DEP_2)
	v_add_co_u32 v0, vcc_lo, v0, v4
	v_add_co_ci_u32_e32 v0, vcc_lo, v2, v5, vcc_lo
	v_add_co_ci_u32_e32 v2, vcc_lo, 0, v7, vcc_lo
	s_delay_alu instid0(VALU_DEP_2) | instskip(NEXT) | instid1(VALU_DEP_2)
	v_add_co_u32 v0, vcc_lo, v0, v6
	v_add_co_ci_u32_e32 v4, vcc_lo, 0, v2, vcc_lo
	s_delay_alu instid0(VALU_DEP_2) | instskip(SKIP_1) | instid1(VALU_DEP_3)
	v_mul_lo_u32 v5, s25, v0
	v_mad_u64_u32 v[2:3], null, s24, v0, 0
	v_mul_lo_u32 v6, s24, v4
	s_delay_alu instid0(VALU_DEP_2) | instskip(NEXT) | instid1(VALU_DEP_2)
	v_sub_co_u32 v2, vcc_lo, v9, v2
	v_add3_u32 v3, v3, v6, v5
	s_delay_alu instid0(VALU_DEP_1) | instskip(NEXT) | instid1(VALU_DEP_1)
	v_sub_nc_u32_e32 v5, v11, v3
	v_subrev_co_ci_u32_e64 v5, s0, s25, v5, vcc_lo
	v_add_co_u32 v6, s0, v0, 2
	s_delay_alu instid0(VALU_DEP_1) | instskip(SKIP_3) | instid1(VALU_DEP_3)
	v_add_co_ci_u32_e64 v7, s0, 0, v4, s0
	v_sub_co_u32 v9, s0, v2, s24
	v_sub_co_ci_u32_e32 v3, vcc_lo, v11, v3, vcc_lo
	v_subrev_co_ci_u32_e64 v5, s0, 0, v5, s0
	v_cmp_le_u32_e32 vcc_lo, s24, v9
	s_delay_alu instid0(VALU_DEP_3) | instskip(SKIP_1) | instid1(VALU_DEP_4)
	v_cmp_eq_u32_e64 s0, s25, v3
	v_cndmask_b32_e64 v9, 0, -1, vcc_lo
	v_cmp_le_u32_e32 vcc_lo, s25, v5
	v_cndmask_b32_e64 v10, 0, -1, vcc_lo
	v_cmp_le_u32_e32 vcc_lo, s24, v2
	;; [unrolled: 2-line block ×3, first 2 shown]
	v_cndmask_b32_e64 v11, 0, -1, vcc_lo
	v_cmp_eq_u32_e32 vcc_lo, s25, v5
	s_delay_alu instid0(VALU_DEP_2) | instskip(SKIP_3) | instid1(VALU_DEP_3)
	v_cndmask_b32_e64 v2, v11, v2, s0
	v_cndmask_b32_e32 v5, v10, v9, vcc_lo
	v_add_co_u32 v9, vcc_lo, v0, 1
	v_add_co_ci_u32_e32 v10, vcc_lo, 0, v4, vcc_lo
	v_cmp_ne_u32_e32 vcc_lo, 0, v5
	s_delay_alu instid0(VALU_DEP_3) | instskip(NEXT) | instid1(VALU_DEP_3)
	v_cndmask_b32_e32 v5, v9, v6, vcc_lo
	v_cndmask_b32_e32 v3, v10, v7, vcc_lo
	v_cmp_ne_u32_e32 vcc_lo, 0, v2
	v_xor_b32_e32 v6, s22, v8
	s_delay_alu instid0(VALU_DEP_4) | instskip(NEXT) | instid1(VALU_DEP_4)
	v_cndmask_b32_e32 v0, v0, v5, vcc_lo
	v_cndmask_b32_e32 v2, v4, v3, vcc_lo
	s_delay_alu instid0(VALU_DEP_2) | instskip(NEXT) | instid1(VALU_DEP_2)
	v_xor_b32_e32 v0, v0, v6
	v_xor_b32_e32 v3, v2, v6
	s_delay_alu instid0(VALU_DEP_2) | instskip(NEXT) | instid1(VALU_DEP_2)
	v_sub_co_u32 v2, vcc_lo, v0, v6
	v_sub_co_ci_u32_e32 v3, vcc_lo, v3, v6, vcc_lo
	s_and_not1_b32 vcc_lo, exec_lo, s2
	s_cbranch_vccnz .LBB9_4
.LBB9_3:
	v_cvt_f32_u32_e32 v0, s26
	s_sub_i32 s0, 0, s26
	s_delay_alu instid0(VALU_DEP_1) | instskip(SKIP_2) | instid1(VALU_DEP_1)
	v_rcp_iflag_f32_e32 v0, v0
	s_waitcnt_depctr 0xfff
	v_mul_f32_e32 v0, 0x4f7ffffe, v0
	v_cvt_u32_f32_e32 v0, v0
	s_delay_alu instid0(VALU_DEP_1) | instskip(NEXT) | instid1(VALU_DEP_1)
	v_mul_lo_u32 v2, s0, v0
	v_mul_hi_u32 v2, v0, v2
	s_delay_alu instid0(VALU_DEP_1) | instskip(NEXT) | instid1(VALU_DEP_1)
	v_add_nc_u32_e32 v0, v0, v2
	v_mul_hi_u32 v0, v1, v0
	s_delay_alu instid0(VALU_DEP_1) | instskip(SKIP_1) | instid1(VALU_DEP_2)
	v_mul_lo_u32 v2, v0, s26
	v_add_nc_u32_e32 v3, 1, v0
	v_sub_nc_u32_e32 v2, v1, v2
	s_delay_alu instid0(VALU_DEP_1) | instskip(SKIP_1) | instid1(VALU_DEP_2)
	v_subrev_nc_u32_e32 v4, s26, v2
	v_cmp_le_u32_e32 vcc_lo, s26, v2
	v_cndmask_b32_e32 v2, v2, v4, vcc_lo
	v_cndmask_b32_e32 v0, v0, v3, vcc_lo
	s_delay_alu instid0(VALU_DEP_2) | instskip(NEXT) | instid1(VALU_DEP_2)
	v_cmp_le_u32_e32 vcc_lo, s26, v2
	v_add_nc_u32_e32 v3, 1, v0
	s_delay_alu instid0(VALU_DEP_1)
	v_dual_cndmask_b32 v2, v0, v3 :: v_dual_mov_b32 v3, 0
.LBB9_4:
	s_delay_alu instid0(VALU_DEP_1) | instskip(NEXT) | instid1(VALU_DEP_2)
	v_mul_lo_u32 v0, v3, s26
	v_mul_lo_u32 v6, v2, s3
	v_mad_u64_u32 v[4:5], null, v2, s26, 0
	s_sub_u32 s0, 0, s12
	s_subb_u32 s1, 0, s13
	s_sub_u32 s22, 0, s20
	s_subb_u32 s23, 0, s21
	s_waitcnt lgkmcnt(0)
	s_add_i32 s2, s15, s17
	s_add_i32 s14, s14, s16
	v_add3_u32 v5, v5, v6, v0
	v_sub_co_u32 v0, vcc_lo, v1, v4
	s_mul_i32 s2, s2, s18
	s_delay_alu instid0(VALU_DEP_2) | instskip(NEXT) | instid1(VALU_DEP_2)
	v_sub_co_ci_u32_e32 v1, vcc_lo, 0, v5, vcc_lo
	v_sub_co_u32 v4, vcc_lo, v0, s20
	s_add_i32 s2, s14, s2
	s_delay_alu instid0(VALU_DEP_2) | instskip(SKIP_2) | instid1(VALU_DEP_3)
	v_subrev_co_ci_u32_e32 v5, vcc_lo, s21, v1, vcc_lo
	v_sub_co_u32 v6, vcc_lo, v0, s29
	v_subrev_co_ci_u32_e32 v7, vcc_lo, s30, v1, vcc_lo
	v_ashrrev_i32_e32 v9, 31, v5
	s_delay_alu instid0(VALU_DEP_3) | instskip(NEXT) | instid1(VALU_DEP_3)
	v_add_co_u32 v6, vcc_lo, v6, 1
	v_add_co_ci_u32_e32 v7, vcc_lo, 0, v7, vcc_lo
	v_sub_co_u32 v8, vcc_lo, v2, s31
	v_subrev_co_ci_u32_e32 v10, vcc_lo, s33, v3, vcc_lo
	v_sub_co_u32 v11, vcc_lo, v2, s12
	v_subrev_co_ci_u32_e32 v12, vcc_lo, s13, v3, vcc_lo
	s_mul_i32 s11, s2, s11
	s_mul_hi_u32 s14, s2, s10
	v_add_co_u32 v8, vcc_lo, v8, 1
	s_mul_i32 s15, s2, s10
	v_cmp_gt_i64_e64 s10, s[22:23], 0
	s_add_i32 s14, s14, s11
	v_cmp_gt_i64_e64 s11, s[0:1], 0
	v_add_co_ci_u32_e32 v10, vcc_lo, 0, v10, vcc_lo
	v_xor_b32_e32 v14, v5, v9
	v_ashrrev_i32_e32 v5, 31, v12
	s_and_b32 s10, s10, exec_lo
	v_xor_b32_e32 v15, v4, v9
	v_ashrrev_i32_e32 v4, 31, v10
	s_cselect_b32 s16, s23, 0
	v_cmp_gt_i64_e64 s10, s[20:21], 0
	s_cselect_b32 s17, s22, 0
	s_and_b32 s11, s11, exec_lo
	v_cmp_gt_i64_e64 s11, s[12:13], 0
	v_xor_b32_e32 v11, v11, v5
	v_xor_b32_e32 v12, v12, v5
	v_xor_b32_e32 v8, v8, v4
	s_cselect_b32 s18, s1, 0
	s_cselect_b32 s19, s0, 0
	s_and_b32 s0, s10, exec_lo
	v_xor_b32_e32 v10, v10, v4
	v_sub_co_u32 v11, vcc_lo, v11, v5
	s_cselect_b32 s1, s21, 0
	s_cselect_b32 s0, s20, 0
	s_and_b32 s10, s11, exec_lo
	s_cselect_b32 s11, s13, 0
	s_cselect_b32 s10, s12, 0
	v_sub_co_ci_u32_e32 v5, vcc_lo, v12, v5, vcc_lo
	v_sub_co_u32 v8, vcc_lo, v8, v4
	s_not_b64 s[0:1], s[0:1]
	s_not_b64 s[10:11], s[10:11]
	v_sub_co_ci_u32_e32 v4, vcc_lo, v10, v4, vcc_lo
	s_add_u32 s12, s31, s12
	s_addc_u32 s13, s33, s13
	s_add_u32 s10, s12, s10
	s_addc_u32 s11, s13, s11
	v_add_co_u32 v8, vcc_lo, v2, v8
	s_add_u32 s10, s10, s19
	s_addc_u32 s11, s11, s18
	v_add_co_ci_u32_e32 v4, vcc_lo, v3, v4, vcc_lo
	v_ashrrev_i32_e32 v13, 31, v7
	s_add_u32 s10, s10, s15
	s_addc_u32 s11, s11, s14
	v_sub_co_u32 v8, vcc_lo, s10, v8
	v_sub_co_ci_u32_e32 v4, vcc_lo, s11, v4, vcc_lo
	v_xor_b32_e32 v6, v6, v13
	v_xor_b32_e32 v7, v7, v13
	s_delay_alu instid0(VALU_DEP_4) | instskip(NEXT) | instid1(VALU_DEP_4)
	v_add_co_u32 v8, vcc_lo, v8, v11
	v_add_co_ci_u32_e32 v4, vcc_lo, v4, v5, vcc_lo
	s_delay_alu instid0(VALU_DEP_4) | instskip(NEXT) | instid1(VALU_DEP_4)
	v_sub_co_u32 v6, vcc_lo, v6, v13
	v_sub_co_ci_u32_e32 v7, vcc_lo, v7, v13, vcc_lo
	s_delay_alu instid0(VALU_DEP_3)
	v_mul_lo_u32 v10, v4, s8
	v_mad_u64_u32 v[4:5], null, v8, s8, 0
	s_add_u32 s8, s29, s20
	v_mul_lo_u32 v11, v8, s9
	s_addc_u32 s9, s30, s21
	v_add_co_u32 v6, vcc_lo, v0, v6
	s_add_u32 s0, s8, s0
	s_addc_u32 s1, s9, s1
	v_add_co_ci_u32_e32 v7, vcc_lo, v1, v7, vcc_lo
	s_add_u32 s0, s0, s17
	s_addc_u32 s1, s1, s16
	v_sub_co_u32 v6, vcc_lo, s0, v6
	s_delay_alu instid0(VALU_DEP_2) | instskip(SKIP_2) | instid1(VALU_DEP_3)
	v_sub_co_ci_u32_e32 v7, vcc_lo, s1, v7, vcc_lo
	v_sub_co_u32 v8, vcc_lo, v15, v9
	v_sub_co_ci_u32_e32 v9, vcc_lo, v14, v9, vcc_lo
	v_lshlrev_b64 v[6:7], 1, v[6:7]
	v_add3_u32 v5, v5, v11, v10
	v_lshlrev_b64 v[0:1], 1, v[0:1]
	s_delay_alu instid0(VALU_DEP_4) | instskip(NEXT) | instid1(VALU_DEP_4)
	v_lshlrev_b64 v[8:9], 1, v[8:9]
	v_add_co_u32 v6, vcc_lo, s4, v6
	v_add_co_ci_u32_e32 v7, vcc_lo, s5, v7, vcc_lo
	v_lshlrev_b64 v[4:5], 1, v[4:5]
	s_delay_alu instid0(VALU_DEP_3) | instskip(NEXT) | instid1(VALU_DEP_3)
	v_add_co_u32 v6, vcc_lo, v6, v8
	v_add_co_ci_u32_e32 v7, vcc_lo, v7, v9, vcc_lo
	s_delay_alu instid0(VALU_DEP_2) | instskip(NEXT) | instid1(VALU_DEP_2)
	v_add_co_u32 v4, vcc_lo, v6, v4
	v_add_co_ci_u32_e32 v5, vcc_lo, v7, v5, vcc_lo
	global_load_u16 v7, v[4:5], off
	v_mad_u64_u32 v[4:5], null, s28, s2, v[2:3]
	s_delay_alu instid0(VALU_DEP_1) | instskip(NEXT) | instid1(VALU_DEP_1)
	v_mov_b32_e32 v2, v5
	v_mad_u64_u32 v[5:6], null, s27, s2, v[2:3]
	s_delay_alu instid0(VALU_DEP_3) | instskip(SKIP_1) | instid1(VALU_DEP_3)
	v_mul_lo_u32 v6, v4, s3
	v_mad_u64_u32 v[2:3], null, v4, s26, 0
	v_mul_lo_u32 v5, v5, s26
	s_delay_alu instid0(VALU_DEP_1) | instskip(NEXT) | instid1(VALU_DEP_1)
	v_add3_u32 v3, v3, v6, v5
	v_lshlrev_b64 v[2:3], 1, v[2:3]
	s_delay_alu instid0(VALU_DEP_1) | instskip(NEXT) | instid1(VALU_DEP_2)
	v_add_co_u32 v2, vcc_lo, s6, v2
	v_add_co_ci_u32_e32 v3, vcc_lo, s7, v3, vcc_lo
	s_delay_alu instid0(VALU_DEP_2) | instskip(NEXT) | instid1(VALU_DEP_2)
	v_add_co_u32 v0, vcc_lo, v2, v0
	v_add_co_ci_u32_e32 v1, vcc_lo, v3, v1, vcc_lo
	s_waitcnt vmcnt(0)
	global_store_b16 v[0:1], v7, off
.LBB9_5:
	s_nop 0
	s_sendmsg sendmsg(MSG_DEALLOC_VGPRS)
	s_endpgm
.LBB9_6:
                                        ; implicit-def: $vgpr2_vgpr3
	s_branch .LBB9_3
	.section	.rodata,"a",@progbits
	.p2align	6, 0x0
	.amdhsa_kernel _ZN2at6native12_GLOBAL__N_127reflection_pad2d_out_kernelIN3c104HalfEEEvPKT_PS5_lliiiiiii
		.amdhsa_group_segment_fixed_size 0
		.amdhsa_private_segment_fixed_size 0
		.amdhsa_kernarg_size 320
		.amdhsa_user_sgpr_count 13
		.amdhsa_user_sgpr_dispatch_ptr 0
		.amdhsa_user_sgpr_queue_ptr 0
		.amdhsa_user_sgpr_kernarg_segment_ptr 1
		.amdhsa_user_sgpr_dispatch_id 0
		.amdhsa_user_sgpr_private_segment_size 0
		.amdhsa_wavefront_size32 1
		.amdhsa_uses_dynamic_stack 0
		.amdhsa_enable_private_segment 0
		.amdhsa_system_sgpr_workgroup_id_x 1
		.amdhsa_system_sgpr_workgroup_id_y 1
		.amdhsa_system_sgpr_workgroup_id_z 1
		.amdhsa_system_sgpr_workgroup_info 0
		.amdhsa_system_vgpr_workitem_id 0
		.amdhsa_next_free_vgpr 16
		.amdhsa_next_free_sgpr 34
		.amdhsa_reserve_vcc 1
		.amdhsa_float_round_mode_32 0
		.amdhsa_float_round_mode_16_64 0
		.amdhsa_float_denorm_mode_32 3
		.amdhsa_float_denorm_mode_16_64 3
		.amdhsa_dx10_clamp 1
		.amdhsa_ieee_mode 1
		.amdhsa_fp16_overflow 0
		.amdhsa_workgroup_processor_mode 1
		.amdhsa_memory_ordered 1
		.amdhsa_forward_progress 0
		.amdhsa_shared_vgpr_count 0
		.amdhsa_exception_fp_ieee_invalid_op 0
		.amdhsa_exception_fp_denorm_src 0
		.amdhsa_exception_fp_ieee_div_zero 0
		.amdhsa_exception_fp_ieee_overflow 0
		.amdhsa_exception_fp_ieee_underflow 0
		.amdhsa_exception_fp_ieee_inexact 0
		.amdhsa_exception_int_div_zero 0
	.end_amdhsa_kernel
	.section	.text._ZN2at6native12_GLOBAL__N_127reflection_pad2d_out_kernelIN3c104HalfEEEvPKT_PS5_lliiiiiii,"axG",@progbits,_ZN2at6native12_GLOBAL__N_127reflection_pad2d_out_kernelIN3c104HalfEEEvPKT_PS5_lliiiiiii,comdat
.Lfunc_end9:
	.size	_ZN2at6native12_GLOBAL__N_127reflection_pad2d_out_kernelIN3c104HalfEEEvPKT_PS5_lliiiiiii, .Lfunc_end9-_ZN2at6native12_GLOBAL__N_127reflection_pad2d_out_kernelIN3c104HalfEEEvPKT_PS5_lliiiiiii
                                        ; -- End function
	.section	.AMDGPU.csdata,"",@progbits
; Kernel info:
; codeLenInByte = 1896
; NumSgprs: 36
; NumVgprs: 16
; ScratchSize: 0
; MemoryBound: 0
; FloatMode: 240
; IeeeMode: 1
; LDSByteSize: 0 bytes/workgroup (compile time only)
; SGPRBlocks: 4
; VGPRBlocks: 1
; NumSGPRsForWavesPerEU: 36
; NumVGPRsForWavesPerEU: 16
; Occupancy: 16
; WaveLimiterHint : 0
; COMPUTE_PGM_RSRC2:SCRATCH_EN: 0
; COMPUTE_PGM_RSRC2:USER_SGPR: 13
; COMPUTE_PGM_RSRC2:TRAP_HANDLER: 0
; COMPUTE_PGM_RSRC2:TGID_X_EN: 1
; COMPUTE_PGM_RSRC2:TGID_Y_EN: 1
; COMPUTE_PGM_RSRC2:TGID_Z_EN: 1
; COMPUTE_PGM_RSRC2:TIDIG_COMP_CNT: 0
	.section	.text._ZN2at6native12_GLOBAL__N_127reflection_pad2d_out_kernelIN3c108BFloat16EEEvPKT_PS5_lliiiiiii,"axG",@progbits,_ZN2at6native12_GLOBAL__N_127reflection_pad2d_out_kernelIN3c108BFloat16EEEvPKT_PS5_lliiiiiii,comdat
	.globl	_ZN2at6native12_GLOBAL__N_127reflection_pad2d_out_kernelIN3c108BFloat16EEEvPKT_PS5_lliiiiiii ; -- Begin function _ZN2at6native12_GLOBAL__N_127reflection_pad2d_out_kernelIN3c108BFloat16EEEvPKT_PS5_lliiiiiii
	.p2align	8
	.type	_ZN2at6native12_GLOBAL__N_127reflection_pad2d_out_kernelIN3c108BFloat16EEEvPKT_PS5_lliiiiiii,@function
_ZN2at6native12_GLOBAL__N_127reflection_pad2d_out_kernelIN3c108BFloat16EEEvPKT_PS5_lliiiiiii: ; @_ZN2at6native12_GLOBAL__N_127reflection_pad2d_out_kernelIN3c108BFloat16EEEvPKT_PS5_lliiiiiii
; %bb.0:
	s_clause 0x2
	s_load_b32 s2, s[0:1], 0x4c
	s_load_b128 s[16:19], s[0:1], 0x20
	s_load_b256 s[4:11], s[0:1], 0x0
	s_waitcnt lgkmcnt(0)
	s_and_b32 s2, s2, 0xffff
	s_ashr_i32 s21, s18, 31
	s_add_u32 s29, s18, s8
	v_mad_u64_u32 v[1:2], null, s13, s2, v[0:1]
	s_addc_u32 s30, s21, s9
	s_ashr_i32 s2, s19, 31
	s_add_u32 s26, s29, s19
	s_addc_u32 s3, s30, s2
	s_ashr_i32 s13, s16, 31
	s_add_u32 s31, s16, s10
	;; [unrolled: 3-line block ×3, first 2 shown]
	s_addc_u32 s27, s33, s2
	s_mul_hi_u32 s2, s26, s28
	s_mul_i32 s12, s26, s27
	v_mov_b32_e32 v2, 0
	s_mul_i32 s17, s3, s28
	s_add_i32 s2, s2, s12
	s_mul_i32 s22, s26, s28
	s_add_i32 s23, s2, s17
	s_mov_b32 s2, exec_lo
	v_cmpx_gt_i64_e64 s[22:23], v[1:2]
	s_cbranch_execz .LBB10_5
; %bb.1:
	s_mov_b32 s20, s18
	s_mov_b32 s12, s16
	s_load_b128 s[16:19], s[0:1], 0x30
	s_mov_b32 s2, 0
	s_delay_alu instid0(SALU_CYCLE_1)
	s_cmp_lg_u64 s[2:3], 0
	s_cbranch_scc0 .LBB10_6
; %bb.2:
	s_ashr_i32 s22, s3, 31
	s_delay_alu instid0(SALU_CYCLE_1) | instskip(SKIP_2) | instid1(SALU_CYCLE_1)
	s_add_u32 s0, s26, s22
	s_mov_b32 s23, s22
	s_addc_u32 s1, s3, s22
	s_xor_b64 s[24:25], s[0:1], s[22:23]
	s_delay_alu instid0(SALU_CYCLE_1) | instskip(SKIP_3) | instid1(VALU_DEP_1)
	v_cvt_f32_u32_e32 v0, s24
	v_cvt_f32_u32_e32 v2, s25
	s_sub_u32 s0, 0, s24
	s_subb_u32 s1, 0, s25
	v_fmamk_f32 v0, v2, 0x4f800000, v0
	s_delay_alu instid0(VALU_DEP_1) | instskip(SKIP_2) | instid1(VALU_DEP_1)
	v_rcp_f32_e32 v0, v0
	s_waitcnt_depctr 0xfff
	v_mul_f32_e32 v0, 0x5f7ffffc, v0
	v_mul_f32_e32 v2, 0x2f800000, v0
	s_delay_alu instid0(VALU_DEP_1) | instskip(NEXT) | instid1(VALU_DEP_1)
	v_trunc_f32_e32 v2, v2
	v_fmamk_f32 v0, v2, 0xcf800000, v0
	v_cvt_u32_f32_e32 v2, v2
	s_delay_alu instid0(VALU_DEP_2) | instskip(NEXT) | instid1(VALU_DEP_2)
	v_cvt_u32_f32_e32 v0, v0
	v_mul_lo_u32 v3, s0, v2
	s_delay_alu instid0(VALU_DEP_2) | instskip(SKIP_1) | instid1(VALU_DEP_2)
	v_mul_hi_u32 v4, s0, v0
	v_mul_lo_u32 v5, s1, v0
	v_add_nc_u32_e32 v3, v4, v3
	v_mul_lo_u32 v4, s0, v0
	s_delay_alu instid0(VALU_DEP_2) | instskip(NEXT) | instid1(VALU_DEP_2)
	v_add_nc_u32_e32 v3, v3, v5
	v_mul_hi_u32 v5, v0, v4
	s_delay_alu instid0(VALU_DEP_2)
	v_mul_lo_u32 v6, v0, v3
	v_mul_hi_u32 v7, v0, v3
	v_mul_hi_u32 v8, v2, v4
	v_mul_lo_u32 v4, v2, v4
	v_mul_hi_u32 v9, v2, v3
	v_mul_lo_u32 v3, v2, v3
	v_add_co_u32 v5, vcc_lo, v5, v6
	v_add_co_ci_u32_e32 v6, vcc_lo, 0, v7, vcc_lo
	s_delay_alu instid0(VALU_DEP_2) | instskip(NEXT) | instid1(VALU_DEP_2)
	v_add_co_u32 v4, vcc_lo, v5, v4
	v_add_co_ci_u32_e32 v4, vcc_lo, v6, v8, vcc_lo
	v_add_co_ci_u32_e32 v5, vcc_lo, 0, v9, vcc_lo
	v_ashrrev_i32_e64 v8, 31, 0
	s_delay_alu instid0(VALU_DEP_3) | instskip(NEXT) | instid1(VALU_DEP_3)
	v_add_co_u32 v3, vcc_lo, v4, v3
	v_add_co_ci_u32_e32 v4, vcc_lo, 0, v5, vcc_lo
	s_delay_alu instid0(VALU_DEP_2) | instskip(NEXT) | instid1(VALU_DEP_2)
	v_add_co_u32 v0, vcc_lo, v0, v3
	v_add_co_ci_u32_e32 v2, vcc_lo, v2, v4, vcc_lo
	s_delay_alu instid0(VALU_DEP_2) | instskip(SKIP_1) | instid1(VALU_DEP_3)
	v_mul_hi_u32 v3, s0, v0
	v_mul_lo_u32 v5, s1, v0
	v_mul_lo_u32 v4, s0, v2
	s_delay_alu instid0(VALU_DEP_1) | instskip(SKIP_1) | instid1(VALU_DEP_2)
	v_add_nc_u32_e32 v3, v3, v4
	v_mul_lo_u32 v4, s0, v0
	v_add_nc_u32_e32 v3, v3, v5
	s_delay_alu instid0(VALU_DEP_2) | instskip(NEXT) | instid1(VALU_DEP_2)
	v_mul_hi_u32 v5, v0, v4
	v_mul_lo_u32 v6, v0, v3
	v_mul_hi_u32 v7, v0, v3
	v_mul_hi_u32 v9, v2, v4
	v_mul_lo_u32 v4, v2, v4
	v_mul_hi_u32 v10, v2, v3
	v_mul_lo_u32 v3, v2, v3
	v_add_co_u32 v5, vcc_lo, v5, v6
	v_add_co_ci_u32_e32 v6, vcc_lo, 0, v7, vcc_lo
	s_delay_alu instid0(VALU_DEP_2) | instskip(NEXT) | instid1(VALU_DEP_2)
	v_add_co_u32 v4, vcc_lo, v5, v4
	v_add_co_ci_u32_e32 v4, vcc_lo, v6, v9, vcc_lo
	v_add_co_ci_u32_e32 v5, vcc_lo, 0, v10, vcc_lo
	v_add_co_u32 v6, vcc_lo, v1, v8
	v_add_co_ci_u32_e32 v7, vcc_lo, 0, v8, vcc_lo
	s_delay_alu instid0(VALU_DEP_4) | instskip(NEXT) | instid1(VALU_DEP_4)
	v_add_co_u32 v3, vcc_lo, v4, v3
	v_add_co_ci_u32_e32 v4, vcc_lo, 0, v5, vcc_lo
	s_delay_alu instid0(VALU_DEP_4) | instskip(NEXT) | instid1(VALU_DEP_3)
	v_xor_b32_e32 v9, v6, v8
	v_add_co_u32 v0, vcc_lo, v0, v3
	s_delay_alu instid0(VALU_DEP_3) | instskip(SKIP_1) | instid1(VALU_DEP_3)
	v_add_co_ci_u32_e32 v10, vcc_lo, v2, v4, vcc_lo
	v_xor_b32_e32 v11, v7, v8
	v_mul_hi_u32 v12, v9, v0
	s_delay_alu instid0(VALU_DEP_3) | instskip(NEXT) | instid1(VALU_DEP_3)
	v_mad_u64_u32 v[2:3], null, v9, v10, 0
	v_mad_u64_u32 v[4:5], null, v11, v0, 0
	;; [unrolled: 1-line block ×3, first 2 shown]
	s_delay_alu instid0(VALU_DEP_3) | instskip(NEXT) | instid1(VALU_DEP_4)
	v_add_co_u32 v0, vcc_lo, v12, v2
	v_add_co_ci_u32_e32 v2, vcc_lo, 0, v3, vcc_lo
	s_delay_alu instid0(VALU_DEP_2) | instskip(NEXT) | instid1(VALU_DEP_2)
	v_add_co_u32 v0, vcc_lo, v0, v4
	v_add_co_ci_u32_e32 v0, vcc_lo, v2, v5, vcc_lo
	v_add_co_ci_u32_e32 v2, vcc_lo, 0, v7, vcc_lo
	s_delay_alu instid0(VALU_DEP_2) | instskip(NEXT) | instid1(VALU_DEP_2)
	v_add_co_u32 v0, vcc_lo, v0, v6
	v_add_co_ci_u32_e32 v4, vcc_lo, 0, v2, vcc_lo
	s_delay_alu instid0(VALU_DEP_2) | instskip(SKIP_1) | instid1(VALU_DEP_3)
	v_mul_lo_u32 v5, s25, v0
	v_mad_u64_u32 v[2:3], null, s24, v0, 0
	v_mul_lo_u32 v6, s24, v4
	s_delay_alu instid0(VALU_DEP_2) | instskip(NEXT) | instid1(VALU_DEP_2)
	v_sub_co_u32 v2, vcc_lo, v9, v2
	v_add3_u32 v3, v3, v6, v5
	s_delay_alu instid0(VALU_DEP_1) | instskip(NEXT) | instid1(VALU_DEP_1)
	v_sub_nc_u32_e32 v5, v11, v3
	v_subrev_co_ci_u32_e64 v5, s0, s25, v5, vcc_lo
	v_add_co_u32 v6, s0, v0, 2
	s_delay_alu instid0(VALU_DEP_1) | instskip(SKIP_3) | instid1(VALU_DEP_3)
	v_add_co_ci_u32_e64 v7, s0, 0, v4, s0
	v_sub_co_u32 v9, s0, v2, s24
	v_sub_co_ci_u32_e32 v3, vcc_lo, v11, v3, vcc_lo
	v_subrev_co_ci_u32_e64 v5, s0, 0, v5, s0
	v_cmp_le_u32_e32 vcc_lo, s24, v9
	s_delay_alu instid0(VALU_DEP_3) | instskip(SKIP_1) | instid1(VALU_DEP_4)
	v_cmp_eq_u32_e64 s0, s25, v3
	v_cndmask_b32_e64 v9, 0, -1, vcc_lo
	v_cmp_le_u32_e32 vcc_lo, s25, v5
	v_cndmask_b32_e64 v10, 0, -1, vcc_lo
	v_cmp_le_u32_e32 vcc_lo, s24, v2
	;; [unrolled: 2-line block ×3, first 2 shown]
	v_cndmask_b32_e64 v11, 0, -1, vcc_lo
	v_cmp_eq_u32_e32 vcc_lo, s25, v5
	s_delay_alu instid0(VALU_DEP_2) | instskip(SKIP_3) | instid1(VALU_DEP_3)
	v_cndmask_b32_e64 v2, v11, v2, s0
	v_cndmask_b32_e32 v5, v10, v9, vcc_lo
	v_add_co_u32 v9, vcc_lo, v0, 1
	v_add_co_ci_u32_e32 v10, vcc_lo, 0, v4, vcc_lo
	v_cmp_ne_u32_e32 vcc_lo, 0, v5
	s_delay_alu instid0(VALU_DEP_3) | instskip(NEXT) | instid1(VALU_DEP_3)
	v_cndmask_b32_e32 v5, v9, v6, vcc_lo
	v_cndmask_b32_e32 v3, v10, v7, vcc_lo
	v_cmp_ne_u32_e32 vcc_lo, 0, v2
	v_xor_b32_e32 v6, s22, v8
	s_delay_alu instid0(VALU_DEP_4) | instskip(NEXT) | instid1(VALU_DEP_4)
	v_cndmask_b32_e32 v0, v0, v5, vcc_lo
	v_cndmask_b32_e32 v2, v4, v3, vcc_lo
	s_delay_alu instid0(VALU_DEP_2) | instskip(NEXT) | instid1(VALU_DEP_2)
	v_xor_b32_e32 v0, v0, v6
	v_xor_b32_e32 v3, v2, v6
	s_delay_alu instid0(VALU_DEP_2) | instskip(NEXT) | instid1(VALU_DEP_2)
	v_sub_co_u32 v2, vcc_lo, v0, v6
	v_sub_co_ci_u32_e32 v3, vcc_lo, v3, v6, vcc_lo
	s_and_not1_b32 vcc_lo, exec_lo, s2
	s_cbranch_vccnz .LBB10_4
.LBB10_3:
	v_cvt_f32_u32_e32 v0, s26
	s_sub_i32 s0, 0, s26
	s_delay_alu instid0(VALU_DEP_1) | instskip(SKIP_2) | instid1(VALU_DEP_1)
	v_rcp_iflag_f32_e32 v0, v0
	s_waitcnt_depctr 0xfff
	v_mul_f32_e32 v0, 0x4f7ffffe, v0
	v_cvt_u32_f32_e32 v0, v0
	s_delay_alu instid0(VALU_DEP_1) | instskip(NEXT) | instid1(VALU_DEP_1)
	v_mul_lo_u32 v2, s0, v0
	v_mul_hi_u32 v2, v0, v2
	s_delay_alu instid0(VALU_DEP_1) | instskip(NEXT) | instid1(VALU_DEP_1)
	v_add_nc_u32_e32 v0, v0, v2
	v_mul_hi_u32 v0, v1, v0
	s_delay_alu instid0(VALU_DEP_1) | instskip(SKIP_1) | instid1(VALU_DEP_2)
	v_mul_lo_u32 v2, v0, s26
	v_add_nc_u32_e32 v3, 1, v0
	v_sub_nc_u32_e32 v2, v1, v2
	s_delay_alu instid0(VALU_DEP_1) | instskip(SKIP_1) | instid1(VALU_DEP_2)
	v_subrev_nc_u32_e32 v4, s26, v2
	v_cmp_le_u32_e32 vcc_lo, s26, v2
	v_cndmask_b32_e32 v2, v2, v4, vcc_lo
	v_cndmask_b32_e32 v0, v0, v3, vcc_lo
	s_delay_alu instid0(VALU_DEP_2) | instskip(NEXT) | instid1(VALU_DEP_2)
	v_cmp_le_u32_e32 vcc_lo, s26, v2
	v_add_nc_u32_e32 v3, 1, v0
	s_delay_alu instid0(VALU_DEP_1)
	v_dual_cndmask_b32 v2, v0, v3 :: v_dual_mov_b32 v3, 0
.LBB10_4:
	s_delay_alu instid0(VALU_DEP_1) | instskip(NEXT) | instid1(VALU_DEP_2)
	v_mul_lo_u32 v0, v3, s26
	v_mul_lo_u32 v6, v2, s3
	v_mad_u64_u32 v[4:5], null, v2, s26, 0
	s_sub_u32 s0, 0, s12
	s_subb_u32 s1, 0, s13
	s_sub_u32 s22, 0, s20
	s_subb_u32 s23, 0, s21
	s_waitcnt lgkmcnt(0)
	s_add_i32 s2, s15, s17
	s_add_i32 s14, s14, s16
	v_add3_u32 v5, v5, v6, v0
	v_sub_co_u32 v0, vcc_lo, v1, v4
	s_mul_i32 s2, s2, s18
	s_delay_alu instid0(VALU_DEP_2) | instskip(NEXT) | instid1(VALU_DEP_2)
	v_sub_co_ci_u32_e32 v1, vcc_lo, 0, v5, vcc_lo
	v_sub_co_u32 v4, vcc_lo, v0, s20
	s_add_i32 s2, s14, s2
	s_delay_alu instid0(VALU_DEP_2) | instskip(SKIP_2) | instid1(VALU_DEP_3)
	v_subrev_co_ci_u32_e32 v5, vcc_lo, s21, v1, vcc_lo
	v_sub_co_u32 v6, vcc_lo, v0, s29
	v_subrev_co_ci_u32_e32 v7, vcc_lo, s30, v1, vcc_lo
	v_ashrrev_i32_e32 v9, 31, v5
	s_delay_alu instid0(VALU_DEP_3) | instskip(NEXT) | instid1(VALU_DEP_3)
	v_add_co_u32 v6, vcc_lo, v6, 1
	v_add_co_ci_u32_e32 v7, vcc_lo, 0, v7, vcc_lo
	v_sub_co_u32 v8, vcc_lo, v2, s31
	v_subrev_co_ci_u32_e32 v10, vcc_lo, s33, v3, vcc_lo
	v_sub_co_u32 v11, vcc_lo, v2, s12
	v_subrev_co_ci_u32_e32 v12, vcc_lo, s13, v3, vcc_lo
	s_mul_i32 s11, s2, s11
	s_mul_hi_u32 s14, s2, s10
	v_add_co_u32 v8, vcc_lo, v8, 1
	s_mul_i32 s15, s2, s10
	v_cmp_gt_i64_e64 s10, s[22:23], 0
	s_add_i32 s14, s14, s11
	v_cmp_gt_i64_e64 s11, s[0:1], 0
	v_add_co_ci_u32_e32 v10, vcc_lo, 0, v10, vcc_lo
	v_xor_b32_e32 v14, v5, v9
	v_ashrrev_i32_e32 v5, 31, v12
	s_and_b32 s10, s10, exec_lo
	v_xor_b32_e32 v15, v4, v9
	v_ashrrev_i32_e32 v4, 31, v10
	s_cselect_b32 s16, s23, 0
	v_cmp_gt_i64_e64 s10, s[20:21], 0
	s_cselect_b32 s17, s22, 0
	s_and_b32 s11, s11, exec_lo
	v_cmp_gt_i64_e64 s11, s[12:13], 0
	v_xor_b32_e32 v11, v11, v5
	v_xor_b32_e32 v12, v12, v5
	;; [unrolled: 1-line block ×3, first 2 shown]
	s_cselect_b32 s18, s1, 0
	s_cselect_b32 s19, s0, 0
	s_and_b32 s0, s10, exec_lo
	v_xor_b32_e32 v10, v10, v4
	v_sub_co_u32 v11, vcc_lo, v11, v5
	s_cselect_b32 s1, s21, 0
	s_cselect_b32 s0, s20, 0
	s_and_b32 s10, s11, exec_lo
	s_cselect_b32 s11, s13, 0
	s_cselect_b32 s10, s12, 0
	v_sub_co_ci_u32_e32 v5, vcc_lo, v12, v5, vcc_lo
	v_sub_co_u32 v8, vcc_lo, v8, v4
	s_not_b64 s[0:1], s[0:1]
	s_not_b64 s[10:11], s[10:11]
	v_sub_co_ci_u32_e32 v4, vcc_lo, v10, v4, vcc_lo
	s_add_u32 s12, s31, s12
	s_addc_u32 s13, s33, s13
	s_add_u32 s10, s12, s10
	s_addc_u32 s11, s13, s11
	v_add_co_u32 v8, vcc_lo, v2, v8
	s_add_u32 s10, s10, s19
	s_addc_u32 s11, s11, s18
	v_add_co_ci_u32_e32 v4, vcc_lo, v3, v4, vcc_lo
	v_ashrrev_i32_e32 v13, 31, v7
	s_add_u32 s10, s10, s15
	s_addc_u32 s11, s11, s14
	v_sub_co_u32 v8, vcc_lo, s10, v8
	v_sub_co_ci_u32_e32 v4, vcc_lo, s11, v4, vcc_lo
	v_xor_b32_e32 v6, v6, v13
	v_xor_b32_e32 v7, v7, v13
	s_delay_alu instid0(VALU_DEP_4) | instskip(NEXT) | instid1(VALU_DEP_4)
	v_add_co_u32 v8, vcc_lo, v8, v11
	v_add_co_ci_u32_e32 v4, vcc_lo, v4, v5, vcc_lo
	s_delay_alu instid0(VALU_DEP_4) | instskip(NEXT) | instid1(VALU_DEP_4)
	v_sub_co_u32 v6, vcc_lo, v6, v13
	v_sub_co_ci_u32_e32 v7, vcc_lo, v7, v13, vcc_lo
	s_delay_alu instid0(VALU_DEP_3)
	v_mul_lo_u32 v10, v4, s8
	v_mad_u64_u32 v[4:5], null, v8, s8, 0
	s_add_u32 s8, s29, s20
	v_mul_lo_u32 v11, v8, s9
	s_addc_u32 s9, s30, s21
	v_add_co_u32 v6, vcc_lo, v0, v6
	s_add_u32 s0, s8, s0
	s_addc_u32 s1, s9, s1
	v_add_co_ci_u32_e32 v7, vcc_lo, v1, v7, vcc_lo
	s_add_u32 s0, s0, s17
	s_addc_u32 s1, s1, s16
	v_sub_co_u32 v6, vcc_lo, s0, v6
	s_delay_alu instid0(VALU_DEP_2) | instskip(SKIP_2) | instid1(VALU_DEP_3)
	v_sub_co_ci_u32_e32 v7, vcc_lo, s1, v7, vcc_lo
	v_sub_co_u32 v8, vcc_lo, v15, v9
	v_sub_co_ci_u32_e32 v9, vcc_lo, v14, v9, vcc_lo
	v_lshlrev_b64 v[6:7], 1, v[6:7]
	v_add3_u32 v5, v5, v11, v10
	v_lshlrev_b64 v[0:1], 1, v[0:1]
	s_delay_alu instid0(VALU_DEP_4) | instskip(NEXT) | instid1(VALU_DEP_4)
	v_lshlrev_b64 v[8:9], 1, v[8:9]
	v_add_co_u32 v6, vcc_lo, s4, v6
	v_add_co_ci_u32_e32 v7, vcc_lo, s5, v7, vcc_lo
	v_lshlrev_b64 v[4:5], 1, v[4:5]
	s_delay_alu instid0(VALU_DEP_3) | instskip(NEXT) | instid1(VALU_DEP_3)
	v_add_co_u32 v6, vcc_lo, v6, v8
	v_add_co_ci_u32_e32 v7, vcc_lo, v7, v9, vcc_lo
	s_delay_alu instid0(VALU_DEP_2) | instskip(NEXT) | instid1(VALU_DEP_2)
	v_add_co_u32 v4, vcc_lo, v6, v4
	v_add_co_ci_u32_e32 v5, vcc_lo, v7, v5, vcc_lo
	global_load_u16 v7, v[4:5], off
	v_mad_u64_u32 v[4:5], null, s28, s2, v[2:3]
	s_delay_alu instid0(VALU_DEP_1) | instskip(NEXT) | instid1(VALU_DEP_1)
	v_mov_b32_e32 v2, v5
	v_mad_u64_u32 v[5:6], null, s27, s2, v[2:3]
	s_delay_alu instid0(VALU_DEP_3) | instskip(SKIP_1) | instid1(VALU_DEP_3)
	v_mul_lo_u32 v6, v4, s3
	v_mad_u64_u32 v[2:3], null, v4, s26, 0
	v_mul_lo_u32 v5, v5, s26
	s_delay_alu instid0(VALU_DEP_1) | instskip(NEXT) | instid1(VALU_DEP_1)
	v_add3_u32 v3, v3, v6, v5
	v_lshlrev_b64 v[2:3], 1, v[2:3]
	s_delay_alu instid0(VALU_DEP_1) | instskip(NEXT) | instid1(VALU_DEP_2)
	v_add_co_u32 v2, vcc_lo, s6, v2
	v_add_co_ci_u32_e32 v3, vcc_lo, s7, v3, vcc_lo
	s_delay_alu instid0(VALU_DEP_2) | instskip(NEXT) | instid1(VALU_DEP_2)
	v_add_co_u32 v0, vcc_lo, v2, v0
	v_add_co_ci_u32_e32 v1, vcc_lo, v3, v1, vcc_lo
	s_waitcnt vmcnt(0)
	global_store_b16 v[0:1], v7, off
.LBB10_5:
	s_nop 0
	s_sendmsg sendmsg(MSG_DEALLOC_VGPRS)
	s_endpgm
.LBB10_6:
                                        ; implicit-def: $vgpr2_vgpr3
	s_branch .LBB10_3
	.section	.rodata,"a",@progbits
	.p2align	6, 0x0
	.amdhsa_kernel _ZN2at6native12_GLOBAL__N_127reflection_pad2d_out_kernelIN3c108BFloat16EEEvPKT_PS5_lliiiiiii
		.amdhsa_group_segment_fixed_size 0
		.amdhsa_private_segment_fixed_size 0
		.amdhsa_kernarg_size 320
		.amdhsa_user_sgpr_count 13
		.amdhsa_user_sgpr_dispatch_ptr 0
		.amdhsa_user_sgpr_queue_ptr 0
		.amdhsa_user_sgpr_kernarg_segment_ptr 1
		.amdhsa_user_sgpr_dispatch_id 0
		.amdhsa_user_sgpr_private_segment_size 0
		.amdhsa_wavefront_size32 1
		.amdhsa_uses_dynamic_stack 0
		.amdhsa_enable_private_segment 0
		.amdhsa_system_sgpr_workgroup_id_x 1
		.amdhsa_system_sgpr_workgroup_id_y 1
		.amdhsa_system_sgpr_workgroup_id_z 1
		.amdhsa_system_sgpr_workgroup_info 0
		.amdhsa_system_vgpr_workitem_id 0
		.amdhsa_next_free_vgpr 16
		.amdhsa_next_free_sgpr 34
		.amdhsa_reserve_vcc 1
		.amdhsa_float_round_mode_32 0
		.amdhsa_float_round_mode_16_64 0
		.amdhsa_float_denorm_mode_32 3
		.amdhsa_float_denorm_mode_16_64 3
		.amdhsa_dx10_clamp 1
		.amdhsa_ieee_mode 1
		.amdhsa_fp16_overflow 0
		.amdhsa_workgroup_processor_mode 1
		.amdhsa_memory_ordered 1
		.amdhsa_forward_progress 0
		.amdhsa_shared_vgpr_count 0
		.amdhsa_exception_fp_ieee_invalid_op 0
		.amdhsa_exception_fp_denorm_src 0
		.amdhsa_exception_fp_ieee_div_zero 0
		.amdhsa_exception_fp_ieee_overflow 0
		.amdhsa_exception_fp_ieee_underflow 0
		.amdhsa_exception_fp_ieee_inexact 0
		.amdhsa_exception_int_div_zero 0
	.end_amdhsa_kernel
	.section	.text._ZN2at6native12_GLOBAL__N_127reflection_pad2d_out_kernelIN3c108BFloat16EEEvPKT_PS5_lliiiiiii,"axG",@progbits,_ZN2at6native12_GLOBAL__N_127reflection_pad2d_out_kernelIN3c108BFloat16EEEvPKT_PS5_lliiiiiii,comdat
.Lfunc_end10:
	.size	_ZN2at6native12_GLOBAL__N_127reflection_pad2d_out_kernelIN3c108BFloat16EEEvPKT_PS5_lliiiiiii, .Lfunc_end10-_ZN2at6native12_GLOBAL__N_127reflection_pad2d_out_kernelIN3c108BFloat16EEEvPKT_PS5_lliiiiiii
                                        ; -- End function
	.section	.AMDGPU.csdata,"",@progbits
; Kernel info:
; codeLenInByte = 1896
; NumSgprs: 36
; NumVgprs: 16
; ScratchSize: 0
; MemoryBound: 0
; FloatMode: 240
; IeeeMode: 1
; LDSByteSize: 0 bytes/workgroup (compile time only)
; SGPRBlocks: 4
; VGPRBlocks: 1
; NumSGPRsForWavesPerEU: 36
; NumVGPRsForWavesPerEU: 16
; Occupancy: 16
; WaveLimiterHint : 0
; COMPUTE_PGM_RSRC2:SCRATCH_EN: 0
; COMPUTE_PGM_RSRC2:USER_SGPR: 13
; COMPUTE_PGM_RSRC2:TRAP_HANDLER: 0
; COMPUTE_PGM_RSRC2:TGID_X_EN: 1
; COMPUTE_PGM_RSRC2:TGID_Y_EN: 1
; COMPUTE_PGM_RSRC2:TGID_Z_EN: 1
; COMPUTE_PGM_RSRC2:TIDIG_COMP_CNT: 0
	.section	.text._ZN2at6native12_GLOBAL__N_140reflection_pad2d_backward_det_out_kernelIdEEvPT_PKS3_lliiiiiii,"axG",@progbits,_ZN2at6native12_GLOBAL__N_140reflection_pad2d_backward_det_out_kernelIdEEvPT_PKS3_lliiiiiii,comdat
	.globl	_ZN2at6native12_GLOBAL__N_140reflection_pad2d_backward_det_out_kernelIdEEvPT_PKS3_lliiiiiii ; -- Begin function _ZN2at6native12_GLOBAL__N_140reflection_pad2d_backward_det_out_kernelIdEEvPT_PKS3_lliiiiiii
	.p2align	8
	.type	_ZN2at6native12_GLOBAL__N_140reflection_pad2d_backward_det_out_kernelIdEEvPT_PKS3_lliiiiiii,@function
_ZN2at6native12_GLOBAL__N_140reflection_pad2d_backward_det_out_kernelIdEEvPT_PKS3_lliiiiiii: ; @_ZN2at6native12_GLOBAL__N_140reflection_pad2d_backward_det_out_kernelIdEEvPT_PKS3_lliiiiiii
; %bb.0:
	s_clause 0x2
	s_load_b32 s6, s[0:1], 0x4c
	s_load_b64 s[2:3], s[0:1], 0x30
	s_load_b256 s[16:23], s[0:1], 0x0
	v_mov_b32_e32 v1, 0
	s_add_u32 s4, s0, 64
	s_addc_u32 s5, s1, 0
	s_waitcnt lgkmcnt(0)
	s_and_b32 s34, s6, 0xffff
	s_ashr_i32 s6, s2, 31
	s_mul_i32 s8, s22, s21
	s_mul_hi_u32 s9, s22, s20
	s_mul_i32 s10, s23, s20
	s_mul_i32 s33, s22, s20
	s_add_i32 s42, s9, s8
	s_mul_i32 s6, s33, s6
	s_mul_hi_u32 s8, s33, s2
	s_add_i32 s42, s42, s10
	s_ashr_i32 s7, s3, 31
	v_mad_u64_u32 v[3:4], null, s15, s34, v[0:1]
	s_mul_i32 s11, s33, s2
	s_add_i32 s6, s8, s6
	s_mul_i32 s2, s42, s2
	s_mul_i32 s8, s11, s7
	s_mul_hi_u32 s9, s11, s3
	s_add_i32 s2, s6, s2
	v_mov_b32_e32 v4, v1
	s_add_i32 s6, s9, s8
	s_mul_i32 s2, s2, s3
	s_mul_i32 s8, s11, s3
	s_add_i32 s9, s6, s2
	s_mov_b32 s2, exec_lo
	v_cmpx_gt_i64_e64 s[8:9], v[3:4]
	s_cbranch_execz .LBB11_53
; %bb.1:
	s_mov_b32 s6, s3
	s_load_b128 s[0:3], s[0:1], 0x20
	s_load_b32 s36, s[4:5], 0x0
	s_mul_i32 s14, s33, s7
	s_mul_hi_u32 s15, s33, s6
	s_mul_i32 s24, s42, s6
	s_mul_i32 s43, s33, s6
	v_lshlrev_b64 v[7:8], 3, v[3:4]
	v_cvt_f32_u32_e32 v0, s43
	s_mov_b32 s61, 0
	s_delay_alu instid0(VALU_DEP_1)
	v_rcp_iflag_f32_e32 v0, v0
	s_waitcnt lgkmcnt(0)
	s_ashr_i32 s11, s2, 31
	s_add_u32 s37, s2, s20
	s_addc_u32 s38, s11, s21
	s_ashr_i32 s5, s3, 31
	s_add_u32 s44, s37, s3
	s_addc_u32 s45, s38, s5
	s_ashr_i32 s13, s0, 31
	s_mov_b32 s4, s3
	s_add_u32 s3, s0, s22
	s_addc_u32 s25, s13, s23
	s_ashr_i32 s27, s1, 31
	s_mov_b32 s26, s1
	s_add_u32 s1, s3, s1
	s_addc_u32 s3, s25, s27
	s_add_i32 s15, s15, s14
	s_mul_hi_u32 s25, s44, s1
	s_mul_i32 s28, s45, s1
	s_mul_i32 s14, s44, s1
	;; [unrolled: 1-line block ×3, first 2 shown]
	s_add_i32 s46, s15, s24
	s_add_i32 s1, s25, s1
	s_mul_i32 s3, s14, s7
	s_add_i32 s15, s1, s28
	s_add_u32 s24, s22, -1
	s_addc_u32 s25, s23, -1
	s_not_b64 s[26:27], s[26:27]
	s_mul_hi_u32 s1, s14, s6
	s_add_u32 s26, s26, s22
	s_addc_u32 s27, s27, s23
	s_add_u32 s28, s20, -1
	s_addc_u32 s29, s21, -1
	s_not_b64 s[4:5], s[4:5]
	s_mul_i32 s39, s15, s6
	s_add_u32 s30, s4, s20
	s_addc_u32 s31, s5, s21
	s_add_i32 s1, s1, s3
	s_mov_b32 s12, s0
	s_add_i32 s47, s1, s39
	s_add_u32 s1, s20, s37
	s_addc_u32 s3, s21, s38
	s_add_u32 s48, s1, -2
	s_addc_u32 s49, s3, -1
	s_lshl_b64 s[4:5], s[24:25], 1
	s_waitcnt_depctr 0xfff
	v_mul_f32_e32 v0, 0x4f7ffffe, v0
	s_add_u32 s50, s4, s0
	s_addc_u32 s51, s5, s13
	s_lshl_b64 s[0:1], s[28:29], 1
	s_mov_b32 s10, s2
	s_add_u32 s53, s0, s2
	s_addc_u32 s54, s1, s11
	v_sub_co_u32 v5, s0, 0, v3
	s_sub_u32 s55, 0, s22
	s_subb_u32 s56, 0, s23
	v_sub_co_ci_u32_e64 v6, null, 0, 0, s0
	s_lshl_b64 s[0:1], s[10:11], 3
	s_mul_hi_u32 s35, s34, s36
	s_mul_i32 s34, s34, s36
	s_lshl_b64 s[36:37], s[6:7], 3
	s_lshl_b64 s[38:39], s[20:21], 3
	s_add_u32 s57, s18, s0
	v_cvt_u32_f32_e32 v0, v0
	s_addc_u32 s58, s19, s1
	s_lshl_b64 s[40:41], s[34:35], 3
	s_sub_u32 s59, 0, s33
	s_mul_i32 s52, s14, s6
	s_subb_u32 s60, 0, s42
	s_branch .LBB11_4
.LBB11_2:                               ;   in Loop: Header=BB11_4 Depth=1
	s_or_b32 exec_lo, exec_lo, s0
.LBB11_3:                               ;   in Loop: Header=BB11_4 Depth=1
	s_delay_alu instid0(SALU_CYCLE_1)
	s_or_b32 exec_lo, exec_lo, s1
	v_lshlrev_b64 v[11:12], 3, v[13:14]
	v_mul_lo_u32 v10, s36, v10
	v_mul_lo_u32 v19, s37, v9
	;; [unrolled: 1-line block ×4, first 2 shown]
	v_mad_u64_u32 v[13:14], null, s38, v2, 0
	v_mad_u64_u32 v[15:16], null, s36, v9, v[11:12]
	v_lshlrev_b64 v[11:12], 3, v[21:22]
	s_delay_alu instid0(VALU_DEP_3) | instskip(NEXT) | instid1(VALU_DEP_3)
	v_add3_u32 v14, v14, v23, v20
	v_add3_u32 v2, v19, v16, v10
	s_delay_alu instid0(VALU_DEP_2) | instskip(NEXT) | instid1(VALU_DEP_2)
	v_mad_u64_u32 v[9:10], null, s14, v15, v[13:14]
	v_mul_lo_u32 v2, s14, v2
	v_mul_lo_u32 v13, s15, v15
	s_delay_alu instid0(VALU_DEP_3) | instskip(NEXT) | instid1(VALU_DEP_2)
	v_add_co_u32 v9, vcc_lo, v9, v11
	v_add3_u32 v2, v13, v10, v2
	s_delay_alu instid0(VALU_DEP_1) | instskip(NEXT) | instid1(VALU_DEP_3)
	v_add_co_ci_u32_e32 v2, vcc_lo, v2, v12, vcc_lo
	v_add_co_u32 v9, vcc_lo, v7, v9
	s_delay_alu instid0(VALU_DEP_2) | instskip(NEXT) | instid1(VALU_DEP_2)
	v_add_co_ci_u32_e32 v2, vcc_lo, v8, v2, vcc_lo
	v_add_co_u32 v9, vcc_lo, s57, v9
	s_delay_alu instid0(VALU_DEP_2)
	v_add_co_ci_u32_e32 v10, vcc_lo, s58, v2, vcc_lo
	v_add_co_u32 v11, vcc_lo, s16, v7
	v_add_co_ci_u32_e32 v12, vcc_lo, s17, v8, vcc_lo
	global_load_b64 v[9:10], v[9:10], off
	v_add_co_u32 v3, vcc_lo, v3, s34
	global_load_b64 v[13:14], v[11:12], off
	v_add_co_ci_u32_e32 v4, vcc_lo, s35, v4, vcc_lo
	v_sub_co_u32 v5, vcc_lo, v5, s34
	v_subrev_co_ci_u32_e32 v6, vcc_lo, s35, v6, vcc_lo
	s_delay_alu instid0(VALU_DEP_3) | instskip(SKIP_1) | instid1(VALU_DEP_1)
	v_cmp_le_i64_e32 vcc_lo, s[8:9], v[3:4]
	v_add_co_u32 v7, s0, v7, s40
	v_add_co_ci_u32_e64 v8, s0, s41, v8, s0
	s_or_b32 s61, vcc_lo, s61
	s_waitcnt vmcnt(1)
	v_add_f64 v[9:10], v[17:18], v[9:10]
	s_waitcnt vmcnt(0)
	s_delay_alu instid0(VALU_DEP_1)
	v_add_f64 v[9:10], v[13:14], v[9:10]
	global_store_b64 v[11:12], v[9:10], off
	s_and_not1_b32 exec_lo, exec_lo, s61
	s_cbranch_execz .LBB11_53
.LBB11_4:                               ; =>This Inner Loop Header: Depth=1
	v_or_b32_e32 v2, s46, v4
	v_ashrrev_i32_e32 v13, 31, v4
                                        ; implicit-def: $vgpr9_vgpr10
	s_mov_b32 s0, exec_lo
	s_delay_alu instid0(VALU_DEP_2)
	v_cmpx_ne_u64_e32 0, v[1:2]
	s_xor_b32 s1, exec_lo, s0
	s_cbranch_execz .LBB11_6
; %bb.5:                                ;   in Loop: Header=BB11_4 Depth=1
	s_ashr_i32 s2, s46, 31
	s_delay_alu instid0(SALU_CYCLE_1) | instskip(SKIP_2) | instid1(SALU_CYCLE_1)
	s_add_u32 s4, s43, s2
	s_mov_b32 s3, s2
	s_addc_u32 s5, s46, s2
	s_xor_b64 s[4:5], s[4:5], s[2:3]
	s_delay_alu instid0(SALU_CYCLE_1) | instskip(SKIP_3) | instid1(VALU_DEP_1)
	v_cvt_f32_u32_e32 v2, s4
	v_cvt_f32_u32_e32 v9, s5
	s_sub_u32 s0, 0, s4
	s_subb_u32 s3, 0, s5
	v_fmac_f32_e32 v2, 0x4f800000, v9
	s_delay_alu instid0(VALU_DEP_1) | instskip(SKIP_2) | instid1(VALU_DEP_1)
	v_rcp_f32_e32 v2, v2
	s_waitcnt_depctr 0xfff
	v_mul_f32_e32 v2, 0x5f7ffffc, v2
	v_mul_f32_e32 v9, 0x2f800000, v2
	s_delay_alu instid0(VALU_DEP_1) | instskip(NEXT) | instid1(VALU_DEP_1)
	v_trunc_f32_e32 v9, v9
	v_fmac_f32_e32 v2, 0xcf800000, v9
	v_cvt_u32_f32_e32 v9, v9
	s_delay_alu instid0(VALU_DEP_2) | instskip(NEXT) | instid1(VALU_DEP_2)
	v_cvt_u32_f32_e32 v2, v2
	v_mul_lo_u32 v10, s0, v9
	s_delay_alu instid0(VALU_DEP_2) | instskip(SKIP_1) | instid1(VALU_DEP_2)
	v_mul_hi_u32 v11, s0, v2
	v_mul_lo_u32 v12, s3, v2
	v_add_nc_u32_e32 v10, v11, v10
	v_mul_lo_u32 v11, s0, v2
	s_delay_alu instid0(VALU_DEP_2) | instskip(NEXT) | instid1(VALU_DEP_2)
	v_add_nc_u32_e32 v10, v10, v12
	v_mul_hi_u32 v12, v2, v11
	s_delay_alu instid0(VALU_DEP_2)
	v_mul_lo_u32 v14, v2, v10
	v_mul_hi_u32 v15, v2, v10
	v_mul_hi_u32 v16, v9, v11
	v_mul_lo_u32 v11, v9, v11
	v_mul_hi_u32 v17, v9, v10
	v_mul_lo_u32 v10, v9, v10
	v_add_co_u32 v12, vcc_lo, v12, v14
	v_add_co_ci_u32_e32 v14, vcc_lo, 0, v15, vcc_lo
	s_delay_alu instid0(VALU_DEP_2) | instskip(NEXT) | instid1(VALU_DEP_2)
	v_add_co_u32 v11, vcc_lo, v12, v11
	v_add_co_ci_u32_e32 v11, vcc_lo, v14, v16, vcc_lo
	v_add_co_ci_u32_e32 v12, vcc_lo, 0, v17, vcc_lo
	s_delay_alu instid0(VALU_DEP_2) | instskip(NEXT) | instid1(VALU_DEP_2)
	v_add_co_u32 v10, vcc_lo, v11, v10
	v_add_co_ci_u32_e32 v11, vcc_lo, 0, v12, vcc_lo
	s_delay_alu instid0(VALU_DEP_2) | instskip(NEXT) | instid1(VALU_DEP_2)
	v_add_co_u32 v2, vcc_lo, v2, v10
	v_add_co_ci_u32_e32 v9, vcc_lo, v9, v11, vcc_lo
	s_delay_alu instid0(VALU_DEP_2) | instskip(SKIP_1) | instid1(VALU_DEP_3)
	v_mul_hi_u32 v10, s0, v2
	v_mul_lo_u32 v12, s3, v2
	v_mul_lo_u32 v11, s0, v9
	s_delay_alu instid0(VALU_DEP_1) | instskip(SKIP_1) | instid1(VALU_DEP_2)
	v_add_nc_u32_e32 v10, v10, v11
	v_mul_lo_u32 v11, s0, v2
	v_add_nc_u32_e32 v10, v10, v12
	s_delay_alu instid0(VALU_DEP_2) | instskip(NEXT) | instid1(VALU_DEP_2)
	v_mul_hi_u32 v12, v2, v11
	v_mul_lo_u32 v14, v2, v10
	v_mul_hi_u32 v15, v2, v10
	v_mul_hi_u32 v16, v9, v11
	v_mul_lo_u32 v11, v9, v11
	v_mul_hi_u32 v17, v9, v10
	v_mul_lo_u32 v10, v9, v10
	v_add_co_u32 v12, vcc_lo, v12, v14
	v_add_co_ci_u32_e32 v14, vcc_lo, 0, v15, vcc_lo
	s_delay_alu instid0(VALU_DEP_2) | instskip(NEXT) | instid1(VALU_DEP_2)
	v_add_co_u32 v11, vcc_lo, v12, v11
	v_add_co_ci_u32_e32 v11, vcc_lo, v14, v16, vcc_lo
	v_add_co_ci_u32_e32 v12, vcc_lo, 0, v17, vcc_lo
	v_add_co_u32 v14, vcc_lo, v3, v13
	v_add_co_ci_u32_e32 v15, vcc_lo, v4, v13, vcc_lo
	s_delay_alu instid0(VALU_DEP_4) | instskip(NEXT) | instid1(VALU_DEP_4)
	v_add_co_u32 v10, vcc_lo, v11, v10
	v_add_co_ci_u32_e32 v11, vcc_lo, 0, v12, vcc_lo
	s_delay_alu instid0(VALU_DEP_4) | instskip(NEXT) | instid1(VALU_DEP_3)
	v_xor_b32_e32 v16, v14, v13
	v_add_co_u32 v2, vcc_lo, v2, v10
	s_delay_alu instid0(VALU_DEP_3) | instskip(SKIP_1) | instid1(VALU_DEP_3)
	v_add_co_ci_u32_e32 v17, vcc_lo, v9, v11, vcc_lo
	v_xor_b32_e32 v18, v15, v13
	v_mul_hi_u32 v19, v16, v2
	s_delay_alu instid0(VALU_DEP_3) | instskip(NEXT) | instid1(VALU_DEP_3)
	v_mad_u64_u32 v[9:10], null, v16, v17, 0
	v_mad_u64_u32 v[11:12], null, v18, v2, 0
	;; [unrolled: 1-line block ×3, first 2 shown]
	s_delay_alu instid0(VALU_DEP_3) | instskip(NEXT) | instid1(VALU_DEP_4)
	v_add_co_u32 v2, vcc_lo, v19, v9
	v_add_co_ci_u32_e32 v9, vcc_lo, 0, v10, vcc_lo
	s_delay_alu instid0(VALU_DEP_2) | instskip(NEXT) | instid1(VALU_DEP_2)
	v_add_co_u32 v2, vcc_lo, v2, v11
	v_add_co_ci_u32_e32 v2, vcc_lo, v9, v12, vcc_lo
	v_add_co_ci_u32_e32 v9, vcc_lo, 0, v15, vcc_lo
	s_delay_alu instid0(VALU_DEP_2) | instskip(NEXT) | instid1(VALU_DEP_2)
	v_add_co_u32 v2, vcc_lo, v2, v14
	v_add_co_ci_u32_e32 v11, vcc_lo, 0, v9, vcc_lo
	s_delay_alu instid0(VALU_DEP_2) | instskip(SKIP_1) | instid1(VALU_DEP_3)
	v_mul_lo_u32 v12, s5, v2
	v_mad_u64_u32 v[9:10], null, s4, v2, 0
	v_mul_lo_u32 v14, s4, v11
	s_delay_alu instid0(VALU_DEP_2) | instskip(NEXT) | instid1(VALU_DEP_2)
	v_sub_co_u32 v9, vcc_lo, v16, v9
	v_add3_u32 v10, v10, v14, v12
	s_delay_alu instid0(VALU_DEP_1) | instskip(NEXT) | instid1(VALU_DEP_1)
	v_sub_nc_u32_e32 v12, v18, v10
	v_subrev_co_ci_u32_e64 v12, s0, s5, v12, vcc_lo
	v_add_co_u32 v14, s0, v2, 2
	s_delay_alu instid0(VALU_DEP_1) | instskip(SKIP_3) | instid1(VALU_DEP_3)
	v_add_co_ci_u32_e64 v15, s0, 0, v11, s0
	v_sub_co_u32 v16, s0, v9, s4
	v_sub_co_ci_u32_e32 v10, vcc_lo, v18, v10, vcc_lo
	v_subrev_co_ci_u32_e64 v12, s0, 0, v12, s0
	v_cmp_le_u32_e32 vcc_lo, s4, v16
	s_delay_alu instid0(VALU_DEP_3) | instskip(SKIP_1) | instid1(VALU_DEP_4)
	v_cmp_eq_u32_e64 s0, s5, v10
	v_cndmask_b32_e64 v16, 0, -1, vcc_lo
	v_cmp_le_u32_e32 vcc_lo, s5, v12
	v_cndmask_b32_e64 v17, 0, -1, vcc_lo
	v_cmp_le_u32_e32 vcc_lo, s4, v9
	;; [unrolled: 2-line block ×3, first 2 shown]
	v_cndmask_b32_e64 v18, 0, -1, vcc_lo
	v_cmp_eq_u32_e32 vcc_lo, s5, v12
	s_delay_alu instid0(VALU_DEP_2) | instskip(SKIP_3) | instid1(VALU_DEP_3)
	v_cndmask_b32_e64 v9, v18, v9, s0
	v_cndmask_b32_e32 v12, v17, v16, vcc_lo
	v_add_co_u32 v16, vcc_lo, v2, 1
	v_add_co_ci_u32_e32 v17, vcc_lo, 0, v11, vcc_lo
	v_cmp_ne_u32_e32 vcc_lo, 0, v12
	s_delay_alu instid0(VALU_DEP_2) | instskip(NEXT) | instid1(VALU_DEP_4)
	v_cndmask_b32_e32 v10, v17, v15, vcc_lo
	v_cndmask_b32_e32 v12, v16, v14, vcc_lo
	v_cmp_ne_u32_e32 vcc_lo, 0, v9
	v_xor_b32_e32 v14, s2, v13
	s_delay_alu instid0(VALU_DEP_3) | instskip(NEXT) | instid1(VALU_DEP_1)
	v_dual_cndmask_b32 v2, v2, v12 :: v_dual_cndmask_b32 v9, v11, v10
	v_xor_b32_e32 v2, v2, v14
	s_delay_alu instid0(VALU_DEP_2) | instskip(NEXT) | instid1(VALU_DEP_2)
	v_xor_b32_e32 v10, v9, v14
	v_sub_co_u32 v9, vcc_lo, v2, v14
	s_delay_alu instid0(VALU_DEP_2)
	v_sub_co_ci_u32_e32 v10, vcc_lo, v10, v14, vcc_lo
.LBB11_6:                               ;   in Loop: Header=BB11_4 Depth=1
	s_and_not1_saveexec_b32 s0, s1
	s_cbranch_execz .LBB11_8
; %bb.7:                                ;   in Loop: Header=BB11_4 Depth=1
	s_sub_i32 s1, 0, s43
	s_delay_alu instid0(SALU_CYCLE_1) | instskip(NEXT) | instid1(VALU_DEP_1)
	v_mul_lo_u32 v2, s1, v0
	v_mul_hi_u32 v2, v0, v2
	s_delay_alu instid0(VALU_DEP_1) | instskip(NEXT) | instid1(VALU_DEP_1)
	v_add_nc_u32_e32 v2, v0, v2
	v_mul_hi_u32 v2, v3, v2
	s_delay_alu instid0(VALU_DEP_1) | instskip(SKIP_1) | instid1(VALU_DEP_2)
	v_mul_lo_u32 v9, v2, s43
	v_add_nc_u32_e32 v10, 1, v2
	v_sub_nc_u32_e32 v9, v3, v9
	s_delay_alu instid0(VALU_DEP_1) | instskip(SKIP_1) | instid1(VALU_DEP_2)
	v_subrev_nc_u32_e32 v11, s43, v9
	v_cmp_le_u32_e32 vcc_lo, s43, v9
	v_dual_cndmask_b32 v9, v9, v11 :: v_dual_cndmask_b32 v2, v2, v10
	s_delay_alu instid0(VALU_DEP_1) | instskip(NEXT) | instid1(VALU_DEP_2)
	v_cmp_le_u32_e32 vcc_lo, s43, v9
	v_add_nc_u32_e32 v10, 1, v2
	s_delay_alu instid0(VALU_DEP_1)
	v_dual_cndmask_b32 v9, v2, v10 :: v_dual_mov_b32 v10, v1
.LBB11_8:                               ;   in Loop: Header=BB11_4 Depth=1
	s_or_b32 exec_lo, exec_lo, s0
	v_or_b32_e32 v2, s42, v4
                                        ; implicit-def: $vgpr11_vgpr12
	s_mov_b32 s0, exec_lo
	s_delay_alu instid0(VALU_DEP_1)
	v_cmpx_ne_u64_e32 0, v[1:2]
	s_xor_b32 s1, exec_lo, s0
	s_cbranch_execz .LBB11_10
; %bb.9:                                ;   in Loop: Header=BB11_4 Depth=1
	s_ashr_i32 s2, s42, 31
	s_delay_alu instid0(SALU_CYCLE_1) | instskip(SKIP_2) | instid1(SALU_CYCLE_1)
	s_add_u32 s4, s33, s2
	s_mov_b32 s3, s2
	s_addc_u32 s5, s42, s2
	s_xor_b64 s[4:5], s[4:5], s[2:3]
	s_delay_alu instid0(SALU_CYCLE_1) | instskip(SKIP_3) | instid1(VALU_DEP_1)
	v_cvt_f32_u32_e32 v2, s4
	v_cvt_f32_u32_e32 v11, s5
	s_sub_u32 s0, 0, s4
	s_subb_u32 s3, 0, s5
	v_fmac_f32_e32 v2, 0x4f800000, v11
	s_delay_alu instid0(VALU_DEP_1) | instskip(SKIP_2) | instid1(VALU_DEP_1)
	v_rcp_f32_e32 v2, v2
	s_waitcnt_depctr 0xfff
	v_mul_f32_e32 v2, 0x5f7ffffc, v2
	v_mul_f32_e32 v11, 0x2f800000, v2
	s_delay_alu instid0(VALU_DEP_1) | instskip(NEXT) | instid1(VALU_DEP_1)
	v_trunc_f32_e32 v11, v11
	v_fmac_f32_e32 v2, 0xcf800000, v11
	v_cvt_u32_f32_e32 v11, v11
	s_delay_alu instid0(VALU_DEP_2) | instskip(NEXT) | instid1(VALU_DEP_2)
	v_cvt_u32_f32_e32 v2, v2
	v_mul_lo_u32 v12, s0, v11
	s_delay_alu instid0(VALU_DEP_2) | instskip(SKIP_1) | instid1(VALU_DEP_2)
	v_mul_hi_u32 v14, s0, v2
	v_mul_lo_u32 v15, s3, v2
	v_add_nc_u32_e32 v12, v14, v12
	v_mul_lo_u32 v14, s0, v2
	s_delay_alu instid0(VALU_DEP_2) | instskip(NEXT) | instid1(VALU_DEP_2)
	v_add_nc_u32_e32 v12, v12, v15
	v_mul_hi_u32 v15, v2, v14
	s_delay_alu instid0(VALU_DEP_2)
	v_mul_lo_u32 v16, v2, v12
	v_mul_hi_u32 v17, v2, v12
	v_mul_hi_u32 v18, v11, v14
	v_mul_lo_u32 v14, v11, v14
	v_mul_hi_u32 v19, v11, v12
	v_mul_lo_u32 v12, v11, v12
	v_add_co_u32 v15, vcc_lo, v15, v16
	v_add_co_ci_u32_e32 v16, vcc_lo, 0, v17, vcc_lo
	s_delay_alu instid0(VALU_DEP_2) | instskip(NEXT) | instid1(VALU_DEP_2)
	v_add_co_u32 v14, vcc_lo, v15, v14
	v_add_co_ci_u32_e32 v14, vcc_lo, v16, v18, vcc_lo
	v_add_co_ci_u32_e32 v15, vcc_lo, 0, v19, vcc_lo
	s_delay_alu instid0(VALU_DEP_2) | instskip(NEXT) | instid1(VALU_DEP_2)
	v_add_co_u32 v12, vcc_lo, v14, v12
	v_add_co_ci_u32_e32 v14, vcc_lo, 0, v15, vcc_lo
	s_delay_alu instid0(VALU_DEP_2) | instskip(NEXT) | instid1(VALU_DEP_2)
	v_add_co_u32 v2, vcc_lo, v2, v12
	v_add_co_ci_u32_e32 v11, vcc_lo, v11, v14, vcc_lo
	s_delay_alu instid0(VALU_DEP_2) | instskip(SKIP_1) | instid1(VALU_DEP_3)
	v_mul_hi_u32 v12, s0, v2
	v_mul_lo_u32 v15, s3, v2
	v_mul_lo_u32 v14, s0, v11
	s_delay_alu instid0(VALU_DEP_1) | instskip(SKIP_1) | instid1(VALU_DEP_2)
	v_add_nc_u32_e32 v12, v12, v14
	v_mul_lo_u32 v14, s0, v2
	v_add_nc_u32_e32 v12, v12, v15
	s_delay_alu instid0(VALU_DEP_2) | instskip(NEXT) | instid1(VALU_DEP_2)
	v_mul_hi_u32 v15, v2, v14
	v_mul_lo_u32 v16, v2, v12
	v_mul_hi_u32 v17, v2, v12
	v_mul_hi_u32 v18, v11, v14
	v_mul_lo_u32 v14, v11, v14
	v_mul_hi_u32 v19, v11, v12
	v_mul_lo_u32 v12, v11, v12
	v_add_co_u32 v15, vcc_lo, v15, v16
	v_add_co_ci_u32_e32 v16, vcc_lo, 0, v17, vcc_lo
	s_delay_alu instid0(VALU_DEP_2) | instskip(NEXT) | instid1(VALU_DEP_2)
	v_add_co_u32 v14, vcc_lo, v15, v14
	v_add_co_ci_u32_e32 v14, vcc_lo, v16, v18, vcc_lo
	v_add_co_ci_u32_e32 v15, vcc_lo, 0, v19, vcc_lo
	v_add_co_u32 v16, vcc_lo, v3, v13
	v_add_co_ci_u32_e32 v17, vcc_lo, v4, v13, vcc_lo
	s_delay_alu instid0(VALU_DEP_4) | instskip(NEXT) | instid1(VALU_DEP_4)
	v_add_co_u32 v12, vcc_lo, v14, v12
	v_add_co_ci_u32_e32 v14, vcc_lo, 0, v15, vcc_lo
	s_delay_alu instid0(VALU_DEP_4) | instskip(NEXT) | instid1(VALU_DEP_3)
	v_xor_b32_e32 v18, v16, v13
	v_add_co_u32 v2, vcc_lo, v2, v12
	s_delay_alu instid0(VALU_DEP_3) | instskip(SKIP_1) | instid1(VALU_DEP_3)
	v_add_co_ci_u32_e32 v19, vcc_lo, v11, v14, vcc_lo
	v_xor_b32_e32 v20, v17, v13
	v_mul_hi_u32 v21, v18, v2
	v_xor_b32_e32 v13, s2, v13
	s_delay_alu instid0(VALU_DEP_4) | instskip(NEXT) | instid1(VALU_DEP_4)
	v_mad_u64_u32 v[11:12], null, v18, v19, 0
	v_mad_u64_u32 v[14:15], null, v20, v2, 0
	;; [unrolled: 1-line block ×3, first 2 shown]
	s_delay_alu instid0(VALU_DEP_3) | instskip(NEXT) | instid1(VALU_DEP_4)
	v_add_co_u32 v2, vcc_lo, v21, v11
	v_add_co_ci_u32_e32 v11, vcc_lo, 0, v12, vcc_lo
	s_delay_alu instid0(VALU_DEP_2) | instskip(NEXT) | instid1(VALU_DEP_2)
	v_add_co_u32 v2, vcc_lo, v2, v14
	v_add_co_ci_u32_e32 v2, vcc_lo, v11, v15, vcc_lo
	v_add_co_ci_u32_e32 v11, vcc_lo, 0, v17, vcc_lo
	s_delay_alu instid0(VALU_DEP_2) | instskip(NEXT) | instid1(VALU_DEP_2)
	v_add_co_u32 v2, vcc_lo, v2, v16
	v_add_co_ci_u32_e32 v14, vcc_lo, 0, v11, vcc_lo
	s_delay_alu instid0(VALU_DEP_2) | instskip(SKIP_1) | instid1(VALU_DEP_3)
	v_mul_lo_u32 v15, s5, v2
	v_mad_u64_u32 v[11:12], null, s4, v2, 0
	v_mul_lo_u32 v16, s4, v14
	s_delay_alu instid0(VALU_DEP_2) | instskip(NEXT) | instid1(VALU_DEP_2)
	v_sub_co_u32 v11, vcc_lo, v18, v11
	v_add3_u32 v12, v12, v16, v15
	s_delay_alu instid0(VALU_DEP_1) | instskip(NEXT) | instid1(VALU_DEP_1)
	v_sub_nc_u32_e32 v15, v20, v12
	v_subrev_co_ci_u32_e64 v15, s0, s5, v15, vcc_lo
	v_add_co_u32 v16, s0, v2, 2
	s_delay_alu instid0(VALU_DEP_1) | instskip(SKIP_3) | instid1(VALU_DEP_3)
	v_add_co_ci_u32_e64 v17, s0, 0, v14, s0
	v_sub_co_u32 v18, s0, v11, s4
	v_sub_co_ci_u32_e32 v12, vcc_lo, v20, v12, vcc_lo
	v_subrev_co_ci_u32_e64 v15, s0, 0, v15, s0
	v_cmp_le_u32_e32 vcc_lo, s4, v18
	s_delay_alu instid0(VALU_DEP_3) | instskip(SKIP_1) | instid1(VALU_DEP_4)
	v_cmp_eq_u32_e64 s0, s5, v12
	v_cndmask_b32_e64 v18, 0, -1, vcc_lo
	v_cmp_le_u32_e32 vcc_lo, s5, v15
	v_cndmask_b32_e64 v19, 0, -1, vcc_lo
	v_cmp_le_u32_e32 vcc_lo, s4, v11
	;; [unrolled: 2-line block ×3, first 2 shown]
	v_cndmask_b32_e64 v20, 0, -1, vcc_lo
	v_cmp_eq_u32_e32 vcc_lo, s5, v15
	s_delay_alu instid0(VALU_DEP_2) | instskip(SKIP_3) | instid1(VALU_DEP_3)
	v_cndmask_b32_e64 v11, v20, v11, s0
	v_cndmask_b32_e32 v15, v19, v18, vcc_lo
	v_add_co_u32 v18, vcc_lo, v2, 1
	v_add_co_ci_u32_e32 v19, vcc_lo, 0, v14, vcc_lo
	v_cmp_ne_u32_e32 vcc_lo, 0, v15
	s_delay_alu instid0(VALU_DEP_2) | instskip(SKIP_1) | instid1(VALU_DEP_2)
	v_dual_cndmask_b32 v12, v19, v17 :: v_dual_cndmask_b32 v15, v18, v16
	v_cmp_ne_u32_e32 vcc_lo, 0, v11
	v_cndmask_b32_e32 v11, v14, v12, vcc_lo
	s_delay_alu instid0(VALU_DEP_3) | instskip(NEXT) | instid1(VALU_DEP_2)
	v_cndmask_b32_e32 v2, v2, v15, vcc_lo
	v_xor_b32_e32 v12, v11, v13
	s_delay_alu instid0(VALU_DEP_2) | instskip(NEXT) | instid1(VALU_DEP_1)
	v_xor_b32_e32 v2, v2, v13
	v_sub_co_u32 v11, vcc_lo, v2, v13
	s_delay_alu instid0(VALU_DEP_3)
	v_sub_co_ci_u32_e32 v12, vcc_lo, v12, v13, vcc_lo
.LBB11_10:                              ;   in Loop: Header=BB11_4 Depth=1
	s_and_not1_saveexec_b32 s0, s1
	s_cbranch_execz .LBB11_12
; %bb.11:                               ;   in Loop: Header=BB11_4 Depth=1
	v_cvt_f32_u32_e32 v2, s33
	s_sub_i32 s1, 0, s33
	s_delay_alu instid0(VALU_DEP_1) | instskip(SKIP_2) | instid1(VALU_DEP_1)
	v_rcp_iflag_f32_e32 v2, v2
	s_waitcnt_depctr 0xfff
	v_mul_f32_e32 v2, 0x4f7ffffe, v2
	v_cvt_u32_f32_e32 v2, v2
	s_delay_alu instid0(VALU_DEP_1) | instskip(NEXT) | instid1(VALU_DEP_1)
	v_mul_lo_u32 v11, s1, v2
	v_mul_hi_u32 v11, v2, v11
	s_delay_alu instid0(VALU_DEP_1) | instskip(NEXT) | instid1(VALU_DEP_1)
	v_add_nc_u32_e32 v2, v2, v11
	v_mul_hi_u32 v2, v3, v2
	s_delay_alu instid0(VALU_DEP_1) | instskip(SKIP_1) | instid1(VALU_DEP_2)
	v_mul_lo_u32 v11, v2, s33
	v_add_nc_u32_e32 v12, 1, v2
	v_sub_nc_u32_e32 v11, v3, v11
	s_delay_alu instid0(VALU_DEP_1) | instskip(SKIP_1) | instid1(VALU_DEP_2)
	v_subrev_nc_u32_e32 v13, s33, v11
	v_cmp_le_u32_e32 vcc_lo, s33, v11
	v_dual_cndmask_b32 v11, v11, v13 :: v_dual_cndmask_b32 v2, v2, v12
	s_delay_alu instid0(VALU_DEP_1) | instskip(NEXT) | instid1(VALU_DEP_2)
	v_cmp_le_u32_e32 vcc_lo, s33, v11
	v_add_nc_u32_e32 v12, 1, v2
	s_delay_alu instid0(VALU_DEP_1)
	v_dual_cndmask_b32 v11, v2, v12 :: v_dual_mov_b32 v12, v1
.LBB11_12:                              ;   in Loop: Header=BB11_4 Depth=1
	s_or_b32 exec_lo, exec_lo, s0
	s_delay_alu instid0(VALU_DEP_1) | instskip(SKIP_1) | instid1(VALU_DEP_1)
	v_or_b32_e32 v2, s7, v12
                                        ; implicit-def: $vgpr13_vgpr14
	s_mov_b32 s0, exec_lo
	v_cmpx_ne_u64_e32 0, v[1:2]
	s_xor_b32 s1, exec_lo, s0
	s_cbranch_execz .LBB11_14
; %bb.13:                               ;   in Loop: Header=BB11_4 Depth=1
	s_add_u32 s4, s6, s7
	s_mov_b32 s2, s7
	s_mov_b32 s3, s7
	s_addc_u32 s5, s7, s7
	s_delay_alu instid0(SALU_CYCLE_1) | instskip(NEXT) | instid1(SALU_CYCLE_1)
	s_xor_b64 s[2:3], s[4:5], s[2:3]
	v_cvt_f32_u32_e32 v2, s2
	v_cvt_f32_u32_e32 v13, s3
	s_sub_u32 s0, 0, s2
	s_subb_u32 s4, 0, s3
	s_delay_alu instid0(VALU_DEP_1) | instskip(NEXT) | instid1(VALU_DEP_1)
	v_fmac_f32_e32 v2, 0x4f800000, v13
	v_rcp_f32_e32 v2, v2
	s_waitcnt_depctr 0xfff
	v_mul_f32_e32 v2, 0x5f7ffffc, v2
	s_delay_alu instid0(VALU_DEP_1) | instskip(NEXT) | instid1(VALU_DEP_1)
	v_mul_f32_e32 v13, 0x2f800000, v2
	v_trunc_f32_e32 v13, v13
	s_delay_alu instid0(VALU_DEP_1) | instskip(SKIP_1) | instid1(VALU_DEP_2)
	v_fmac_f32_e32 v2, 0xcf800000, v13
	v_cvt_u32_f32_e32 v13, v13
	v_cvt_u32_f32_e32 v2, v2
	s_delay_alu instid0(VALU_DEP_2) | instskip(NEXT) | instid1(VALU_DEP_2)
	v_mul_lo_u32 v14, s0, v13
	v_mul_hi_u32 v15, s0, v2
	v_mul_lo_u32 v16, s4, v2
	s_delay_alu instid0(VALU_DEP_2) | instskip(SKIP_1) | instid1(VALU_DEP_2)
	v_add_nc_u32_e32 v14, v15, v14
	v_mul_lo_u32 v15, s0, v2
	v_add_nc_u32_e32 v14, v14, v16
	s_delay_alu instid0(VALU_DEP_2) | instskip(NEXT) | instid1(VALU_DEP_2)
	v_mul_hi_u32 v16, v2, v15
	v_mul_lo_u32 v17, v2, v14
	v_mul_hi_u32 v18, v2, v14
	v_mul_hi_u32 v19, v13, v15
	v_mul_lo_u32 v15, v13, v15
	v_mul_hi_u32 v20, v13, v14
	v_mul_lo_u32 v14, v13, v14
	v_add_co_u32 v16, vcc_lo, v16, v17
	v_add_co_ci_u32_e32 v17, vcc_lo, 0, v18, vcc_lo
	s_delay_alu instid0(VALU_DEP_2) | instskip(NEXT) | instid1(VALU_DEP_2)
	v_add_co_u32 v15, vcc_lo, v16, v15
	v_add_co_ci_u32_e32 v15, vcc_lo, v17, v19, vcc_lo
	v_add_co_ci_u32_e32 v16, vcc_lo, 0, v20, vcc_lo
	v_ashrrev_i32_e32 v19, 31, v12
	s_delay_alu instid0(VALU_DEP_3) | instskip(NEXT) | instid1(VALU_DEP_3)
	v_add_co_u32 v14, vcc_lo, v15, v14
	v_add_co_ci_u32_e32 v15, vcc_lo, 0, v16, vcc_lo
	s_delay_alu instid0(VALU_DEP_2) | instskip(NEXT) | instid1(VALU_DEP_2)
	v_add_co_u32 v2, vcc_lo, v2, v14
	v_add_co_ci_u32_e32 v13, vcc_lo, v13, v15, vcc_lo
	s_delay_alu instid0(VALU_DEP_2) | instskip(SKIP_1) | instid1(VALU_DEP_3)
	v_mul_hi_u32 v14, s0, v2
	v_mul_lo_u32 v16, s4, v2
	v_mul_lo_u32 v15, s0, v13
	s_delay_alu instid0(VALU_DEP_1) | instskip(SKIP_1) | instid1(VALU_DEP_2)
	v_add_nc_u32_e32 v14, v14, v15
	v_mul_lo_u32 v15, s0, v2
	v_add_nc_u32_e32 v14, v14, v16
	s_delay_alu instid0(VALU_DEP_2) | instskip(NEXT) | instid1(VALU_DEP_2)
	v_mul_hi_u32 v16, v2, v15
	v_mul_lo_u32 v17, v2, v14
	v_mul_hi_u32 v18, v2, v14
	v_mul_hi_u32 v20, v13, v15
	v_mul_lo_u32 v15, v13, v15
	v_mul_hi_u32 v21, v13, v14
	v_mul_lo_u32 v14, v13, v14
	v_add_co_u32 v16, vcc_lo, v16, v17
	v_add_co_ci_u32_e32 v17, vcc_lo, 0, v18, vcc_lo
	s_delay_alu instid0(VALU_DEP_2) | instskip(NEXT) | instid1(VALU_DEP_2)
	v_add_co_u32 v15, vcc_lo, v16, v15
	v_add_co_ci_u32_e32 v15, vcc_lo, v17, v20, vcc_lo
	v_add_co_ci_u32_e32 v16, vcc_lo, 0, v21, vcc_lo
	v_add_co_u32 v17, vcc_lo, v11, v19
	v_add_co_ci_u32_e32 v18, vcc_lo, v12, v19, vcc_lo
	s_delay_alu instid0(VALU_DEP_4) | instskip(NEXT) | instid1(VALU_DEP_4)
	v_add_co_u32 v14, vcc_lo, v15, v14
	v_add_co_ci_u32_e32 v15, vcc_lo, 0, v16, vcc_lo
	s_delay_alu instid0(VALU_DEP_4) | instskip(NEXT) | instid1(VALU_DEP_3)
	v_xor_b32_e32 v20, v17, v19
	v_add_co_u32 v2, vcc_lo, v2, v14
	s_delay_alu instid0(VALU_DEP_3) | instskip(SKIP_1) | instid1(VALU_DEP_3)
	v_add_co_ci_u32_e32 v21, vcc_lo, v13, v15, vcc_lo
	v_xor_b32_e32 v22, v18, v19
	v_mul_hi_u32 v23, v20, v2
	s_delay_alu instid0(VALU_DEP_3) | instskip(NEXT) | instid1(VALU_DEP_3)
	v_mad_u64_u32 v[13:14], null, v20, v21, 0
	v_mad_u64_u32 v[15:16], null, v22, v2, 0
	;; [unrolled: 1-line block ×3, first 2 shown]
	s_delay_alu instid0(VALU_DEP_3) | instskip(NEXT) | instid1(VALU_DEP_4)
	v_add_co_u32 v2, vcc_lo, v23, v13
	v_add_co_ci_u32_e32 v13, vcc_lo, 0, v14, vcc_lo
	s_delay_alu instid0(VALU_DEP_2) | instskip(NEXT) | instid1(VALU_DEP_2)
	v_add_co_u32 v2, vcc_lo, v2, v15
	v_add_co_ci_u32_e32 v2, vcc_lo, v13, v16, vcc_lo
	v_add_co_ci_u32_e32 v13, vcc_lo, 0, v18, vcc_lo
	s_delay_alu instid0(VALU_DEP_2) | instskip(NEXT) | instid1(VALU_DEP_2)
	v_add_co_u32 v2, vcc_lo, v2, v17
	v_add_co_ci_u32_e32 v15, vcc_lo, 0, v13, vcc_lo
	s_delay_alu instid0(VALU_DEP_2) | instskip(SKIP_1) | instid1(VALU_DEP_3)
	v_mul_lo_u32 v16, s3, v2
	v_mad_u64_u32 v[13:14], null, s2, v2, 0
	v_mul_lo_u32 v2, s2, v15
	s_delay_alu instid0(VALU_DEP_2) | instskip(NEXT) | instid1(VALU_DEP_2)
	v_sub_co_u32 v13, vcc_lo, v20, v13
	v_add3_u32 v2, v14, v2, v16
	s_delay_alu instid0(VALU_DEP_1) | instskip(NEXT) | instid1(VALU_DEP_1)
	v_sub_nc_u32_e32 v14, v22, v2
	v_subrev_co_ci_u32_e64 v14, s0, s3, v14, vcc_lo
	v_sub_co_ci_u32_e32 v2, vcc_lo, v22, v2, vcc_lo
	v_sub_co_u32 v15, vcc_lo, v13, s2
	s_delay_alu instid0(VALU_DEP_1) | instskip(SKIP_3) | instid1(VALU_DEP_3)
	v_subrev_co_ci_u32_e64 v16, s0, 0, v14, vcc_lo
	v_cmp_le_u32_e64 s0, s2, v13
	v_subrev_co_ci_u32_e32 v14, vcc_lo, s3, v14, vcc_lo
	v_cmp_le_u32_e32 vcc_lo, s3, v2
	v_cndmask_b32_e64 v17, 0, -1, s0
	v_cmp_le_u32_e64 s0, s2, v15
	v_cndmask_b32_e64 v21, 0, -1, vcc_lo
	v_cmp_eq_u32_e32 vcc_lo, s3, v16
	s_delay_alu instid0(VALU_DEP_3) | instskip(SKIP_1) | instid1(VALU_DEP_1)
	v_cndmask_b32_e64 v18, 0, -1, s0
	v_cmp_le_u32_e64 s0, s3, v16
	v_cndmask_b32_e64 v20, 0, -1, s0
	v_cmp_eq_u32_e64 s0, s3, v2
	s_delay_alu instid0(VALU_DEP_2) | instskip(SKIP_2) | instid1(VALU_DEP_3)
	v_cndmask_b32_e32 v18, v20, v18, vcc_lo
	v_sub_co_u32 v20, vcc_lo, v15, s2
	v_subrev_co_ci_u32_e32 v14, vcc_lo, 0, v14, vcc_lo
	v_cmp_ne_u32_e32 vcc_lo, 0, v18
	v_cndmask_b32_e64 v17, v21, v17, s0
	s_delay_alu instid0(VALU_DEP_3) | instskip(NEXT) | instid1(VALU_DEP_2)
	v_dual_cndmask_b32 v14, v16, v14 :: v_dual_cndmask_b32 v15, v15, v20
	v_cmp_ne_u32_e32 vcc_lo, 0, v17
	s_delay_alu instid0(VALU_DEP_2) | instskip(NEXT) | instid1(VALU_DEP_1)
	v_dual_cndmask_b32 v13, v13, v15 :: v_dual_cndmask_b32 v2, v2, v14
	v_xor_b32_e32 v13, v13, v19
	s_delay_alu instid0(VALU_DEP_2) | instskip(NEXT) | instid1(VALU_DEP_2)
	v_xor_b32_e32 v2, v2, v19
	v_sub_co_u32 v13, vcc_lo, v13, v19
	s_delay_alu instid0(VALU_DEP_2)
	v_sub_co_ci_u32_e32 v14, vcc_lo, v2, v19, vcc_lo
.LBB11_14:                              ;   in Loop: Header=BB11_4 Depth=1
	s_and_not1_saveexec_b32 s0, s1
	s_cbranch_execz .LBB11_16
; %bb.15:                               ;   in Loop: Header=BB11_4 Depth=1
	v_cvt_f32_u32_e32 v2, s6
	s_sub_i32 s1, 0, s6
	v_mov_b32_e32 v14, v1
	s_delay_alu instid0(VALU_DEP_2) | instskip(SKIP_2) | instid1(VALU_DEP_1)
	v_rcp_iflag_f32_e32 v2, v2
	s_waitcnt_depctr 0xfff
	v_mul_f32_e32 v2, 0x4f7ffffe, v2
	v_cvt_u32_f32_e32 v2, v2
	s_delay_alu instid0(VALU_DEP_1) | instskip(NEXT) | instid1(VALU_DEP_1)
	v_mul_lo_u32 v13, s1, v2
	v_mul_hi_u32 v13, v2, v13
	s_delay_alu instid0(VALU_DEP_1) | instskip(NEXT) | instid1(VALU_DEP_1)
	v_add_nc_u32_e32 v2, v2, v13
	v_mul_hi_u32 v2, v11, v2
	s_delay_alu instid0(VALU_DEP_1) | instskip(NEXT) | instid1(VALU_DEP_1)
	v_mul_lo_u32 v2, v2, s6
	v_sub_nc_u32_e32 v2, v11, v2
	s_delay_alu instid0(VALU_DEP_1) | instskip(SKIP_1) | instid1(VALU_DEP_2)
	v_subrev_nc_u32_e32 v13, s6, v2
	v_cmp_le_u32_e32 vcc_lo, s6, v2
	v_cndmask_b32_e32 v2, v2, v13, vcc_lo
	s_delay_alu instid0(VALU_DEP_1) | instskip(SKIP_1) | instid1(VALU_DEP_2)
	v_subrev_nc_u32_e32 v13, s6, v2
	v_cmp_le_u32_e32 vcc_lo, s6, v2
	v_cndmask_b32_e32 v13, v2, v13, vcc_lo
.LBB11_16:                              ;   in Loop: Header=BB11_4 Depth=1
	s_or_b32 exec_lo, exec_lo, s0
	v_mad_u64_u32 v[17:18], null, s59, v11, v[3:4]
	v_mul_lo_u32 v2, s59, v12
	v_mul_lo_u32 v15, s60, v11
	s_mov_b32 s0, exec_lo
	s_delay_alu instid0(VALU_DEP_1) | instskip(NEXT) | instid1(VALU_DEP_1)
	v_add3_u32 v18, v15, v18, v2
                                        ; implicit-def: $vgpr15_vgpr16
	v_or_b32_e32 v2, s21, v18
	s_delay_alu instid0(VALU_DEP_1)
	v_cmpx_ne_u64_e32 0, v[1:2]
	s_xor_b32 s1, exec_lo, s0
	s_cbranch_execz .LBB11_18
; %bb.17:                               ;   in Loop: Header=BB11_4 Depth=1
	s_ashr_i32 s2, s21, 31
	s_delay_alu instid0(SALU_CYCLE_1) | instskip(SKIP_2) | instid1(SALU_CYCLE_1)
	s_add_u32 s4, s20, s2
	s_mov_b32 s3, s2
	s_addc_u32 s5, s21, s2
	s_xor_b64 s[4:5], s[4:5], s[2:3]
	s_delay_alu instid0(SALU_CYCLE_1) | instskip(SKIP_3) | instid1(VALU_DEP_1)
	v_cvt_f32_u32_e32 v2, s4
	v_cvt_f32_u32_e32 v15, s5
	s_sub_u32 s0, 0, s4
	s_subb_u32 s3, 0, s5
	v_fmac_f32_e32 v2, 0x4f800000, v15
	s_delay_alu instid0(VALU_DEP_1) | instskip(SKIP_2) | instid1(VALU_DEP_1)
	v_rcp_f32_e32 v2, v2
	s_waitcnt_depctr 0xfff
	v_mul_f32_e32 v2, 0x5f7ffffc, v2
	v_mul_f32_e32 v15, 0x2f800000, v2
	s_delay_alu instid0(VALU_DEP_1) | instskip(NEXT) | instid1(VALU_DEP_1)
	v_trunc_f32_e32 v15, v15
	v_fmac_f32_e32 v2, 0xcf800000, v15
	v_cvt_u32_f32_e32 v15, v15
	s_delay_alu instid0(VALU_DEP_2) | instskip(NEXT) | instid1(VALU_DEP_2)
	v_cvt_u32_f32_e32 v2, v2
	v_mul_lo_u32 v16, s0, v15
	s_delay_alu instid0(VALU_DEP_2) | instskip(SKIP_1) | instid1(VALU_DEP_2)
	v_mul_hi_u32 v19, s0, v2
	v_mul_lo_u32 v20, s3, v2
	v_add_nc_u32_e32 v16, v19, v16
	v_mul_lo_u32 v19, s0, v2
	s_delay_alu instid0(VALU_DEP_2) | instskip(NEXT) | instid1(VALU_DEP_2)
	v_add_nc_u32_e32 v16, v16, v20
	v_mul_hi_u32 v20, v2, v19
	s_delay_alu instid0(VALU_DEP_2)
	v_mul_lo_u32 v21, v2, v16
	v_mul_hi_u32 v22, v2, v16
	v_mul_hi_u32 v23, v15, v19
	v_mul_lo_u32 v19, v15, v19
	v_mul_hi_u32 v24, v15, v16
	v_mul_lo_u32 v16, v15, v16
	v_add_co_u32 v20, vcc_lo, v20, v21
	v_add_co_ci_u32_e32 v21, vcc_lo, 0, v22, vcc_lo
	s_delay_alu instid0(VALU_DEP_2) | instskip(NEXT) | instid1(VALU_DEP_2)
	v_add_co_u32 v19, vcc_lo, v20, v19
	v_add_co_ci_u32_e32 v19, vcc_lo, v21, v23, vcc_lo
	v_add_co_ci_u32_e32 v20, vcc_lo, 0, v24, vcc_lo
	v_ashrrev_i32_e32 v23, 31, v18
	s_delay_alu instid0(VALU_DEP_3) | instskip(NEXT) | instid1(VALU_DEP_3)
	v_add_co_u32 v16, vcc_lo, v19, v16
	v_add_co_ci_u32_e32 v19, vcc_lo, 0, v20, vcc_lo
	s_delay_alu instid0(VALU_DEP_2) | instskip(NEXT) | instid1(VALU_DEP_2)
	v_add_co_u32 v2, vcc_lo, v2, v16
	v_add_co_ci_u32_e32 v15, vcc_lo, v15, v19, vcc_lo
	s_delay_alu instid0(VALU_DEP_2) | instskip(SKIP_1) | instid1(VALU_DEP_3)
	v_mul_hi_u32 v16, s0, v2
	v_mul_lo_u32 v20, s3, v2
	v_mul_lo_u32 v19, s0, v15
	s_delay_alu instid0(VALU_DEP_1) | instskip(SKIP_1) | instid1(VALU_DEP_2)
	v_add_nc_u32_e32 v16, v16, v19
	v_mul_lo_u32 v19, s0, v2
	v_add_nc_u32_e32 v16, v16, v20
	s_delay_alu instid0(VALU_DEP_2) | instskip(NEXT) | instid1(VALU_DEP_2)
	v_mul_hi_u32 v20, v2, v19
	v_mul_lo_u32 v21, v2, v16
	v_mul_hi_u32 v22, v2, v16
	v_mul_hi_u32 v24, v15, v19
	v_mul_lo_u32 v19, v15, v19
	v_mul_hi_u32 v25, v15, v16
	v_mul_lo_u32 v16, v15, v16
	v_add_co_u32 v20, vcc_lo, v20, v21
	v_add_co_ci_u32_e32 v21, vcc_lo, 0, v22, vcc_lo
	s_delay_alu instid0(VALU_DEP_2) | instskip(NEXT) | instid1(VALU_DEP_2)
	v_add_co_u32 v19, vcc_lo, v20, v19
	v_add_co_ci_u32_e32 v19, vcc_lo, v21, v24, vcc_lo
	v_add_co_ci_u32_e32 v20, vcc_lo, 0, v25, vcc_lo
	v_add_co_u32 v17, vcc_lo, v17, v23
	v_add_co_ci_u32_e32 v18, vcc_lo, v18, v23, vcc_lo
	s_delay_alu instid0(VALU_DEP_4) | instskip(NEXT) | instid1(VALU_DEP_4)
	v_add_co_u32 v16, vcc_lo, v19, v16
	v_add_co_ci_u32_e32 v19, vcc_lo, 0, v20, vcc_lo
	s_delay_alu instid0(VALU_DEP_4) | instskip(NEXT) | instid1(VALU_DEP_3)
	v_xor_b32_e32 v21, v17, v23
	v_add_co_u32 v2, vcc_lo, v2, v16
	s_delay_alu instid0(VALU_DEP_3) | instskip(SKIP_1) | instid1(VALU_DEP_3)
	v_add_co_ci_u32_e32 v22, vcc_lo, v15, v19, vcc_lo
	v_xor_b32_e32 v24, v18, v23
	v_mul_hi_u32 v25, v21, v2
	s_delay_alu instid0(VALU_DEP_3) | instskip(NEXT) | instid1(VALU_DEP_3)
	v_mad_u64_u32 v[15:16], null, v21, v22, 0
	v_mad_u64_u32 v[17:18], null, v24, v2, 0
	;; [unrolled: 1-line block ×3, first 2 shown]
	s_delay_alu instid0(VALU_DEP_3) | instskip(NEXT) | instid1(VALU_DEP_4)
	v_add_co_u32 v2, vcc_lo, v25, v15
	v_add_co_ci_u32_e32 v15, vcc_lo, 0, v16, vcc_lo
	s_delay_alu instid0(VALU_DEP_2) | instskip(NEXT) | instid1(VALU_DEP_2)
	v_add_co_u32 v2, vcc_lo, v2, v17
	v_add_co_ci_u32_e32 v2, vcc_lo, v15, v18, vcc_lo
	v_add_co_ci_u32_e32 v15, vcc_lo, 0, v20, vcc_lo
	s_delay_alu instid0(VALU_DEP_2) | instskip(NEXT) | instid1(VALU_DEP_2)
	v_add_co_u32 v2, vcc_lo, v2, v19
	v_add_co_ci_u32_e32 v17, vcc_lo, 0, v15, vcc_lo
	s_delay_alu instid0(VALU_DEP_2) | instskip(SKIP_1) | instid1(VALU_DEP_3)
	v_mul_lo_u32 v18, s5, v2
	v_mad_u64_u32 v[15:16], null, s4, v2, 0
	v_mul_lo_u32 v19, s4, v17
	s_delay_alu instid0(VALU_DEP_2) | instskip(NEXT) | instid1(VALU_DEP_2)
	v_sub_co_u32 v15, vcc_lo, v21, v15
	v_add3_u32 v16, v16, v19, v18
	s_delay_alu instid0(VALU_DEP_1) | instskip(NEXT) | instid1(VALU_DEP_1)
	v_sub_nc_u32_e32 v18, v24, v16
	v_subrev_co_ci_u32_e64 v18, s0, s5, v18, vcc_lo
	v_add_co_u32 v19, s0, v2, 2
	s_delay_alu instid0(VALU_DEP_1) | instskip(SKIP_3) | instid1(VALU_DEP_3)
	v_add_co_ci_u32_e64 v20, s0, 0, v17, s0
	v_sub_co_u32 v21, s0, v15, s4
	v_sub_co_ci_u32_e32 v16, vcc_lo, v24, v16, vcc_lo
	v_subrev_co_ci_u32_e64 v18, s0, 0, v18, s0
	v_cmp_le_u32_e32 vcc_lo, s4, v21
	s_delay_alu instid0(VALU_DEP_3) | instskip(SKIP_1) | instid1(VALU_DEP_4)
	v_cmp_eq_u32_e64 s0, s5, v16
	v_cndmask_b32_e64 v21, 0, -1, vcc_lo
	v_cmp_le_u32_e32 vcc_lo, s5, v18
	v_cndmask_b32_e64 v22, 0, -1, vcc_lo
	v_cmp_le_u32_e32 vcc_lo, s4, v15
	;; [unrolled: 2-line block ×3, first 2 shown]
	v_cndmask_b32_e64 v24, 0, -1, vcc_lo
	v_cmp_eq_u32_e32 vcc_lo, s5, v18
	s_delay_alu instid0(VALU_DEP_2) | instskip(SKIP_3) | instid1(VALU_DEP_3)
	v_cndmask_b32_e64 v15, v24, v15, s0
	v_cndmask_b32_e32 v18, v22, v21, vcc_lo
	v_add_co_u32 v21, vcc_lo, v2, 1
	v_add_co_ci_u32_e32 v22, vcc_lo, 0, v17, vcc_lo
	v_cmp_ne_u32_e32 vcc_lo, 0, v18
	s_delay_alu instid0(VALU_DEP_2) | instskip(NEXT) | instid1(VALU_DEP_4)
	v_cndmask_b32_e32 v16, v22, v20, vcc_lo
	v_cndmask_b32_e32 v18, v21, v19, vcc_lo
	v_cmp_ne_u32_e32 vcc_lo, 0, v15
	v_xor_b32_e32 v19, s2, v23
	s_delay_alu instid0(VALU_DEP_3) | instskip(NEXT) | instid1(VALU_DEP_1)
	v_dual_cndmask_b32 v2, v2, v18 :: v_dual_cndmask_b32 v15, v17, v16
                                        ; implicit-def: $vgpr17_vgpr18
	v_xor_b32_e32 v2, v2, v19
	s_delay_alu instid0(VALU_DEP_2) | instskip(NEXT) | instid1(VALU_DEP_2)
	v_xor_b32_e32 v16, v15, v19
	v_sub_co_u32 v15, vcc_lo, v2, v19
	s_delay_alu instid0(VALU_DEP_2)
	v_sub_co_ci_u32_e32 v16, vcc_lo, v16, v19, vcc_lo
.LBB11_18:                              ;   in Loop: Header=BB11_4 Depth=1
	s_and_not1_saveexec_b32 s0, s1
	s_cbranch_execz .LBB11_20
; %bb.19:                               ;   in Loop: Header=BB11_4 Depth=1
	v_cvt_f32_u32_e32 v2, s20
	s_sub_i32 s1, 0, s20
	s_delay_alu instid0(VALU_DEP_1) | instskip(SKIP_2) | instid1(VALU_DEP_1)
	v_rcp_iflag_f32_e32 v2, v2
	s_waitcnt_depctr 0xfff
	v_mul_f32_e32 v2, 0x4f7ffffe, v2
	v_cvt_u32_f32_e32 v2, v2
	s_delay_alu instid0(VALU_DEP_1) | instskip(NEXT) | instid1(VALU_DEP_1)
	v_mul_lo_u32 v15, s1, v2
	v_mul_hi_u32 v15, v2, v15
	s_delay_alu instid0(VALU_DEP_1) | instskip(NEXT) | instid1(VALU_DEP_1)
	v_add_nc_u32_e32 v2, v2, v15
	v_mul_hi_u32 v2, v17, v2
	s_delay_alu instid0(VALU_DEP_1) | instskip(SKIP_1) | instid1(VALU_DEP_2)
	v_mul_lo_u32 v15, v2, s20
	v_add_nc_u32_e32 v16, 1, v2
	v_sub_nc_u32_e32 v15, v17, v15
	s_delay_alu instid0(VALU_DEP_1) | instskip(SKIP_1) | instid1(VALU_DEP_2)
	v_subrev_nc_u32_e32 v17, s20, v15
	v_cmp_le_u32_e32 vcc_lo, s20, v15
	v_dual_cndmask_b32 v15, v15, v17 :: v_dual_cndmask_b32 v2, v2, v16
	s_delay_alu instid0(VALU_DEP_1) | instskip(NEXT) | instid1(VALU_DEP_2)
	v_cmp_le_u32_e32 vcc_lo, s20, v15
	v_add_nc_u32_e32 v16, 1, v2
	s_delay_alu instid0(VALU_DEP_1)
	v_dual_cndmask_b32 v15, v2, v16 :: v_dual_mov_b32 v16, v1
.LBB11_20:                              ;   in Loop: Header=BB11_4 Depth=1
	s_or_b32 exec_lo, exec_lo, s0
	v_mul_lo_u32 v2, s56, v11
	v_mul_lo_u32 v19, s55, v12
	v_mad_u64_u32 v[17:18], null, s55, v11, 0
	v_mul_lo_u32 v26, v12, s33
	v_mul_lo_u32 v27, v11, s42
	v_mad_u64_u32 v[21:22], null, v11, s33, 0
	v_mad_u64_u32 v[23:24], null, v15, s20, 0
	v_add3_u32 v18, v18, v19, v2
	v_sub_co_u32 v2, vcc_lo, v17, v15
	v_mul_lo_u32 v17, v16, s20
	v_add3_u32 v22, v22, v27, v26
	s_delay_alu instid0(VALU_DEP_4) | instskip(NEXT) | instid1(VALU_DEP_4)
	v_sub_co_ci_u32_e32 v25, vcc_lo, v18, v16, vcc_lo
	v_mul_lo_u32 v28, s21, v2
	v_mad_u64_u32 v[19:20], null, s20, v2, 0
	s_delay_alu instid0(VALU_DEP_3) | instskip(SKIP_3) | instid1(VALU_DEP_4)
	v_mul_lo_u32 v29, s20, v25
	v_mul_lo_u32 v18, v15, s21
	v_cmp_lt_i64_e32 vcc_lo, 0, v[15:16]
	v_cmp_ge_i64_e64 s0, s[12:13], v[15:16]
	v_add3_u32 v20, v20, v29, v28
	s_delay_alu instid0(VALU_DEP_4) | instskip(SKIP_1) | instid1(VALU_DEP_4)
	v_add3_u32 v24, v24, v18, v17
	v_add_co_u32 v17, s1, v3, v19
	s_and_b32 s0, vcc_lo, s0
	s_delay_alu instid0(VALU_DEP_3) | instskip(SKIP_1) | instid1(VALU_DEP_1)
	v_add_co_ci_u32_e64 v18, s1, v4, v20, s1
	v_sub_co_u32 v21, s1, v3, v21
	v_sub_co_ci_u32_e64 v22, s1, v4, v22, s1
	v_cmp_eq_u64_e64 s1, v[19:20], v[5:6]
	s_delay_alu instid0(VALU_DEP_4)
	v_cmp_lt_i64_e64 s2, s[10:11], v[17:18]
	v_cmp_gt_i64_e64 s3, s[28:29], v[17:18]
	v_cmp_le_i64_e64 s4, s[30:31], v[17:18]
	v_sub_co_u32 v26, s5, v21, v23
	v_mov_b32_e32 v17, 0
	v_mov_b32_e32 v18, 0
	v_sub_co_ci_u32_e64 v27, s5, v22, v24, s5
	s_or_b32 s5, s1, s2
	s_and_b32 s2, s3, s4
	s_and_saveexec_b32 s3, s0
	s_cbranch_execz .LBB11_30
; %bb.21:                               ;   in Loop: Header=BB11_4 Depth=1
	v_sub_co_u32 v17, vcc_lo, s12, v15
	v_sub_co_ci_u32_e32 v18, vcc_lo, s13, v16, vcc_lo
	s_mov_b32 s0, exec_lo
	s_delay_alu instid0(VALU_DEP_2) | instskip(SKIP_1) | instid1(VALU_DEP_3)
	v_mul_lo_u32 v23, v17, s45
	v_mad_u64_u32 v[21:22], null, v17, s44, 0
	v_mul_lo_u32 v18, v18, s44
	v_add_co_u32 v17, vcc_lo, s10, v3
	s_delay_alu instid0(VALU_DEP_2) | instskip(SKIP_2) | instid1(VALU_DEP_3)
	v_add3_u32 v22, v22, v23, v18
	v_add_co_ci_u32_e32 v18, vcc_lo, s11, v4, vcc_lo
	v_add_co_u32 v23, vcc_lo, v19, v21
	v_add_co_ci_u32_e32 v24, vcc_lo, v20, v22, vcc_lo
	s_delay_alu instid0(VALU_DEP_2) | instskip(NEXT) | instid1(VALU_DEP_2)
	v_add_co_u32 v23, vcc_lo, v17, v23
	v_add_co_ci_u32_e32 v24, vcc_lo, v18, v24, vcc_lo
	v_mov_b32_e32 v17, 0
	v_mov_b32_e32 v18, 0
	s_delay_alu instid0(VALU_DEP_3)
	v_cmpx_gt_i64_e64 s[14:15], v[23:24]
	s_cbranch_execz .LBB11_23
; %bb.22:                               ;   in Loop: Header=BB11_4 Depth=1
	v_mul_lo_u32 v30, s47, v9
	v_mul_lo_u32 v31, s52, v10
	v_mad_u64_u32 v[17:18], null, s52, v9, 0
	v_mul_lo_u32 v32, v14, s14
	v_mul_lo_u32 v33, v13, s15
	v_mad_u64_u32 v[28:29], null, v13, s14, 0
	s_delay_alu instid0(VALU_DEP_4) | instskip(NEXT) | instid1(VALU_DEP_2)
	v_add3_u32 v18, v18, v31, v30
	v_add3_u32 v29, v29, v33, v32
	s_delay_alu instid0(VALU_DEP_2) | instskip(NEXT) | instid1(VALU_DEP_2)
	v_lshlrev_b64 v[17:18], 3, v[17:18]
	v_lshlrev_b64 v[28:29], 3, v[28:29]
	s_delay_alu instid0(VALU_DEP_2) | instskip(NEXT) | instid1(VALU_DEP_3)
	v_add_co_u32 v30, vcc_lo, s18, v17
	v_add_co_ci_u32_e32 v31, vcc_lo, s19, v18, vcc_lo
	v_lshlrev_b64 v[17:18], 3, v[23:24]
	s_delay_alu instid0(VALU_DEP_3) | instskip(NEXT) | instid1(VALU_DEP_3)
	v_add_co_u32 v23, vcc_lo, v30, v28
	v_add_co_ci_u32_e32 v24, vcc_lo, v31, v29, vcc_lo
	s_delay_alu instid0(VALU_DEP_2) | instskip(NEXT) | instid1(VALU_DEP_2)
	v_add_co_u32 v17, vcc_lo, v23, v17
	v_add_co_ci_u32_e32 v18, vcc_lo, v24, v18, vcc_lo
	global_load_b64 v[17:18], v[17:18], off
	s_waitcnt vmcnt(0)
	v_add_f64 v[17:18], v[17:18], 0
.LBB11_23:                              ;   in Loop: Header=BB11_4 Depth=1
	s_or_b32 exec_lo, exec_lo, s0
	s_mov_b32 s1, 0
                                        ; implicit-def: $vgpr23_vgpr24
	s_and_saveexec_b32 s0, s5
	s_delay_alu instid0(SALU_CYCLE_1)
	s_xor_b32 s4, exec_lo, s0
	s_cbranch_execz .LBB11_49
; %bb.24:                               ;   in Loop: Header=BB11_4 Depth=1
	s_mov_b32 s0, 0
                                        ; implicit-def: $vgpr23_vgpr24
	s_and_saveexec_b32 s1, s2
	s_delay_alu instid0(SALU_CYCLE_1)
	s_xor_b32 s62, exec_lo, s1
	s_cbranch_execz .LBB11_26
; %bb.25:                               ;   in Loop: Header=BB11_4 Depth=1
	v_mad_u64_u32 v[23:24], null, s22, v11, v[15:16]
	v_mul_lo_u32 v28, s22, v12
	v_mul_lo_u32 v29, s23, v11
	s_delay_alu instid0(VALU_DEP_1) | instskip(NEXT) | instid1(VALU_DEP_4)
	v_add3_u32 v24, v29, v24, v28
	v_add_co_u32 v28, vcc_lo, v23, 2
	s_delay_alu instid0(VALU_DEP_2) | instskip(NEXT) | instid1(VALU_DEP_2)
	v_add_co_ci_u32_e32 v29, vcc_lo, 0, v24, vcc_lo
	v_mul_lo_u32 v30, s21, v28
	v_mad_u64_u32 v[23:24], null, s20, v28, v[21:22]
	s_delay_alu instid0(VALU_DEP_3) | instskip(SKIP_2) | instid1(VALU_DEP_2)
	v_mul_lo_u32 v28, s20, v29
	v_add_co_u32 v29, vcc_lo, s10, v5
	v_add_co_ci_u32_e32 v31, vcc_lo, s11, v6, vcc_lo
	v_add_co_u32 v23, vcc_lo, v29, v23
	s_delay_alu instid0(VALU_DEP_4) | instskip(NEXT) | instid1(VALU_DEP_1)
	v_add3_u32 v24, v30, v24, v28
	v_add_co_ci_u32_e32 v24, vcc_lo, v31, v24, vcc_lo
	s_delay_alu instid0(VALU_DEP_3) | instskip(NEXT) | instid1(VALU_DEP_2)
	v_add_co_u32 v23, vcc_lo, v23, -2
	v_add_co_ci_u32_e32 v24, vcc_lo, -1, v24, vcc_lo
	v_sub_co_u32 v28, vcc_lo, s48, v26
	v_sub_co_ci_u32_e32 v29, vcc_lo, s49, v27, vcc_lo
	s_delay_alu instid0(VALU_DEP_3) | instskip(SKIP_1) | instid1(VALU_DEP_4)
	v_cmp_lt_i64_e32 vcc_lo, -1, v[23:24]
	v_cmp_gt_i64_e64 s0, s[14:15], v[23:24]
	v_add_co_u32 v23, s1, v28, v21
	s_delay_alu instid0(VALU_DEP_1) | instskip(NEXT) | instid1(VALU_DEP_3)
	v_add_co_ci_u32_e64 v24, s1, v29, v22, s1
	s_and_b32 s0, vcc_lo, s0
	s_delay_alu instid0(SALU_CYCLE_1)
	s_and_b32 s0, s0, exec_lo
.LBB11_26:                              ;   in Loop: Header=BB11_4 Depth=1
	s_or_b32 exec_lo, exec_lo, s62
	s_delay_alu instid0(SALU_CYCLE_1)
	s_and_b32 s1, s0, exec_lo
                                        ; implicit-def: $vgpr21_vgpr22
	s_and_not1_saveexec_b32 s4, s4
	s_cbranch_execnz .LBB11_50
.LBB11_27:                              ;   in Loop: Header=BB11_4 Depth=1
	s_or_b32 exec_lo, exec_lo, s4
	s_and_saveexec_b32 s0, s1
	s_cbranch_execz .LBB11_29
.LBB11_28:                              ;   in Loop: Header=BB11_4 Depth=1
	v_mul_lo_u32 v30, s47, v9
	v_mul_lo_u32 v31, s52, v10
	v_mad_u64_u32 v[21:22], null, s52, v9, 0
	v_mul_lo_u32 v32, v14, s14
	v_mul_lo_u32 v33, v13, s15
	v_mad_u64_u32 v[28:29], null, v13, s14, 0
	s_delay_alu instid0(VALU_DEP_4) | instskip(NEXT) | instid1(VALU_DEP_2)
	v_add3_u32 v22, v22, v31, v30
	v_add3_u32 v29, v29, v33, v32
	s_delay_alu instid0(VALU_DEP_2) | instskip(NEXT) | instid1(VALU_DEP_2)
	v_lshlrev_b64 v[21:22], 3, v[21:22]
	v_lshlrev_b64 v[28:29], 3, v[28:29]
	s_delay_alu instid0(VALU_DEP_2) | instskip(NEXT) | instid1(VALU_DEP_3)
	v_add_co_u32 v30, vcc_lo, s18, v21
	v_add_co_ci_u32_e32 v31, vcc_lo, s19, v22, vcc_lo
	v_lshlrev_b64 v[21:22], 3, v[23:24]
	s_delay_alu instid0(VALU_DEP_3) | instskip(NEXT) | instid1(VALU_DEP_3)
	v_add_co_u32 v23, vcc_lo, v30, v28
	v_add_co_ci_u32_e32 v24, vcc_lo, v31, v29, vcc_lo
	s_delay_alu instid0(VALU_DEP_2) | instskip(NEXT) | instid1(VALU_DEP_2)
	v_add_co_u32 v21, vcc_lo, v23, v21
	v_add_co_ci_u32_e32 v22, vcc_lo, v24, v22, vcc_lo
	global_load_b64 v[21:22], v[21:22], off
	s_waitcnt vmcnt(0)
	v_add_f64 v[17:18], v[17:18], v[21:22]
.LBB11_29:                              ;   in Loop: Header=BB11_4 Depth=1
	s_or_b32 exec_lo, exec_lo, s0
.LBB11_30:                              ;   in Loop: Header=BB11_4 Depth=1
	s_delay_alu instid0(SALU_CYCLE_1) | instskip(SKIP_2) | instid1(VALU_DEP_1)
	s_or_b32 exec_lo, exec_lo, s3
	v_cmp_gt_i64_e32 vcc_lo, s[24:25], v[15:16]
	v_cmp_le_i64_e64 s0, s[26:27], v[15:16]
	s_and_b32 s0, vcc_lo, s0
	s_delay_alu instid0(SALU_CYCLE_1)
	s_and_saveexec_b32 s3, s0
	s_cbranch_execz .LBB11_40
; %bb.31:                               ;   in Loop: Header=BB11_4 Depth=1
	v_sub_co_u32 v23, vcc_lo, s50, v15
	v_sub_co_ci_u32_e32 v21, vcc_lo, s51, v16, vcc_lo
	s_delay_alu instid0(VALU_DEP_2) | instskip(NEXT) | instid1(VALU_DEP_2)
	v_mul_lo_u32 v24, s45, v23
	v_mul_lo_u32 v28, s44, v21
	v_mad_u64_u32 v[21:22], null, s44, v23, 0
	v_add_co_u32 v23, vcc_lo, s10, v3
	s_delay_alu instid0(VALU_DEP_2) | instskip(SKIP_1) | instid1(VALU_DEP_4)
	v_add3_u32 v22, v22, v28, v24
	v_add_co_ci_u32_e32 v24, vcc_lo, s11, v4, vcc_lo
	v_add_co_u32 v28, vcc_lo, v21, v19
	s_delay_alu instid0(VALU_DEP_3) | instskip(NEXT) | instid1(VALU_DEP_2)
	v_add_co_ci_u32_e32 v29, vcc_lo, v22, v20, vcc_lo
	v_add_co_u32 v23, vcc_lo, v23, v28
	s_delay_alu instid0(VALU_DEP_2) | instskip(NEXT) | instid1(VALU_DEP_1)
	v_add_co_ci_u32_e32 v24, vcc_lo, v24, v29, vcc_lo
	v_cmp_lt_i64_e32 vcc_lo, -1, v[23:24]
	v_cmp_gt_i64_e64 s0, s[14:15], v[23:24]
	s_delay_alu instid0(VALU_DEP_1) | instskip(NEXT) | instid1(SALU_CYCLE_1)
	s_and_b32 s1, vcc_lo, s0
	s_and_saveexec_b32 s0, s1
	s_cbranch_execz .LBB11_33
; %bb.32:                               ;   in Loop: Header=BB11_4 Depth=1
	v_mul_lo_u32 v32, s47, v9
	v_mul_lo_u32 v33, s52, v10
	v_mad_u64_u32 v[28:29], null, s52, v9, 0
	v_mul_lo_u32 v34, v14, s14
	v_mul_lo_u32 v35, v13, s15
	v_mad_u64_u32 v[30:31], null, v13, s14, 0
	v_lshlrev_b64 v[23:24], 3, v[23:24]
	v_add3_u32 v29, v29, v33, v32
	s_delay_alu instid0(VALU_DEP_3) | instskip(NEXT) | instid1(VALU_DEP_2)
	v_add3_u32 v31, v31, v35, v34
	v_lshlrev_b64 v[28:29], 3, v[28:29]
	s_delay_alu instid0(VALU_DEP_2) | instskip(NEXT) | instid1(VALU_DEP_2)
	v_lshlrev_b64 v[30:31], 3, v[30:31]
	v_add_co_u32 v28, vcc_lo, s18, v28
	s_delay_alu instid0(VALU_DEP_3) | instskip(NEXT) | instid1(VALU_DEP_2)
	v_add_co_ci_u32_e32 v29, vcc_lo, s19, v29, vcc_lo
	v_add_co_u32 v28, vcc_lo, v28, v30
	s_delay_alu instid0(VALU_DEP_2) | instskip(NEXT) | instid1(VALU_DEP_2)
	v_add_co_ci_u32_e32 v29, vcc_lo, v29, v31, vcc_lo
	v_add_co_u32 v23, vcc_lo, v28, v23
	s_delay_alu instid0(VALU_DEP_2)
	v_add_co_ci_u32_e32 v24, vcc_lo, v29, v24, vcc_lo
	global_load_b64 v[23:24], v[23:24], off
	s_waitcnt vmcnt(0)
	v_add_f64 v[17:18], v[17:18], v[23:24]
.LBB11_33:                              ;   in Loop: Header=BB11_4 Depth=1
	s_or_b32 exec_lo, exec_lo, s0
	s_mov_b32 s1, 0
                                        ; implicit-def: $vgpr23_vgpr24
	s_and_saveexec_b32 s0, s5
	s_delay_alu instid0(SALU_CYCLE_1)
	s_xor_b32 s4, exec_lo, s0
	s_cbranch_execz .LBB11_51
; %bb.34:                               ;   in Loop: Header=BB11_4 Depth=1
	s_mov_b32 s0, 0
                                        ; implicit-def: $vgpr23_vgpr24
	s_and_saveexec_b32 s1, s2
	s_delay_alu instid0(SALU_CYCLE_1)
	s_xor_b32 s62, exec_lo, s1
	s_cbranch_execz .LBB11_36
; %bb.35:                               ;   in Loop: Header=BB11_4 Depth=1
	v_mad_u64_u32 v[23:24], null, s22, v11, v[15:16]
	v_mul_lo_u32 v28, s22, v12
	v_mul_lo_u32 v29, s23, v11
	s_delay_alu instid0(VALU_DEP_1) | instskip(NEXT) | instid1(VALU_DEP_4)
	v_add3_u32 v24, v29, v24, v28
	v_add_co_u32 v28, vcc_lo, v23, 2
	s_delay_alu instid0(VALU_DEP_2) | instskip(NEXT) | instid1(VALU_DEP_2)
	v_add_co_ci_u32_e32 v29, vcc_lo, 0, v24, vcc_lo
	v_mul_lo_u32 v30, s21, v28
	v_mad_u64_u32 v[23:24], null, s20, v28, v[21:22]
	s_delay_alu instid0(VALU_DEP_3) | instskip(SKIP_2) | instid1(VALU_DEP_2)
	v_mul_lo_u32 v28, s20, v29
	v_add_co_u32 v29, vcc_lo, s10, v5
	v_add_co_ci_u32_e32 v31, vcc_lo, s11, v6, vcc_lo
	v_add_co_u32 v23, vcc_lo, v29, v23
	s_delay_alu instid0(VALU_DEP_4) | instskip(NEXT) | instid1(VALU_DEP_1)
	v_add3_u32 v24, v30, v24, v28
	v_add_co_ci_u32_e32 v24, vcc_lo, v31, v24, vcc_lo
	s_delay_alu instid0(VALU_DEP_3) | instskip(NEXT) | instid1(VALU_DEP_2)
	v_add_co_u32 v23, vcc_lo, v23, -2
	v_add_co_ci_u32_e32 v24, vcc_lo, -1, v24, vcc_lo
	v_add_co_u32 v21, vcc_lo, s53, v21
	v_add_co_ci_u32_e32 v22, vcc_lo, s54, v22, vcc_lo
	s_delay_alu instid0(VALU_DEP_3) | instskip(SKIP_1) | instid1(VALU_DEP_4)
	v_cmp_lt_i64_e32 vcc_lo, -1, v[23:24]
	v_cmp_gt_i64_e64 s0, s[14:15], v[23:24]
	v_sub_co_u32 v23, s1, v21, v26
	s_delay_alu instid0(VALU_DEP_1) | instskip(NEXT) | instid1(VALU_DEP_3)
	v_sub_co_ci_u32_e64 v24, s1, v22, v27, s1
	s_and_b32 s0, vcc_lo, s0
	s_delay_alu instid0(SALU_CYCLE_1)
	s_and_b32 s0, s0, exec_lo
.LBB11_36:                              ;   in Loop: Header=BB11_4 Depth=1
	s_or_b32 exec_lo, exec_lo, s62
	s_delay_alu instid0(SALU_CYCLE_1)
	s_and_b32 s1, s0, exec_lo
                                        ; implicit-def: $vgpr21_vgpr22
	s_and_not1_saveexec_b32 s4, s4
	s_cbranch_execnz .LBB11_52
.LBB11_37:                              ;   in Loop: Header=BB11_4 Depth=1
	s_or_b32 exec_lo, exec_lo, s4
	s_and_saveexec_b32 s0, s1
	s_cbranch_execz .LBB11_39
.LBB11_38:                              ;   in Loop: Header=BB11_4 Depth=1
	v_mul_lo_u32 v28, s47, v9
	v_mul_lo_u32 v29, s52, v10
	v_mad_u64_u32 v[21:22], null, s52, v9, 0
	v_mul_lo_u32 v30, v14, s14
	v_mul_lo_u32 v31, v13, s15
	v_mad_u64_u32 v[26:27], null, v13, s14, 0
	s_delay_alu instid0(VALU_DEP_4) | instskip(NEXT) | instid1(VALU_DEP_2)
	v_add3_u32 v22, v22, v29, v28
	v_add3_u32 v27, v27, v31, v30
	s_delay_alu instid0(VALU_DEP_2) | instskip(NEXT) | instid1(VALU_DEP_2)
	v_lshlrev_b64 v[21:22], 3, v[21:22]
	v_lshlrev_b64 v[26:27], 3, v[26:27]
	s_delay_alu instid0(VALU_DEP_2) | instskip(NEXT) | instid1(VALU_DEP_3)
	v_add_co_u32 v28, vcc_lo, s18, v21
	v_add_co_ci_u32_e32 v29, vcc_lo, s19, v22, vcc_lo
	v_lshlrev_b64 v[21:22], 3, v[23:24]
	s_delay_alu instid0(VALU_DEP_3) | instskip(NEXT) | instid1(VALU_DEP_3)
	v_add_co_u32 v23, vcc_lo, v28, v26
	v_add_co_ci_u32_e32 v24, vcc_lo, v29, v27, vcc_lo
	s_delay_alu instid0(VALU_DEP_2) | instskip(NEXT) | instid1(VALU_DEP_2)
	v_add_co_u32 v21, vcc_lo, v23, v21
	v_add_co_ci_u32_e32 v22, vcc_lo, v24, v22, vcc_lo
	global_load_b64 v[21:22], v[21:22], off
	s_waitcnt vmcnt(0)
	v_add_f64 v[17:18], v[17:18], v[21:22]
.LBB11_39:                              ;   in Loop: Header=BB11_4 Depth=1
	s_or_b32 exec_lo, exec_lo, s0
.LBB11_40:                              ;   in Loop: Header=BB11_4 Depth=1
	s_delay_alu instid0(SALU_CYCLE_1) | instskip(SKIP_1) | instid1(SALU_CYCLE_1)
	s_or_b32 exec_lo, exec_lo, s3
                                        ; implicit-def: $vgpr21_vgpr22
	s_and_saveexec_b32 s0, s5
	s_xor_b32 s0, exec_lo, s0
	s_cbranch_execz .LBB11_43
; %bb.41:                               ;   in Loop: Header=BB11_4 Depth=1
	v_add_co_u32 v19, vcc_lo, v15, s12
	v_add_co_ci_u32_e32 v20, vcc_lo, s13, v16, vcc_lo
	s_delay_alu instid0(VALU_DEP_2) | instskip(SKIP_1) | instid1(VALU_DEP_3)
	v_mul_lo_u32 v23, v19, s45
	v_mad_u64_u32 v[21:22], null, v19, s44, 0
	v_mul_lo_u32 v20, v20, s44
	s_delay_alu instid0(VALU_DEP_1)
	v_add3_u32 v22, v22, v23, v20
                                        ; implicit-def: $vgpr19_vgpr20
	s_and_not1_saveexec_b32 s1, s0
	s_cbranch_execnz .LBB11_44
.LBB11_42:                              ;   in Loop: Header=BB11_4 Depth=1
	s_or_b32 exec_lo, exec_lo, s1
	s_and_saveexec_b32 s1, s2
	s_cbranch_execz .LBB11_3
	s_branch .LBB11_47
.LBB11_43:                              ;   in Loop: Header=BB11_4 Depth=1
	s_and_not1_saveexec_b32 s1, s0
	s_cbranch_execz .LBB11_42
.LBB11_44:                              ;   in Loop: Header=BB11_4 Depth=1
	v_add_co_u32 v23, vcc_lo, v15, s12
	v_add_co_ci_u32_e32 v21, vcc_lo, s13, v16, vcc_lo
	s_delay_alu instid0(VALU_DEP_2) | instskip(NEXT) | instid1(VALU_DEP_2)
	v_mul_lo_u32 v26, v23, s45
	v_mul_lo_u32 v24, v21, s44
	v_mad_u64_u32 v[21:22], null, v23, s44, 0
	v_add_co_u32 v23, vcc_lo, s10, v5
	s_delay_alu instid0(VALU_DEP_2) | instskip(SKIP_1) | instid1(VALU_DEP_4)
	v_add3_u32 v22, v22, v26, v24
	v_add_co_ci_u32_e32 v24, vcc_lo, s11, v6, vcc_lo
	v_sub_co_u32 v19, vcc_lo, v21, v19
	s_delay_alu instid0(VALU_DEP_3) | instskip(NEXT) | instid1(VALU_DEP_2)
	v_sub_co_ci_u32_e32 v20, vcc_lo, v22, v20, vcc_lo
	v_add_co_u32 v19, vcc_lo, v23, v19
	s_delay_alu instid0(VALU_DEP_2) | instskip(NEXT) | instid1(VALU_DEP_1)
	v_add_co_ci_u32_e32 v20, vcc_lo, v24, v20, vcc_lo
	v_cmp_lt_i64_e32 vcc_lo, -1, v[19:20]
	v_cmp_gt_i64_e64 s0, s[14:15], v[19:20]
	s_delay_alu instid0(VALU_DEP_1) | instskip(NEXT) | instid1(SALU_CYCLE_1)
	s_and_b32 s3, vcc_lo, s0
	s_and_saveexec_b32 s0, s3
	s_cbranch_execz .LBB11_46
; %bb.45:                               ;   in Loop: Header=BB11_4 Depth=1
	v_mul_lo_u32 v28, s47, v9
	v_mul_lo_u32 v29, s52, v10
	v_mad_u64_u32 v[23:24], null, s52, v9, 0
	v_mul_lo_u32 v30, v14, s14
	v_mul_lo_u32 v31, v13, s15
	v_mad_u64_u32 v[26:27], null, v13, s14, 0
	v_lshlrev_b64 v[19:20], 3, v[19:20]
	v_add3_u32 v24, v24, v29, v28
	s_delay_alu instid0(VALU_DEP_3) | instskip(NEXT) | instid1(VALU_DEP_2)
	v_add3_u32 v27, v27, v31, v30
	v_lshlrev_b64 v[23:24], 3, v[23:24]
	s_delay_alu instid0(VALU_DEP_2) | instskip(NEXT) | instid1(VALU_DEP_2)
	v_lshlrev_b64 v[26:27], 3, v[26:27]
	v_add_co_u32 v23, vcc_lo, s18, v23
	s_delay_alu instid0(VALU_DEP_3) | instskip(NEXT) | instid1(VALU_DEP_2)
	v_add_co_ci_u32_e32 v24, vcc_lo, s19, v24, vcc_lo
	v_add_co_u32 v23, vcc_lo, v23, v26
	s_delay_alu instid0(VALU_DEP_2) | instskip(NEXT) | instid1(VALU_DEP_2)
	v_add_co_ci_u32_e32 v24, vcc_lo, v24, v27, vcc_lo
	v_add_co_u32 v19, vcc_lo, v23, v19
	s_delay_alu instid0(VALU_DEP_2)
	v_add_co_ci_u32_e32 v20, vcc_lo, v24, v20, vcc_lo
	global_load_b64 v[19:20], v[19:20], off
	s_waitcnt vmcnt(0)
	v_add_f64 v[17:18], v[17:18], v[19:20]
.LBB11_46:                              ;   in Loop: Header=BB11_4 Depth=1
	s_or_b32 exec_lo, exec_lo, s0
	s_delay_alu instid0(SALU_CYCLE_1)
	s_or_b32 exec_lo, exec_lo, s1
	s_and_saveexec_b32 s1, s2
	s_cbranch_execz .LBB11_3
.LBB11_47:                              ;   in Loop: Header=BB11_4 Depth=1
	v_mad_u64_u32 v[19:20], null, s22, v11, v[15:16]
	v_mul_lo_u32 v12, s22, v12
	v_mul_lo_u32 v11, s23, v11
	s_delay_alu instid0(VALU_DEP_3) | instskip(NEXT) | instid1(VALU_DEP_2)
	v_add_co_u32 v15, vcc_lo, v19, 2
	v_add3_u32 v11, v11, v20, v12
	s_delay_alu instid0(VALU_DEP_2) | instskip(NEXT) | instid1(VALU_DEP_2)
	v_mul_lo_u32 v19, s21, v15
	v_add_co_ci_u32_e32 v16, vcc_lo, 0, v11, vcc_lo
	v_mad_u64_u32 v[11:12], null, s20, v15, v[21:22]
	s_delay_alu instid0(VALU_DEP_2) | instskip(SKIP_2) | instid1(VALU_DEP_2)
	v_mul_lo_u32 v15, s20, v16
	v_add_co_u32 v16, vcc_lo, s10, v5
	v_add_co_ci_u32_e32 v20, vcc_lo, s11, v6, vcc_lo
	v_add_co_u32 v11, vcc_lo, v16, v11
	s_delay_alu instid0(VALU_DEP_4) | instskip(NEXT) | instid1(VALU_DEP_1)
	v_add3_u32 v12, v19, v12, v15
	v_add_co_ci_u32_e32 v12, vcc_lo, v20, v12, vcc_lo
	s_delay_alu instid0(VALU_DEP_3) | instskip(NEXT) | instid1(VALU_DEP_2)
	v_add_co_u32 v11, vcc_lo, v11, -2
	v_add_co_ci_u32_e32 v12, vcc_lo, -1, v12, vcc_lo
	s_delay_alu instid0(VALU_DEP_1) | instskip(SKIP_1) | instid1(VALU_DEP_1)
	v_cmp_lt_i64_e32 vcc_lo, -1, v[11:12]
	v_cmp_gt_i64_e64 s0, s[14:15], v[11:12]
	s_and_b32 s2, vcc_lo, s0
	s_delay_alu instid0(SALU_CYCLE_1)
	s_and_saveexec_b32 s0, s2
	s_cbranch_execz .LBB11_2
; %bb.48:                               ;   in Loop: Header=BB11_4 Depth=1
	v_mul_lo_u32 v23, s47, v9
	v_mul_lo_u32 v24, s52, v10
	v_mad_u64_u32 v[15:16], null, s52, v9, 0
	v_mul_lo_u32 v26, v14, s14
	v_mul_lo_u32 v27, v13, s15
	v_mad_u64_u32 v[19:20], null, v13, s14, 0
	v_lshlrev_b64 v[11:12], 3, v[11:12]
	v_add3_u32 v16, v16, v24, v23
	s_delay_alu instid0(VALU_DEP_3) | instskip(NEXT) | instid1(VALU_DEP_2)
	v_add3_u32 v20, v20, v27, v26
	v_lshlrev_b64 v[15:16], 3, v[15:16]
	s_delay_alu instid0(VALU_DEP_2) | instskip(NEXT) | instid1(VALU_DEP_2)
	v_lshlrev_b64 v[19:20], 3, v[19:20]
	v_add_co_u32 v15, vcc_lo, s18, v15
	s_delay_alu instid0(VALU_DEP_3) | instskip(NEXT) | instid1(VALU_DEP_2)
	v_add_co_ci_u32_e32 v16, vcc_lo, s19, v16, vcc_lo
	v_add_co_u32 v15, vcc_lo, v15, v19
	s_delay_alu instid0(VALU_DEP_2) | instskip(NEXT) | instid1(VALU_DEP_2)
	v_add_co_ci_u32_e32 v16, vcc_lo, v16, v20, vcc_lo
	v_add_co_u32 v11, vcc_lo, v15, v11
	s_delay_alu instid0(VALU_DEP_2)
	v_add_co_ci_u32_e32 v12, vcc_lo, v16, v12, vcc_lo
	global_load_b64 v[11:12], v[11:12], off
	s_waitcnt vmcnt(0)
	v_add_f64 v[17:18], v[17:18], v[11:12]
	s_branch .LBB11_2
.LBB11_49:                              ;   in Loop: Header=BB11_4 Depth=1
	s_and_not1_saveexec_b32 s4, s4
	s_cbranch_execz .LBB11_27
.LBB11_50:                              ;   in Loop: Header=BB11_4 Depth=1
	v_sub_co_u32 v21, vcc_lo, v21, v19
	v_sub_co_ci_u32_e32 v22, vcc_lo, v22, v20, vcc_lo
	v_add_co_u32 v23, vcc_lo, s10, v5
	v_add_co_ci_u32_e32 v24, vcc_lo, s11, v6, vcc_lo
	s_and_not1_b32 s1, s1, exec_lo
	s_delay_alu instid0(VALU_DEP_2) | instskip(NEXT) | instid1(VALU_DEP_2)
	v_add_co_u32 v23, vcc_lo, v23, v21
	v_add_co_ci_u32_e32 v24, vcc_lo, v24, v22, vcc_lo
	s_delay_alu instid0(VALU_DEP_1) | instskip(SKIP_1) | instid1(VALU_DEP_1)
	v_cmp_lt_i64_e32 vcc_lo, -1, v[23:24]
	v_cmp_gt_i64_e64 s0, s[14:15], v[23:24]
	s_and_b32 s0, vcc_lo, s0
	s_delay_alu instid0(SALU_CYCLE_1) | instskip(NEXT) | instid1(SALU_CYCLE_1)
	s_and_b32 s0, s0, exec_lo
	s_or_b32 s1, s1, s0
	s_or_b32 exec_lo, exec_lo, s4
	s_and_saveexec_b32 s0, s1
	s_cbranch_execnz .LBB11_28
	s_branch .LBB11_29
.LBB11_51:                              ;   in Loop: Header=BB11_4 Depth=1
	s_and_not1_saveexec_b32 s4, s4
	s_cbranch_execz .LBB11_37
.LBB11_52:                              ;   in Loop: Header=BB11_4 Depth=1
	v_sub_co_u32 v21, vcc_lo, v21, v19
	v_sub_co_ci_u32_e32 v22, vcc_lo, v22, v20, vcc_lo
	v_add_co_u32 v23, vcc_lo, s10, v5
	v_add_co_ci_u32_e32 v24, vcc_lo, s11, v6, vcc_lo
	s_and_not1_b32 s1, s1, exec_lo
	s_delay_alu instid0(VALU_DEP_2) | instskip(NEXT) | instid1(VALU_DEP_2)
	v_add_co_u32 v23, vcc_lo, v23, v21
	v_add_co_ci_u32_e32 v24, vcc_lo, v24, v22, vcc_lo
	s_delay_alu instid0(VALU_DEP_1) | instskip(SKIP_1) | instid1(VALU_DEP_1)
	v_cmp_lt_i64_e32 vcc_lo, -1, v[23:24]
	v_cmp_gt_i64_e64 s0, s[14:15], v[23:24]
	s_and_b32 s0, vcc_lo, s0
	s_delay_alu instid0(SALU_CYCLE_1) | instskip(NEXT) | instid1(SALU_CYCLE_1)
	s_and_b32 s0, s0, exec_lo
	s_or_b32 s1, s1, s0
	s_or_b32 exec_lo, exec_lo, s4
	s_and_saveexec_b32 s0, s1
	s_cbranch_execnz .LBB11_38
	s_branch .LBB11_39
.LBB11_53:
	s_nop 0
	s_sendmsg sendmsg(MSG_DEALLOC_VGPRS)
	s_endpgm
	.section	.rodata,"a",@progbits
	.p2align	6, 0x0
	.amdhsa_kernel _ZN2at6native12_GLOBAL__N_140reflection_pad2d_backward_det_out_kernelIdEEvPT_PKS3_lliiiiiii
		.amdhsa_group_segment_fixed_size 0
		.amdhsa_private_segment_fixed_size 0
		.amdhsa_kernarg_size 320
		.amdhsa_user_sgpr_count 15
		.amdhsa_user_sgpr_dispatch_ptr 0
		.amdhsa_user_sgpr_queue_ptr 0
		.amdhsa_user_sgpr_kernarg_segment_ptr 1
		.amdhsa_user_sgpr_dispatch_id 0
		.amdhsa_user_sgpr_private_segment_size 0
		.amdhsa_wavefront_size32 1
		.amdhsa_uses_dynamic_stack 0
		.amdhsa_enable_private_segment 0
		.amdhsa_system_sgpr_workgroup_id_x 1
		.amdhsa_system_sgpr_workgroup_id_y 0
		.amdhsa_system_sgpr_workgroup_id_z 0
		.amdhsa_system_sgpr_workgroup_info 0
		.amdhsa_system_vgpr_workitem_id 0
		.amdhsa_next_free_vgpr 36
		.amdhsa_next_free_sgpr 63
		.amdhsa_reserve_vcc 1
		.amdhsa_float_round_mode_32 0
		.amdhsa_float_round_mode_16_64 0
		.amdhsa_float_denorm_mode_32 3
		.amdhsa_float_denorm_mode_16_64 3
		.amdhsa_dx10_clamp 1
		.amdhsa_ieee_mode 1
		.amdhsa_fp16_overflow 0
		.amdhsa_workgroup_processor_mode 1
		.amdhsa_memory_ordered 1
		.amdhsa_forward_progress 0
		.amdhsa_shared_vgpr_count 0
		.amdhsa_exception_fp_ieee_invalid_op 0
		.amdhsa_exception_fp_denorm_src 0
		.amdhsa_exception_fp_ieee_div_zero 0
		.amdhsa_exception_fp_ieee_overflow 0
		.amdhsa_exception_fp_ieee_underflow 0
		.amdhsa_exception_fp_ieee_inexact 0
		.amdhsa_exception_int_div_zero 0
	.end_amdhsa_kernel
	.section	.text._ZN2at6native12_GLOBAL__N_140reflection_pad2d_backward_det_out_kernelIdEEvPT_PKS3_lliiiiiii,"axG",@progbits,_ZN2at6native12_GLOBAL__N_140reflection_pad2d_backward_det_out_kernelIdEEvPT_PKS3_lliiiiiii,comdat
.Lfunc_end11:
	.size	_ZN2at6native12_GLOBAL__N_140reflection_pad2d_backward_det_out_kernelIdEEvPT_PKS3_lliiiiiii, .Lfunc_end11-_ZN2at6native12_GLOBAL__N_140reflection_pad2d_backward_det_out_kernelIdEEvPT_PKS3_lliiiiiii
                                        ; -- End function
	.section	.AMDGPU.csdata,"",@progbits
; Kernel info:
; codeLenInByte = 7500
; NumSgprs: 65
; NumVgprs: 36
; ScratchSize: 0
; MemoryBound: 0
; FloatMode: 240
; IeeeMode: 1
; LDSByteSize: 0 bytes/workgroup (compile time only)
; SGPRBlocks: 8
; VGPRBlocks: 4
; NumSGPRsForWavesPerEU: 65
; NumVGPRsForWavesPerEU: 36
; Occupancy: 16
; WaveLimiterHint : 0
; COMPUTE_PGM_RSRC2:SCRATCH_EN: 0
; COMPUTE_PGM_RSRC2:USER_SGPR: 15
; COMPUTE_PGM_RSRC2:TRAP_HANDLER: 0
; COMPUTE_PGM_RSRC2:TGID_X_EN: 1
; COMPUTE_PGM_RSRC2:TGID_Y_EN: 0
; COMPUTE_PGM_RSRC2:TGID_Z_EN: 0
; COMPUTE_PGM_RSRC2:TIDIG_COMP_CNT: 0
	.section	.text._ZN2at6native12_GLOBAL__N_136reflection_pad2d_backward_out_kernelIdEEvPT_PKS3_lliiiiiii,"axG",@progbits,_ZN2at6native12_GLOBAL__N_136reflection_pad2d_backward_out_kernelIdEEvPT_PKS3_lliiiiiii,comdat
	.globl	_ZN2at6native12_GLOBAL__N_136reflection_pad2d_backward_out_kernelIdEEvPT_PKS3_lliiiiiii ; -- Begin function _ZN2at6native12_GLOBAL__N_136reflection_pad2d_backward_out_kernelIdEEvPT_PKS3_lliiiiiii
	.p2align	8
	.type	_ZN2at6native12_GLOBAL__N_136reflection_pad2d_backward_out_kernelIdEEvPT_PKS3_lliiiiiii,@function
_ZN2at6native12_GLOBAL__N_136reflection_pad2d_backward_out_kernelIdEEvPT_PKS3_lliiiiiii: ; @_ZN2at6native12_GLOBAL__N_136reflection_pad2d_backward_out_kernelIdEEvPT_PKS3_lliiiiiii
; %bb.0:
	s_clause 0x2
	s_load_b32 s2, s[0:1], 0x4c
	s_load_b128 s[16:19], s[0:1], 0x20
	s_load_b256 s[4:11], s[0:1], 0x0
	s_waitcnt lgkmcnt(0)
	s_and_b32 s2, s2, 0xffff
	s_ashr_i32 s3, s18, 31
	s_add_u32 s27, s18, s8
	v_mad_u64_u32 v[1:2], null, s13, s2, v[0:1]
	s_addc_u32 s28, s3, s9
	s_ashr_i32 s2, s19, 31
	s_add_u32 s26, s27, s19
	s_addc_u32 s13, s28, s2
	s_ashr_i32 s21, s16, 31
	s_add_u32 s31, s16, s10
	;; [unrolled: 3-line block ×3, first 2 shown]
	s_addc_u32 s29, s33, s2
	s_mul_hi_u32 s2, s26, s30
	s_mul_i32 s12, s26, s29
	v_mov_b32_e32 v2, 0
	s_mul_i32 s17, s13, s30
	s_add_i32 s2, s2, s12
	s_mul_i32 s22, s26, s30
	s_add_i32 s23, s2, s17
	s_mov_b32 s12, exec_lo
	v_cmpx_gt_i64_e64 s[22:23], v[1:2]
	s_cbranch_execz .LBB12_6
; %bb.1:
	s_mov_b32 s2, s18
	s_mov_b32 s20, s16
	s_load_b128 s[16:19], s[0:1], 0x30
	s_mov_b32 s12, 0
	s_delay_alu instid0(SALU_CYCLE_1)
	s_cmp_lg_u64 s[12:13], 0
	s_cbranch_scc0 .LBB12_7
; %bb.2:
	s_ashr_i32 s22, s13, 31
	s_delay_alu instid0(SALU_CYCLE_1) | instskip(SKIP_2) | instid1(SALU_CYCLE_1)
	s_add_u32 s0, s26, s22
	s_mov_b32 s23, s22
	s_addc_u32 s1, s13, s22
	s_xor_b64 s[24:25], s[0:1], s[22:23]
	s_delay_alu instid0(SALU_CYCLE_1) | instskip(SKIP_3) | instid1(VALU_DEP_1)
	v_cvt_f32_u32_e32 v0, s24
	v_cvt_f32_u32_e32 v2, s25
	s_sub_u32 s0, 0, s24
	s_subb_u32 s1, 0, s25
	v_fmamk_f32 v0, v2, 0x4f800000, v0
	s_delay_alu instid0(VALU_DEP_1) | instskip(SKIP_2) | instid1(VALU_DEP_1)
	v_rcp_f32_e32 v0, v0
	s_waitcnt_depctr 0xfff
	v_mul_f32_e32 v0, 0x5f7ffffc, v0
	v_mul_f32_e32 v2, 0x2f800000, v0
	s_delay_alu instid0(VALU_DEP_1) | instskip(NEXT) | instid1(VALU_DEP_1)
	v_trunc_f32_e32 v2, v2
	v_fmamk_f32 v0, v2, 0xcf800000, v0
	v_cvt_u32_f32_e32 v2, v2
	s_delay_alu instid0(VALU_DEP_2) | instskip(NEXT) | instid1(VALU_DEP_2)
	v_cvt_u32_f32_e32 v0, v0
	v_mul_lo_u32 v3, s0, v2
	s_delay_alu instid0(VALU_DEP_2) | instskip(SKIP_1) | instid1(VALU_DEP_2)
	v_mul_hi_u32 v4, s0, v0
	v_mul_lo_u32 v5, s1, v0
	v_add_nc_u32_e32 v3, v4, v3
	v_mul_lo_u32 v4, s0, v0
	s_delay_alu instid0(VALU_DEP_2) | instskip(NEXT) | instid1(VALU_DEP_2)
	v_add_nc_u32_e32 v3, v3, v5
	v_mul_hi_u32 v5, v0, v4
	s_delay_alu instid0(VALU_DEP_2)
	v_mul_lo_u32 v6, v0, v3
	v_mul_hi_u32 v7, v0, v3
	v_mul_hi_u32 v8, v2, v4
	v_mul_lo_u32 v4, v2, v4
	v_mul_hi_u32 v9, v2, v3
	v_mul_lo_u32 v3, v2, v3
	v_add_co_u32 v5, vcc_lo, v5, v6
	v_add_co_ci_u32_e32 v6, vcc_lo, 0, v7, vcc_lo
	s_delay_alu instid0(VALU_DEP_2) | instskip(NEXT) | instid1(VALU_DEP_2)
	v_add_co_u32 v4, vcc_lo, v5, v4
	v_add_co_ci_u32_e32 v4, vcc_lo, v6, v8, vcc_lo
	v_add_co_ci_u32_e32 v5, vcc_lo, 0, v9, vcc_lo
	v_ashrrev_i32_e64 v8, 31, 0
	s_delay_alu instid0(VALU_DEP_3) | instskip(NEXT) | instid1(VALU_DEP_3)
	v_add_co_u32 v3, vcc_lo, v4, v3
	v_add_co_ci_u32_e32 v4, vcc_lo, 0, v5, vcc_lo
	s_delay_alu instid0(VALU_DEP_2) | instskip(NEXT) | instid1(VALU_DEP_2)
	v_add_co_u32 v0, vcc_lo, v0, v3
	v_add_co_ci_u32_e32 v2, vcc_lo, v2, v4, vcc_lo
	s_delay_alu instid0(VALU_DEP_2) | instskip(SKIP_1) | instid1(VALU_DEP_3)
	v_mul_hi_u32 v3, s0, v0
	v_mul_lo_u32 v5, s1, v0
	v_mul_lo_u32 v4, s0, v2
	s_delay_alu instid0(VALU_DEP_1) | instskip(SKIP_1) | instid1(VALU_DEP_2)
	v_add_nc_u32_e32 v3, v3, v4
	v_mul_lo_u32 v4, s0, v0
	v_add_nc_u32_e32 v3, v3, v5
	s_delay_alu instid0(VALU_DEP_2) | instskip(NEXT) | instid1(VALU_DEP_2)
	v_mul_hi_u32 v5, v0, v4
	v_mul_lo_u32 v6, v0, v3
	v_mul_hi_u32 v7, v0, v3
	v_mul_hi_u32 v9, v2, v4
	v_mul_lo_u32 v4, v2, v4
	v_mul_hi_u32 v10, v2, v3
	v_mul_lo_u32 v3, v2, v3
	v_add_co_u32 v5, vcc_lo, v5, v6
	v_add_co_ci_u32_e32 v6, vcc_lo, 0, v7, vcc_lo
	s_delay_alu instid0(VALU_DEP_2) | instskip(NEXT) | instid1(VALU_DEP_2)
	v_add_co_u32 v4, vcc_lo, v5, v4
	v_add_co_ci_u32_e32 v4, vcc_lo, v6, v9, vcc_lo
	v_add_co_ci_u32_e32 v5, vcc_lo, 0, v10, vcc_lo
	v_add_co_u32 v6, vcc_lo, v1, v8
	v_add_co_ci_u32_e32 v7, vcc_lo, 0, v8, vcc_lo
	s_delay_alu instid0(VALU_DEP_4) | instskip(NEXT) | instid1(VALU_DEP_4)
	v_add_co_u32 v3, vcc_lo, v4, v3
	v_add_co_ci_u32_e32 v4, vcc_lo, 0, v5, vcc_lo
	s_delay_alu instid0(VALU_DEP_4) | instskip(NEXT) | instid1(VALU_DEP_3)
	v_xor_b32_e32 v9, v6, v8
	v_add_co_u32 v0, vcc_lo, v0, v3
	s_delay_alu instid0(VALU_DEP_3) | instskip(SKIP_1) | instid1(VALU_DEP_3)
	v_add_co_ci_u32_e32 v10, vcc_lo, v2, v4, vcc_lo
	v_xor_b32_e32 v11, v7, v8
	v_mul_hi_u32 v12, v9, v0
	s_delay_alu instid0(VALU_DEP_3) | instskip(NEXT) | instid1(VALU_DEP_3)
	v_mad_u64_u32 v[2:3], null, v9, v10, 0
	v_mad_u64_u32 v[4:5], null, v11, v0, 0
	;; [unrolled: 1-line block ×3, first 2 shown]
	s_delay_alu instid0(VALU_DEP_3) | instskip(NEXT) | instid1(VALU_DEP_4)
	v_add_co_u32 v0, vcc_lo, v12, v2
	v_add_co_ci_u32_e32 v2, vcc_lo, 0, v3, vcc_lo
	s_delay_alu instid0(VALU_DEP_2) | instskip(NEXT) | instid1(VALU_DEP_2)
	v_add_co_u32 v0, vcc_lo, v0, v4
	v_add_co_ci_u32_e32 v0, vcc_lo, v2, v5, vcc_lo
	v_add_co_ci_u32_e32 v2, vcc_lo, 0, v7, vcc_lo
	s_delay_alu instid0(VALU_DEP_2) | instskip(NEXT) | instid1(VALU_DEP_2)
	v_add_co_u32 v0, vcc_lo, v0, v6
	v_add_co_ci_u32_e32 v4, vcc_lo, 0, v2, vcc_lo
	s_delay_alu instid0(VALU_DEP_2) | instskip(SKIP_1) | instid1(VALU_DEP_3)
	v_mul_lo_u32 v5, s25, v0
	v_mad_u64_u32 v[2:3], null, s24, v0, 0
	v_mul_lo_u32 v6, s24, v4
	s_delay_alu instid0(VALU_DEP_2) | instskip(NEXT) | instid1(VALU_DEP_2)
	v_sub_co_u32 v2, vcc_lo, v9, v2
	v_add3_u32 v3, v3, v6, v5
	s_delay_alu instid0(VALU_DEP_1) | instskip(NEXT) | instid1(VALU_DEP_1)
	v_sub_nc_u32_e32 v5, v11, v3
	v_subrev_co_ci_u32_e64 v5, s0, s25, v5, vcc_lo
	v_add_co_u32 v6, s0, v0, 2
	s_delay_alu instid0(VALU_DEP_1) | instskip(SKIP_3) | instid1(VALU_DEP_3)
	v_add_co_ci_u32_e64 v7, s0, 0, v4, s0
	v_sub_co_u32 v9, s0, v2, s24
	v_sub_co_ci_u32_e32 v3, vcc_lo, v11, v3, vcc_lo
	v_subrev_co_ci_u32_e64 v5, s0, 0, v5, s0
	v_cmp_le_u32_e32 vcc_lo, s24, v9
	s_delay_alu instid0(VALU_DEP_3) | instskip(SKIP_1) | instid1(VALU_DEP_4)
	v_cmp_eq_u32_e64 s0, s25, v3
	v_cndmask_b32_e64 v9, 0, -1, vcc_lo
	v_cmp_le_u32_e32 vcc_lo, s25, v5
	v_cndmask_b32_e64 v10, 0, -1, vcc_lo
	v_cmp_le_u32_e32 vcc_lo, s24, v2
	;; [unrolled: 2-line block ×3, first 2 shown]
	v_cndmask_b32_e64 v11, 0, -1, vcc_lo
	v_cmp_eq_u32_e32 vcc_lo, s25, v5
	s_delay_alu instid0(VALU_DEP_2) | instskip(SKIP_3) | instid1(VALU_DEP_3)
	v_cndmask_b32_e64 v2, v11, v2, s0
	v_cndmask_b32_e32 v5, v10, v9, vcc_lo
	v_add_co_u32 v9, vcc_lo, v0, 1
	v_add_co_ci_u32_e32 v10, vcc_lo, 0, v4, vcc_lo
	v_cmp_ne_u32_e32 vcc_lo, 0, v5
	s_delay_alu instid0(VALU_DEP_3) | instskip(NEXT) | instid1(VALU_DEP_3)
	v_cndmask_b32_e32 v5, v9, v6, vcc_lo
	v_cndmask_b32_e32 v3, v10, v7, vcc_lo
	v_cmp_ne_u32_e32 vcc_lo, 0, v2
	v_xor_b32_e32 v6, s22, v8
	s_delay_alu instid0(VALU_DEP_4) | instskip(NEXT) | instid1(VALU_DEP_4)
	v_cndmask_b32_e32 v0, v0, v5, vcc_lo
	v_cndmask_b32_e32 v2, v4, v3, vcc_lo
	s_delay_alu instid0(VALU_DEP_2) | instskip(NEXT) | instid1(VALU_DEP_2)
	v_xor_b32_e32 v0, v0, v6
	v_xor_b32_e32 v3, v2, v6
	s_delay_alu instid0(VALU_DEP_2) | instskip(NEXT) | instid1(VALU_DEP_2)
	v_sub_co_u32 v2, vcc_lo, v0, v6
	v_sub_co_ci_u32_e32 v3, vcc_lo, v3, v6, vcc_lo
	s_and_not1_b32 vcc_lo, exec_lo, s12
	s_cbranch_vccnz .LBB12_4
.LBB12_3:
	v_cvt_f32_u32_e32 v0, s26
	s_sub_i32 s0, 0, s26
	s_delay_alu instid0(VALU_DEP_1) | instskip(SKIP_2) | instid1(VALU_DEP_1)
	v_rcp_iflag_f32_e32 v0, v0
	s_waitcnt_depctr 0xfff
	v_mul_f32_e32 v0, 0x4f7ffffe, v0
	v_cvt_u32_f32_e32 v0, v0
	s_delay_alu instid0(VALU_DEP_1) | instskip(NEXT) | instid1(VALU_DEP_1)
	v_mul_lo_u32 v2, s0, v0
	v_mul_hi_u32 v2, v0, v2
	s_delay_alu instid0(VALU_DEP_1) | instskip(NEXT) | instid1(VALU_DEP_1)
	v_add_nc_u32_e32 v0, v0, v2
	v_mul_hi_u32 v0, v1, v0
	s_delay_alu instid0(VALU_DEP_1) | instskip(SKIP_1) | instid1(VALU_DEP_2)
	v_mul_lo_u32 v2, v0, s26
	v_add_nc_u32_e32 v3, 1, v0
	v_sub_nc_u32_e32 v2, v1, v2
	s_delay_alu instid0(VALU_DEP_1) | instskip(SKIP_1) | instid1(VALU_DEP_2)
	v_subrev_nc_u32_e32 v4, s26, v2
	v_cmp_le_u32_e32 vcc_lo, s26, v2
	v_cndmask_b32_e32 v2, v2, v4, vcc_lo
	v_cndmask_b32_e32 v0, v0, v3, vcc_lo
	s_delay_alu instid0(VALU_DEP_2) | instskip(NEXT) | instid1(VALU_DEP_2)
	v_cmp_le_u32_e32 vcc_lo, s26, v2
	v_add_nc_u32_e32 v3, 1, v0
	s_delay_alu instid0(VALU_DEP_1)
	v_dual_cndmask_b32 v2, v0, v3 :: v_dual_mov_b32 v3, 0
.LBB12_4:
	s_delay_alu instid0(VALU_DEP_1) | instskip(NEXT) | instid1(VALU_DEP_2)
	v_mul_lo_u32 v0, v3, s26
	v_mul_lo_u32 v6, v2, s13
	v_mad_u64_u32 v[4:5], null, v2, s26, 0
	s_sub_u32 s0, 0, s20
	s_subb_u32 s1, 0, s21
	s_sub_u32 s22, 0, s2
	s_subb_u32 s23, 0, s3
	s_waitcnt lgkmcnt(0)
	s_add_i32 s12, s15, s17
	s_add_i32 s14, s14, s16
	v_add3_u32 v5, v5, v6, v0
	v_sub_co_u32 v0, vcc_lo, v1, v4
	s_mul_i32 s12, s12, s18
	s_delay_alu instid0(VALU_DEP_2) | instskip(NEXT) | instid1(VALU_DEP_2)
	v_sub_co_ci_u32_e32 v1, vcc_lo, 0, v5, vcc_lo
	v_sub_co_u32 v4, vcc_lo, v0, s2
	s_add_i32 s12, s14, s12
	s_delay_alu instid0(VALU_DEP_2) | instskip(SKIP_2) | instid1(VALU_DEP_3)
	v_subrev_co_ci_u32_e32 v5, vcc_lo, s3, v1, vcc_lo
	v_sub_co_u32 v6, vcc_lo, v0, s27
	v_subrev_co_ci_u32_e32 v7, vcc_lo, s28, v1, vcc_lo
	v_ashrrev_i32_e32 v10, 31, v5
	s_delay_alu instid0(VALU_DEP_3) | instskip(NEXT) | instid1(VALU_DEP_3)
	v_add_co_u32 v6, vcc_lo, v6, 1
	v_add_co_ci_u32_e32 v7, vcc_lo, 0, v7, vcc_lo
	v_sub_co_u32 v8, vcc_lo, v2, s31
	v_subrev_co_ci_u32_e32 v9, vcc_lo, s33, v3, vcc_lo
	v_sub_co_u32 v11, vcc_lo, v2, s20
	v_subrev_co_ci_u32_e32 v12, vcc_lo, s21, v3, vcc_lo
	s_mul_i32 s11, s12, s11
	s_mul_hi_u32 s14, s12, s10
	v_add_co_u32 v8, vcc_lo, v8, 1
	s_mul_i32 s15, s12, s10
	v_cmp_gt_i64_e64 s10, s[22:23], 0
	s_add_i32 s14, s14, s11
	v_cmp_gt_i64_e64 s11, s[0:1], 0
	v_add_co_ci_u32_e32 v9, vcc_lo, 0, v9, vcc_lo
	v_xor_b32_e32 v14, v5, v10
	v_ashrrev_i32_e32 v5, 31, v12
	s_and_b32 s10, s10, exec_lo
	v_xor_b32_e32 v15, v4, v10
	v_ashrrev_i32_e32 v4, 31, v9
	s_cselect_b32 s16, s23, 0
	v_cmp_gt_i64_e64 s10, s[2:3], 0
	s_cselect_b32 s17, s22, 0
	s_and_b32 s11, s11, exec_lo
	v_cmp_gt_i64_e64 s11, s[20:21], 0
	v_xor_b32_e32 v11, v11, v5
	v_xor_b32_e32 v12, v12, v5
	v_xor_b32_e32 v8, v8, v4
	s_cselect_b32 s18, s1, 0
	s_cselect_b32 s19, s0, 0
	s_and_b32 s0, s10, exec_lo
	v_xor_b32_e32 v9, v9, v4
	v_sub_co_u32 v11, vcc_lo, v11, v5
	s_cselect_b32 s1, s3, 0
	s_cselect_b32 s0, s2, 0
	s_and_b32 s10, s11, exec_lo
	s_cselect_b32 s11, s21, 0
	s_cselect_b32 s10, s20, 0
	v_sub_co_ci_u32_e32 v5, vcc_lo, v12, v5, vcc_lo
	v_sub_co_u32 v8, vcc_lo, v8, v4
	s_not_b64 s[0:1], s[0:1]
	s_not_b64 s[10:11], s[10:11]
	v_sub_co_ci_u32_e32 v4, vcc_lo, v9, v4, vcc_lo
	s_add_u32 s20, s31, s20
	s_addc_u32 s21, s33, s21
	s_add_u32 s10, s20, s10
	s_addc_u32 s11, s21, s11
	v_add_co_u32 v8, vcc_lo, v2, v8
	s_add_u32 s10, s10, s19
	s_addc_u32 s11, s11, s18
	v_add_co_ci_u32_e32 v4, vcc_lo, v3, v4, vcc_lo
	s_add_u32 s10, s10, s15
	s_addc_u32 s11, s11, s14
	v_sub_co_u32 v8, vcc_lo, s10, v8
	v_ashrrev_i32_e32 v13, 31, v7
	v_sub_co_ci_u32_e32 v4, vcc_lo, s11, v4, vcc_lo
	s_delay_alu instid0(VALU_DEP_3) | instskip(NEXT) | instid1(VALU_DEP_3)
	v_add_co_u32 v8, vcc_lo, v8, v11
	v_xor_b32_e32 v6, v6, v13
	s_delay_alu instid0(VALU_DEP_3) | instskip(SKIP_2) | instid1(VALU_DEP_4)
	v_add_co_ci_u32_e32 v9, vcc_lo, v4, v5, vcc_lo
	v_mad_u64_u32 v[4:5], null, s30, s12, v[2:3]
	v_xor_b32_e32 v7, v7, v13
	v_sub_co_u32 v11, vcc_lo, v6, v13
	s_add_u32 s2, s27, s2
	s_addc_u32 s3, s28, s3
	s_delay_alu instid0(VALU_DEP_2) | instskip(NEXT) | instid1(VALU_DEP_4)
	v_sub_co_ci_u32_e32 v12, vcc_lo, v7, v13, vcc_lo
	v_mad_u64_u32 v[6:7], null, s29, s12, v[5:6]
	v_add_co_u32 v5, vcc_lo, v0, v11
	s_add_u32 s0, s2, s0
	v_mul_lo_u32 v16, v8, s9
	v_mad_u64_u32 v[2:3], null, v8, s8, 0
	s_addc_u32 s1, s3, s1
	v_add_co_ci_u32_e32 v8, vcc_lo, v1, v12, vcc_lo
	s_add_u32 s0, s0, s17
	s_addc_u32 s1, s1, s16
	v_sub_co_u32 v7, vcc_lo, s0, v5
	s_delay_alu instid0(VALU_DEP_2)
	v_sub_co_ci_u32_e32 v8, vcc_lo, s1, v8, vcc_lo
	v_mul_lo_u32 v11, v6, s26
	v_mul_lo_u32 v12, v4, s13
	v_mad_u64_u32 v[5:6], null, v4, s26, 0
	v_mul_lo_u32 v13, v9, s8
	v_sub_co_u32 v9, vcc_lo, v15, v10
	v_sub_co_ci_u32_e32 v10, vcc_lo, v14, v10, vcc_lo
	v_lshlrev_b64 v[7:8], 3, v[7:8]
	v_add3_u32 v6, v6, v12, v11
	v_lshlrev_b64 v[0:1], 3, v[0:1]
	s_delay_alu instid0(VALU_DEP_4)
	v_lshlrev_b64 v[9:10], 3, v[9:10]
	v_add3_u32 v3, v3, v16, v13
	s_mov_b32 s0, 0
	v_add_co_u32 v7, vcc_lo, s4, v7
	v_add_co_ci_u32_e32 v8, vcc_lo, s5, v8, vcc_lo
	v_lshlrev_b64 v[4:5], 3, v[5:6]
	s_delay_alu instid0(VALU_DEP_3) | instskip(NEXT) | instid1(VALU_DEP_3)
	v_add_co_u32 v6, vcc_lo, v7, v9
	v_add_co_ci_u32_e32 v7, vcc_lo, v8, v10, vcc_lo
	v_lshlrev_b64 v[2:3], 3, v[2:3]
	s_delay_alu instid0(VALU_DEP_4) | instskip(SKIP_1) | instid1(VALU_DEP_2)
	v_add_co_u32 v4, vcc_lo, s6, v4
	v_add_co_ci_u32_e32 v5, vcc_lo, s7, v5, vcc_lo
	v_add_co_u32 v0, vcc_lo, v4, v0
	s_delay_alu instid0(VALU_DEP_2)
	v_add_co_ci_u32_e32 v1, vcc_lo, v5, v1, vcc_lo
	v_add_co_u32 v4, vcc_lo, v6, v2
	v_add_co_ci_u32_e32 v5, vcc_lo, v7, v3, vcc_lo
	global_load_b64 v[6:7], v[0:1], off
	global_load_b64 v[2:3], v[4:5], off
.LBB12_5:                               ; =>This Inner Loop Header: Depth=1
	s_waitcnt vmcnt(0)
	v_add_f64 v[0:1], v[2:3], v[6:7]
	global_atomic_cmpswap_b64 v[0:1], v[4:5], v[0:3], off glc
	s_waitcnt vmcnt(0)
	v_cmp_eq_u64_e32 vcc_lo, v[0:1], v[2:3]
	v_dual_mov_b32 v3, v1 :: v_dual_mov_b32 v2, v0
	s_or_b32 s0, vcc_lo, s0
	s_delay_alu instid0(SALU_CYCLE_1)
	s_and_not1_b32 exec_lo, exec_lo, s0
	s_cbranch_execnz .LBB12_5
.LBB12_6:
	s_endpgm
.LBB12_7:
                                        ; implicit-def: $vgpr2_vgpr3
	s_branch .LBB12_3
	.section	.rodata,"a",@progbits
	.p2align	6, 0x0
	.amdhsa_kernel _ZN2at6native12_GLOBAL__N_136reflection_pad2d_backward_out_kernelIdEEvPT_PKS3_lliiiiiii
		.amdhsa_group_segment_fixed_size 0
		.amdhsa_private_segment_fixed_size 0
		.amdhsa_kernarg_size 320
		.amdhsa_user_sgpr_count 13
		.amdhsa_user_sgpr_dispatch_ptr 0
		.amdhsa_user_sgpr_queue_ptr 0
		.amdhsa_user_sgpr_kernarg_segment_ptr 1
		.amdhsa_user_sgpr_dispatch_id 0
		.amdhsa_user_sgpr_private_segment_size 0
		.amdhsa_wavefront_size32 1
		.amdhsa_uses_dynamic_stack 0
		.amdhsa_enable_private_segment 0
		.amdhsa_system_sgpr_workgroup_id_x 1
		.amdhsa_system_sgpr_workgroup_id_y 1
		.amdhsa_system_sgpr_workgroup_id_z 1
		.amdhsa_system_sgpr_workgroup_info 0
		.amdhsa_system_vgpr_workitem_id 0
		.amdhsa_next_free_vgpr 17
		.amdhsa_next_free_sgpr 34
		.amdhsa_reserve_vcc 1
		.amdhsa_float_round_mode_32 0
		.amdhsa_float_round_mode_16_64 0
		.amdhsa_float_denorm_mode_32 3
		.amdhsa_float_denorm_mode_16_64 3
		.amdhsa_dx10_clamp 1
		.amdhsa_ieee_mode 1
		.amdhsa_fp16_overflow 0
		.amdhsa_workgroup_processor_mode 1
		.amdhsa_memory_ordered 1
		.amdhsa_forward_progress 0
		.amdhsa_shared_vgpr_count 0
		.amdhsa_exception_fp_ieee_invalid_op 0
		.amdhsa_exception_fp_denorm_src 0
		.amdhsa_exception_fp_ieee_div_zero 0
		.amdhsa_exception_fp_ieee_overflow 0
		.amdhsa_exception_fp_ieee_underflow 0
		.amdhsa_exception_fp_ieee_inexact 0
		.amdhsa_exception_int_div_zero 0
	.end_amdhsa_kernel
	.section	.text._ZN2at6native12_GLOBAL__N_136reflection_pad2d_backward_out_kernelIdEEvPT_PKS3_lliiiiiii,"axG",@progbits,_ZN2at6native12_GLOBAL__N_136reflection_pad2d_backward_out_kernelIdEEvPT_PKS3_lliiiiiii,comdat
.Lfunc_end12:
	.size	_ZN2at6native12_GLOBAL__N_136reflection_pad2d_backward_out_kernelIdEEvPT_PKS3_lliiiiiii, .Lfunc_end12-_ZN2at6native12_GLOBAL__N_136reflection_pad2d_backward_out_kernelIdEEvPT_PKS3_lliiiiiii
                                        ; -- End function
	.section	.AMDGPU.csdata,"",@progbits
; Kernel info:
; codeLenInByte = 1920
; NumSgprs: 36
; NumVgprs: 17
; ScratchSize: 0
; MemoryBound: 0
; FloatMode: 240
; IeeeMode: 1
; LDSByteSize: 0 bytes/workgroup (compile time only)
; SGPRBlocks: 4
; VGPRBlocks: 2
; NumSGPRsForWavesPerEU: 36
; NumVGPRsForWavesPerEU: 17
; Occupancy: 16
; WaveLimiterHint : 0
; COMPUTE_PGM_RSRC2:SCRATCH_EN: 0
; COMPUTE_PGM_RSRC2:USER_SGPR: 13
; COMPUTE_PGM_RSRC2:TRAP_HANDLER: 0
; COMPUTE_PGM_RSRC2:TGID_X_EN: 1
; COMPUTE_PGM_RSRC2:TGID_Y_EN: 1
; COMPUTE_PGM_RSRC2:TGID_Z_EN: 1
; COMPUTE_PGM_RSRC2:TIDIG_COMP_CNT: 0
	.section	.text._ZN2at6native12_GLOBAL__N_140reflection_pad2d_backward_det_out_kernelIfEEvPT_PKS3_lliiiiiii,"axG",@progbits,_ZN2at6native12_GLOBAL__N_140reflection_pad2d_backward_det_out_kernelIfEEvPT_PKS3_lliiiiiii,comdat
	.globl	_ZN2at6native12_GLOBAL__N_140reflection_pad2d_backward_det_out_kernelIfEEvPT_PKS3_lliiiiiii ; -- Begin function _ZN2at6native12_GLOBAL__N_140reflection_pad2d_backward_det_out_kernelIfEEvPT_PKS3_lliiiiiii
	.p2align	8
	.type	_ZN2at6native12_GLOBAL__N_140reflection_pad2d_backward_det_out_kernelIfEEvPT_PKS3_lliiiiiii,@function
_ZN2at6native12_GLOBAL__N_140reflection_pad2d_backward_det_out_kernelIfEEvPT_PKS3_lliiiiiii: ; @_ZN2at6native12_GLOBAL__N_140reflection_pad2d_backward_det_out_kernelIfEEvPT_PKS3_lliiiiiii
; %bb.0:
	s_clause 0x2
	s_load_b32 s6, s[0:1], 0x4c
	s_load_b64 s[2:3], s[0:1], 0x30
	s_load_b256 s[16:23], s[0:1], 0x0
	v_mov_b32_e32 v1, 0
	s_add_u32 s4, s0, 64
	s_addc_u32 s5, s1, 0
	s_waitcnt lgkmcnt(0)
	s_and_b32 s34, s6, 0xffff
	s_ashr_i32 s6, s2, 31
	s_mul_i32 s8, s22, s21
	s_mul_hi_u32 s9, s22, s20
	s_mul_i32 s10, s23, s20
	s_mul_i32 s33, s22, s20
	s_add_i32 s42, s9, s8
	s_mul_i32 s6, s33, s6
	s_mul_hi_u32 s8, s33, s2
	s_add_i32 s42, s42, s10
	s_ashr_i32 s7, s3, 31
	v_mad_u64_u32 v[3:4], null, s15, s34, v[0:1]
	s_mul_i32 s11, s33, s2
	s_add_i32 s6, s8, s6
	s_mul_i32 s2, s42, s2
	s_mul_i32 s8, s11, s7
	s_mul_hi_u32 s9, s11, s3
	s_add_i32 s2, s6, s2
	v_mov_b32_e32 v4, v1
	s_add_i32 s6, s9, s8
	s_mul_i32 s2, s2, s3
	s_mul_i32 s8, s11, s3
	s_add_i32 s9, s6, s2
	s_mov_b32 s2, exec_lo
	v_cmpx_gt_i64_e64 s[8:9], v[3:4]
	s_cbranch_execz .LBB13_53
; %bb.1:
	s_mov_b32 s6, s3
	s_load_b128 s[0:3], s[0:1], 0x20
	s_load_b32 s36, s[4:5], 0x0
	s_mul_i32 s14, s33, s7
	s_mul_hi_u32 s15, s33, s6
	s_mul_i32 s24, s42, s6
	s_mul_i32 s43, s33, s6
	v_lshlrev_b64 v[7:8], 2, v[3:4]
	v_cvt_f32_u32_e32 v0, s43
	s_mov_b32 s61, 0
	s_delay_alu instid0(VALU_DEP_1)
	v_rcp_iflag_f32_e32 v0, v0
	s_waitcnt lgkmcnt(0)
	s_ashr_i32 s11, s2, 31
	s_add_u32 s37, s2, s20
	s_addc_u32 s38, s11, s21
	s_ashr_i32 s5, s3, 31
	s_add_u32 s44, s37, s3
	s_addc_u32 s45, s38, s5
	s_ashr_i32 s13, s0, 31
	s_mov_b32 s4, s3
	s_add_u32 s3, s0, s22
	s_addc_u32 s25, s13, s23
	s_ashr_i32 s27, s1, 31
	s_mov_b32 s26, s1
	s_add_u32 s1, s3, s1
	s_addc_u32 s3, s25, s27
	s_add_i32 s15, s15, s14
	s_mul_hi_u32 s25, s44, s1
	s_mul_i32 s28, s45, s1
	s_mul_i32 s14, s44, s1
	;; [unrolled: 1-line block ×3, first 2 shown]
	s_add_i32 s46, s15, s24
	s_add_i32 s1, s25, s1
	s_mul_i32 s3, s14, s7
	s_add_i32 s15, s1, s28
	s_add_u32 s24, s22, -1
	s_addc_u32 s25, s23, -1
	s_not_b64 s[26:27], s[26:27]
	s_mul_hi_u32 s1, s14, s6
	s_add_u32 s26, s26, s22
	s_addc_u32 s27, s27, s23
	s_add_u32 s28, s20, -1
	s_addc_u32 s29, s21, -1
	s_not_b64 s[4:5], s[4:5]
	s_mul_i32 s39, s15, s6
	s_add_u32 s30, s4, s20
	s_addc_u32 s31, s5, s21
	s_add_i32 s1, s1, s3
	s_mov_b32 s12, s0
	s_add_i32 s47, s1, s39
	s_add_u32 s1, s20, s37
	s_addc_u32 s3, s21, s38
	s_add_u32 s48, s1, -2
	s_addc_u32 s49, s3, -1
	s_lshl_b64 s[4:5], s[24:25], 1
	s_waitcnt_depctr 0xfff
	v_mul_f32_e32 v0, 0x4f7ffffe, v0
	s_add_u32 s50, s4, s0
	s_addc_u32 s51, s5, s13
	s_lshl_b64 s[0:1], s[28:29], 1
	s_mov_b32 s10, s2
	s_add_u32 s53, s0, s2
	s_addc_u32 s54, s1, s11
	v_sub_co_u32 v5, s0, 0, v3
	s_sub_u32 s55, 0, s22
	s_subb_u32 s56, 0, s23
	v_sub_co_ci_u32_e64 v6, null, 0, 0, s0
	s_lshl_b64 s[0:1], s[10:11], 2
	s_mul_hi_u32 s35, s34, s36
	s_mul_i32 s34, s34, s36
	s_lshl_b64 s[36:37], s[6:7], 2
	s_lshl_b64 s[38:39], s[20:21], 2
	s_add_u32 s57, s18, s0
	v_cvt_u32_f32_e32 v0, v0
	s_addc_u32 s58, s19, s1
	s_lshl_b64 s[40:41], s[34:35], 2
	s_sub_u32 s59, 0, s33
	s_mul_i32 s52, s14, s6
	s_subb_u32 s60, 0, s42
	s_branch .LBB13_4
.LBB13_2:                               ;   in Loop: Header=BB13_4 Depth=1
	s_or_b32 exec_lo, exec_lo, s0
.LBB13_3:                               ;   in Loop: Header=BB13_4 Depth=1
	s_delay_alu instid0(SALU_CYCLE_1)
	s_or_b32 exec_lo, exec_lo, s1
	v_lshlrev_b64 v[11:12], 2, v[13:14]
	v_mul_lo_u32 v10, s36, v10
	v_mul_lo_u32 v17, s37, v9
	;; [unrolled: 1-line block ×4, first 2 shown]
	v_mad_u64_u32 v[13:14], null, s38, v2, 0
	v_mad_u64_u32 v[15:16], null, s36, v9, v[11:12]
	v_lshlrev_b64 v[11:12], 2, v[19:20]
	s_delay_alu instid0(VALU_DEP_3) | instskip(NEXT) | instid1(VALU_DEP_3)
	v_add3_u32 v14, v14, v21, v18
	v_add3_u32 v2, v17, v16, v10
	s_delay_alu instid0(VALU_DEP_2) | instskip(SKIP_1) | instid1(VALU_DEP_3)
	v_mad_u64_u32 v[9:10], null, s14, v15, v[13:14]
	v_mul_lo_u32 v13, s15, v15
	v_mul_lo_u32 v2, s14, v2
	s_delay_alu instid0(VALU_DEP_3) | instskip(NEXT) | instid1(VALU_DEP_2)
	v_add_co_u32 v9, vcc_lo, v9, v11
	v_add3_u32 v2, v13, v10, v2
	s_delay_alu instid0(VALU_DEP_1) | instskip(NEXT) | instid1(VALU_DEP_3)
	v_add_co_ci_u32_e32 v2, vcc_lo, v2, v12, vcc_lo
	v_add_co_u32 v9, vcc_lo, v7, v9
	s_delay_alu instid0(VALU_DEP_2) | instskip(NEXT) | instid1(VALU_DEP_2)
	v_add_co_ci_u32_e32 v2, vcc_lo, v8, v2, vcc_lo
	v_add_co_u32 v9, vcc_lo, s57, v9
	s_delay_alu instid0(VALU_DEP_2)
	v_add_co_ci_u32_e32 v10, vcc_lo, s58, v2, vcc_lo
	global_load_b32 v2, v[9:10], off
	v_add_co_u32 v9, vcc_lo, s16, v7
	v_add_co_ci_u32_e32 v10, vcc_lo, s17, v8, vcc_lo
	v_add_co_u32 v3, vcc_lo, v3, s34
	v_add_co_ci_u32_e32 v4, vcc_lo, s35, v4, vcc_lo
	global_load_b32 v11, v[9:10], off
	v_sub_co_u32 v5, vcc_lo, v5, s34
	v_subrev_co_ci_u32_e32 v6, vcc_lo, s35, v6, vcc_lo
	v_cmp_le_i64_e32 vcc_lo, s[8:9], v[3:4]
	v_add_co_u32 v7, s0, v7, s40
	s_delay_alu instid0(VALU_DEP_1) | instskip(SKIP_4) | instid1(VALU_DEP_1)
	v_add_co_ci_u32_e64 v8, s0, s41, v8, s0
	s_or_b32 s61, vcc_lo, s61
	s_waitcnt vmcnt(1)
	v_add_f32_e32 v2, v24, v2
	s_waitcnt vmcnt(0)
	v_add_f32_e32 v2, v11, v2
	global_store_b32 v[9:10], v2, off
	s_and_not1_b32 exec_lo, exec_lo, s61
	s_cbranch_execz .LBB13_53
.LBB13_4:                               ; =>This Inner Loop Header: Depth=1
	v_or_b32_e32 v2, s46, v4
	v_ashrrev_i32_e32 v13, 31, v4
                                        ; implicit-def: $vgpr9_vgpr10
	s_mov_b32 s0, exec_lo
	s_delay_alu instid0(VALU_DEP_2)
	v_cmpx_ne_u64_e32 0, v[1:2]
	s_xor_b32 s1, exec_lo, s0
	s_cbranch_execz .LBB13_6
; %bb.5:                                ;   in Loop: Header=BB13_4 Depth=1
	s_ashr_i32 s2, s46, 31
	s_delay_alu instid0(SALU_CYCLE_1) | instskip(SKIP_2) | instid1(SALU_CYCLE_1)
	s_add_u32 s4, s43, s2
	s_mov_b32 s3, s2
	s_addc_u32 s5, s46, s2
	s_xor_b64 s[4:5], s[4:5], s[2:3]
	s_delay_alu instid0(SALU_CYCLE_1) | instskip(SKIP_3) | instid1(VALU_DEP_1)
	v_cvt_f32_u32_e32 v2, s4
	v_cvt_f32_u32_e32 v9, s5
	s_sub_u32 s0, 0, s4
	s_subb_u32 s3, 0, s5
	v_fmac_f32_e32 v2, 0x4f800000, v9
	s_delay_alu instid0(VALU_DEP_1) | instskip(SKIP_2) | instid1(VALU_DEP_1)
	v_rcp_f32_e32 v2, v2
	s_waitcnt_depctr 0xfff
	v_mul_f32_e32 v2, 0x5f7ffffc, v2
	v_mul_f32_e32 v9, 0x2f800000, v2
	s_delay_alu instid0(VALU_DEP_1) | instskip(NEXT) | instid1(VALU_DEP_1)
	v_trunc_f32_e32 v9, v9
	v_fmac_f32_e32 v2, 0xcf800000, v9
	v_cvt_u32_f32_e32 v9, v9
	s_delay_alu instid0(VALU_DEP_2) | instskip(NEXT) | instid1(VALU_DEP_2)
	v_cvt_u32_f32_e32 v2, v2
	v_mul_lo_u32 v10, s0, v9
	s_delay_alu instid0(VALU_DEP_2) | instskip(SKIP_1) | instid1(VALU_DEP_2)
	v_mul_hi_u32 v11, s0, v2
	v_mul_lo_u32 v12, s3, v2
	v_add_nc_u32_e32 v10, v11, v10
	v_mul_lo_u32 v11, s0, v2
	s_delay_alu instid0(VALU_DEP_2) | instskip(NEXT) | instid1(VALU_DEP_2)
	v_add_nc_u32_e32 v10, v10, v12
	v_mul_hi_u32 v12, v2, v11
	s_delay_alu instid0(VALU_DEP_2)
	v_mul_lo_u32 v14, v2, v10
	v_mul_hi_u32 v15, v2, v10
	v_mul_hi_u32 v16, v9, v11
	v_mul_lo_u32 v11, v9, v11
	v_mul_hi_u32 v17, v9, v10
	v_mul_lo_u32 v10, v9, v10
	v_add_co_u32 v12, vcc_lo, v12, v14
	v_add_co_ci_u32_e32 v14, vcc_lo, 0, v15, vcc_lo
	s_delay_alu instid0(VALU_DEP_2) | instskip(NEXT) | instid1(VALU_DEP_2)
	v_add_co_u32 v11, vcc_lo, v12, v11
	v_add_co_ci_u32_e32 v11, vcc_lo, v14, v16, vcc_lo
	v_add_co_ci_u32_e32 v12, vcc_lo, 0, v17, vcc_lo
	s_delay_alu instid0(VALU_DEP_2) | instskip(NEXT) | instid1(VALU_DEP_2)
	v_add_co_u32 v10, vcc_lo, v11, v10
	v_add_co_ci_u32_e32 v11, vcc_lo, 0, v12, vcc_lo
	s_delay_alu instid0(VALU_DEP_2) | instskip(NEXT) | instid1(VALU_DEP_2)
	v_add_co_u32 v2, vcc_lo, v2, v10
	v_add_co_ci_u32_e32 v9, vcc_lo, v9, v11, vcc_lo
	s_delay_alu instid0(VALU_DEP_2) | instskip(SKIP_1) | instid1(VALU_DEP_3)
	v_mul_hi_u32 v10, s0, v2
	v_mul_lo_u32 v12, s3, v2
	v_mul_lo_u32 v11, s0, v9
	s_delay_alu instid0(VALU_DEP_1) | instskip(SKIP_1) | instid1(VALU_DEP_2)
	v_add_nc_u32_e32 v10, v10, v11
	v_mul_lo_u32 v11, s0, v2
	v_add_nc_u32_e32 v10, v10, v12
	s_delay_alu instid0(VALU_DEP_2) | instskip(NEXT) | instid1(VALU_DEP_2)
	v_mul_hi_u32 v12, v2, v11
	v_mul_lo_u32 v14, v2, v10
	v_mul_hi_u32 v15, v2, v10
	v_mul_hi_u32 v16, v9, v11
	v_mul_lo_u32 v11, v9, v11
	v_mul_hi_u32 v17, v9, v10
	v_mul_lo_u32 v10, v9, v10
	v_add_co_u32 v12, vcc_lo, v12, v14
	v_add_co_ci_u32_e32 v14, vcc_lo, 0, v15, vcc_lo
	s_delay_alu instid0(VALU_DEP_2) | instskip(NEXT) | instid1(VALU_DEP_2)
	v_add_co_u32 v11, vcc_lo, v12, v11
	v_add_co_ci_u32_e32 v11, vcc_lo, v14, v16, vcc_lo
	v_add_co_ci_u32_e32 v12, vcc_lo, 0, v17, vcc_lo
	v_add_co_u32 v14, vcc_lo, v3, v13
	v_add_co_ci_u32_e32 v15, vcc_lo, v4, v13, vcc_lo
	s_delay_alu instid0(VALU_DEP_4) | instskip(NEXT) | instid1(VALU_DEP_4)
	v_add_co_u32 v10, vcc_lo, v11, v10
	v_add_co_ci_u32_e32 v11, vcc_lo, 0, v12, vcc_lo
	s_delay_alu instid0(VALU_DEP_4) | instskip(NEXT) | instid1(VALU_DEP_3)
	v_xor_b32_e32 v16, v14, v13
	v_add_co_u32 v2, vcc_lo, v2, v10
	s_delay_alu instid0(VALU_DEP_3) | instskip(SKIP_1) | instid1(VALU_DEP_3)
	v_add_co_ci_u32_e32 v17, vcc_lo, v9, v11, vcc_lo
	v_xor_b32_e32 v18, v15, v13
	v_mul_hi_u32 v19, v16, v2
	s_delay_alu instid0(VALU_DEP_3) | instskip(NEXT) | instid1(VALU_DEP_3)
	v_mad_u64_u32 v[9:10], null, v16, v17, 0
	v_mad_u64_u32 v[11:12], null, v18, v2, 0
	;; [unrolled: 1-line block ×3, first 2 shown]
	s_delay_alu instid0(VALU_DEP_3) | instskip(NEXT) | instid1(VALU_DEP_4)
	v_add_co_u32 v2, vcc_lo, v19, v9
	v_add_co_ci_u32_e32 v9, vcc_lo, 0, v10, vcc_lo
	s_delay_alu instid0(VALU_DEP_2) | instskip(NEXT) | instid1(VALU_DEP_2)
	v_add_co_u32 v2, vcc_lo, v2, v11
	v_add_co_ci_u32_e32 v2, vcc_lo, v9, v12, vcc_lo
	v_add_co_ci_u32_e32 v9, vcc_lo, 0, v15, vcc_lo
	s_delay_alu instid0(VALU_DEP_2) | instskip(NEXT) | instid1(VALU_DEP_2)
	v_add_co_u32 v2, vcc_lo, v2, v14
	v_add_co_ci_u32_e32 v11, vcc_lo, 0, v9, vcc_lo
	s_delay_alu instid0(VALU_DEP_2) | instskip(SKIP_1) | instid1(VALU_DEP_3)
	v_mul_lo_u32 v12, s5, v2
	v_mad_u64_u32 v[9:10], null, s4, v2, 0
	v_mul_lo_u32 v14, s4, v11
	s_delay_alu instid0(VALU_DEP_2) | instskip(NEXT) | instid1(VALU_DEP_2)
	v_sub_co_u32 v9, vcc_lo, v16, v9
	v_add3_u32 v10, v10, v14, v12
	s_delay_alu instid0(VALU_DEP_1) | instskip(NEXT) | instid1(VALU_DEP_1)
	v_sub_nc_u32_e32 v12, v18, v10
	v_subrev_co_ci_u32_e64 v12, s0, s5, v12, vcc_lo
	v_add_co_u32 v14, s0, v2, 2
	s_delay_alu instid0(VALU_DEP_1) | instskip(SKIP_3) | instid1(VALU_DEP_3)
	v_add_co_ci_u32_e64 v15, s0, 0, v11, s0
	v_sub_co_u32 v16, s0, v9, s4
	v_sub_co_ci_u32_e32 v10, vcc_lo, v18, v10, vcc_lo
	v_subrev_co_ci_u32_e64 v12, s0, 0, v12, s0
	v_cmp_le_u32_e32 vcc_lo, s4, v16
	s_delay_alu instid0(VALU_DEP_3) | instskip(SKIP_1) | instid1(VALU_DEP_4)
	v_cmp_eq_u32_e64 s0, s5, v10
	v_cndmask_b32_e64 v16, 0, -1, vcc_lo
	v_cmp_le_u32_e32 vcc_lo, s5, v12
	v_cndmask_b32_e64 v17, 0, -1, vcc_lo
	v_cmp_le_u32_e32 vcc_lo, s4, v9
	;; [unrolled: 2-line block ×3, first 2 shown]
	v_cndmask_b32_e64 v18, 0, -1, vcc_lo
	v_cmp_eq_u32_e32 vcc_lo, s5, v12
	s_delay_alu instid0(VALU_DEP_2) | instskip(SKIP_3) | instid1(VALU_DEP_3)
	v_cndmask_b32_e64 v9, v18, v9, s0
	v_cndmask_b32_e32 v12, v17, v16, vcc_lo
	v_add_co_u32 v16, vcc_lo, v2, 1
	v_add_co_ci_u32_e32 v17, vcc_lo, 0, v11, vcc_lo
	v_cmp_ne_u32_e32 vcc_lo, 0, v12
	s_delay_alu instid0(VALU_DEP_2) | instskip(NEXT) | instid1(VALU_DEP_4)
	v_cndmask_b32_e32 v10, v17, v15, vcc_lo
	v_cndmask_b32_e32 v12, v16, v14, vcc_lo
	v_cmp_ne_u32_e32 vcc_lo, 0, v9
	v_xor_b32_e32 v14, s2, v13
	s_delay_alu instid0(VALU_DEP_3) | instskip(NEXT) | instid1(VALU_DEP_1)
	v_dual_cndmask_b32 v2, v2, v12 :: v_dual_cndmask_b32 v9, v11, v10
	v_xor_b32_e32 v2, v2, v14
	s_delay_alu instid0(VALU_DEP_2) | instskip(NEXT) | instid1(VALU_DEP_2)
	v_xor_b32_e32 v10, v9, v14
	v_sub_co_u32 v9, vcc_lo, v2, v14
	s_delay_alu instid0(VALU_DEP_2)
	v_sub_co_ci_u32_e32 v10, vcc_lo, v10, v14, vcc_lo
.LBB13_6:                               ;   in Loop: Header=BB13_4 Depth=1
	s_and_not1_saveexec_b32 s0, s1
	s_cbranch_execz .LBB13_8
; %bb.7:                                ;   in Loop: Header=BB13_4 Depth=1
	s_sub_i32 s1, 0, s43
	s_delay_alu instid0(SALU_CYCLE_1) | instskip(NEXT) | instid1(VALU_DEP_1)
	v_mul_lo_u32 v2, s1, v0
	v_mul_hi_u32 v2, v0, v2
	s_delay_alu instid0(VALU_DEP_1) | instskip(NEXT) | instid1(VALU_DEP_1)
	v_add_nc_u32_e32 v2, v0, v2
	v_mul_hi_u32 v2, v3, v2
	s_delay_alu instid0(VALU_DEP_1) | instskip(SKIP_1) | instid1(VALU_DEP_2)
	v_mul_lo_u32 v9, v2, s43
	v_add_nc_u32_e32 v10, 1, v2
	v_sub_nc_u32_e32 v9, v3, v9
	s_delay_alu instid0(VALU_DEP_1) | instskip(SKIP_1) | instid1(VALU_DEP_2)
	v_subrev_nc_u32_e32 v11, s43, v9
	v_cmp_le_u32_e32 vcc_lo, s43, v9
	v_dual_cndmask_b32 v9, v9, v11 :: v_dual_cndmask_b32 v2, v2, v10
	s_delay_alu instid0(VALU_DEP_1) | instskip(NEXT) | instid1(VALU_DEP_2)
	v_cmp_le_u32_e32 vcc_lo, s43, v9
	v_add_nc_u32_e32 v10, 1, v2
	s_delay_alu instid0(VALU_DEP_1)
	v_dual_cndmask_b32 v9, v2, v10 :: v_dual_mov_b32 v10, v1
.LBB13_8:                               ;   in Loop: Header=BB13_4 Depth=1
	s_or_b32 exec_lo, exec_lo, s0
	v_or_b32_e32 v2, s42, v4
                                        ; implicit-def: $vgpr11_vgpr12
	s_mov_b32 s0, exec_lo
	s_delay_alu instid0(VALU_DEP_1)
	v_cmpx_ne_u64_e32 0, v[1:2]
	s_xor_b32 s1, exec_lo, s0
	s_cbranch_execz .LBB13_10
; %bb.9:                                ;   in Loop: Header=BB13_4 Depth=1
	s_ashr_i32 s2, s42, 31
	s_delay_alu instid0(SALU_CYCLE_1) | instskip(SKIP_2) | instid1(SALU_CYCLE_1)
	s_add_u32 s4, s33, s2
	s_mov_b32 s3, s2
	s_addc_u32 s5, s42, s2
	s_xor_b64 s[4:5], s[4:5], s[2:3]
	s_delay_alu instid0(SALU_CYCLE_1) | instskip(SKIP_3) | instid1(VALU_DEP_1)
	v_cvt_f32_u32_e32 v2, s4
	v_cvt_f32_u32_e32 v11, s5
	s_sub_u32 s0, 0, s4
	s_subb_u32 s3, 0, s5
	v_fmac_f32_e32 v2, 0x4f800000, v11
	s_delay_alu instid0(VALU_DEP_1) | instskip(SKIP_2) | instid1(VALU_DEP_1)
	v_rcp_f32_e32 v2, v2
	s_waitcnt_depctr 0xfff
	v_mul_f32_e32 v2, 0x5f7ffffc, v2
	v_mul_f32_e32 v11, 0x2f800000, v2
	s_delay_alu instid0(VALU_DEP_1) | instskip(NEXT) | instid1(VALU_DEP_1)
	v_trunc_f32_e32 v11, v11
	v_fmac_f32_e32 v2, 0xcf800000, v11
	v_cvt_u32_f32_e32 v11, v11
	s_delay_alu instid0(VALU_DEP_2) | instskip(NEXT) | instid1(VALU_DEP_2)
	v_cvt_u32_f32_e32 v2, v2
	v_mul_lo_u32 v12, s0, v11
	s_delay_alu instid0(VALU_DEP_2) | instskip(SKIP_1) | instid1(VALU_DEP_2)
	v_mul_hi_u32 v14, s0, v2
	v_mul_lo_u32 v15, s3, v2
	v_add_nc_u32_e32 v12, v14, v12
	v_mul_lo_u32 v14, s0, v2
	s_delay_alu instid0(VALU_DEP_2) | instskip(NEXT) | instid1(VALU_DEP_2)
	v_add_nc_u32_e32 v12, v12, v15
	v_mul_hi_u32 v15, v2, v14
	s_delay_alu instid0(VALU_DEP_2)
	v_mul_lo_u32 v16, v2, v12
	v_mul_hi_u32 v17, v2, v12
	v_mul_hi_u32 v18, v11, v14
	v_mul_lo_u32 v14, v11, v14
	v_mul_hi_u32 v19, v11, v12
	v_mul_lo_u32 v12, v11, v12
	v_add_co_u32 v15, vcc_lo, v15, v16
	v_add_co_ci_u32_e32 v16, vcc_lo, 0, v17, vcc_lo
	s_delay_alu instid0(VALU_DEP_2) | instskip(NEXT) | instid1(VALU_DEP_2)
	v_add_co_u32 v14, vcc_lo, v15, v14
	v_add_co_ci_u32_e32 v14, vcc_lo, v16, v18, vcc_lo
	v_add_co_ci_u32_e32 v15, vcc_lo, 0, v19, vcc_lo
	s_delay_alu instid0(VALU_DEP_2) | instskip(NEXT) | instid1(VALU_DEP_2)
	v_add_co_u32 v12, vcc_lo, v14, v12
	v_add_co_ci_u32_e32 v14, vcc_lo, 0, v15, vcc_lo
	s_delay_alu instid0(VALU_DEP_2) | instskip(NEXT) | instid1(VALU_DEP_2)
	v_add_co_u32 v2, vcc_lo, v2, v12
	v_add_co_ci_u32_e32 v11, vcc_lo, v11, v14, vcc_lo
	s_delay_alu instid0(VALU_DEP_2) | instskip(SKIP_1) | instid1(VALU_DEP_3)
	v_mul_hi_u32 v12, s0, v2
	v_mul_lo_u32 v15, s3, v2
	v_mul_lo_u32 v14, s0, v11
	s_delay_alu instid0(VALU_DEP_1) | instskip(SKIP_1) | instid1(VALU_DEP_2)
	v_add_nc_u32_e32 v12, v12, v14
	v_mul_lo_u32 v14, s0, v2
	v_add_nc_u32_e32 v12, v12, v15
	s_delay_alu instid0(VALU_DEP_2) | instskip(NEXT) | instid1(VALU_DEP_2)
	v_mul_hi_u32 v15, v2, v14
	v_mul_lo_u32 v16, v2, v12
	v_mul_hi_u32 v17, v2, v12
	v_mul_hi_u32 v18, v11, v14
	v_mul_lo_u32 v14, v11, v14
	v_mul_hi_u32 v19, v11, v12
	v_mul_lo_u32 v12, v11, v12
	v_add_co_u32 v15, vcc_lo, v15, v16
	v_add_co_ci_u32_e32 v16, vcc_lo, 0, v17, vcc_lo
	s_delay_alu instid0(VALU_DEP_2) | instskip(NEXT) | instid1(VALU_DEP_2)
	v_add_co_u32 v14, vcc_lo, v15, v14
	v_add_co_ci_u32_e32 v14, vcc_lo, v16, v18, vcc_lo
	v_add_co_ci_u32_e32 v15, vcc_lo, 0, v19, vcc_lo
	v_add_co_u32 v16, vcc_lo, v3, v13
	v_add_co_ci_u32_e32 v17, vcc_lo, v4, v13, vcc_lo
	s_delay_alu instid0(VALU_DEP_4) | instskip(NEXT) | instid1(VALU_DEP_4)
	v_add_co_u32 v12, vcc_lo, v14, v12
	v_add_co_ci_u32_e32 v14, vcc_lo, 0, v15, vcc_lo
	s_delay_alu instid0(VALU_DEP_4) | instskip(NEXT) | instid1(VALU_DEP_3)
	v_xor_b32_e32 v18, v16, v13
	v_add_co_u32 v2, vcc_lo, v2, v12
	s_delay_alu instid0(VALU_DEP_3) | instskip(SKIP_1) | instid1(VALU_DEP_3)
	v_add_co_ci_u32_e32 v19, vcc_lo, v11, v14, vcc_lo
	v_xor_b32_e32 v20, v17, v13
	v_mul_hi_u32 v21, v18, v2
	v_xor_b32_e32 v13, s2, v13
	s_delay_alu instid0(VALU_DEP_4) | instskip(NEXT) | instid1(VALU_DEP_4)
	v_mad_u64_u32 v[11:12], null, v18, v19, 0
	v_mad_u64_u32 v[14:15], null, v20, v2, 0
	;; [unrolled: 1-line block ×3, first 2 shown]
	s_delay_alu instid0(VALU_DEP_3) | instskip(NEXT) | instid1(VALU_DEP_4)
	v_add_co_u32 v2, vcc_lo, v21, v11
	v_add_co_ci_u32_e32 v11, vcc_lo, 0, v12, vcc_lo
	s_delay_alu instid0(VALU_DEP_2) | instskip(NEXT) | instid1(VALU_DEP_2)
	v_add_co_u32 v2, vcc_lo, v2, v14
	v_add_co_ci_u32_e32 v2, vcc_lo, v11, v15, vcc_lo
	v_add_co_ci_u32_e32 v11, vcc_lo, 0, v17, vcc_lo
	s_delay_alu instid0(VALU_DEP_2) | instskip(NEXT) | instid1(VALU_DEP_2)
	v_add_co_u32 v2, vcc_lo, v2, v16
	v_add_co_ci_u32_e32 v14, vcc_lo, 0, v11, vcc_lo
	s_delay_alu instid0(VALU_DEP_2) | instskip(SKIP_1) | instid1(VALU_DEP_3)
	v_mul_lo_u32 v15, s5, v2
	v_mad_u64_u32 v[11:12], null, s4, v2, 0
	v_mul_lo_u32 v16, s4, v14
	s_delay_alu instid0(VALU_DEP_2) | instskip(NEXT) | instid1(VALU_DEP_2)
	v_sub_co_u32 v11, vcc_lo, v18, v11
	v_add3_u32 v12, v12, v16, v15
	s_delay_alu instid0(VALU_DEP_1) | instskip(NEXT) | instid1(VALU_DEP_1)
	v_sub_nc_u32_e32 v15, v20, v12
	v_subrev_co_ci_u32_e64 v15, s0, s5, v15, vcc_lo
	v_add_co_u32 v16, s0, v2, 2
	s_delay_alu instid0(VALU_DEP_1) | instskip(SKIP_3) | instid1(VALU_DEP_3)
	v_add_co_ci_u32_e64 v17, s0, 0, v14, s0
	v_sub_co_u32 v18, s0, v11, s4
	v_sub_co_ci_u32_e32 v12, vcc_lo, v20, v12, vcc_lo
	v_subrev_co_ci_u32_e64 v15, s0, 0, v15, s0
	v_cmp_le_u32_e32 vcc_lo, s4, v18
	s_delay_alu instid0(VALU_DEP_3) | instskip(SKIP_1) | instid1(VALU_DEP_4)
	v_cmp_eq_u32_e64 s0, s5, v12
	v_cndmask_b32_e64 v18, 0, -1, vcc_lo
	v_cmp_le_u32_e32 vcc_lo, s5, v15
	v_cndmask_b32_e64 v19, 0, -1, vcc_lo
	v_cmp_le_u32_e32 vcc_lo, s4, v11
	;; [unrolled: 2-line block ×3, first 2 shown]
	v_cndmask_b32_e64 v20, 0, -1, vcc_lo
	v_cmp_eq_u32_e32 vcc_lo, s5, v15
	s_delay_alu instid0(VALU_DEP_2) | instskip(SKIP_3) | instid1(VALU_DEP_3)
	v_cndmask_b32_e64 v11, v20, v11, s0
	v_cndmask_b32_e32 v15, v19, v18, vcc_lo
	v_add_co_u32 v18, vcc_lo, v2, 1
	v_add_co_ci_u32_e32 v19, vcc_lo, 0, v14, vcc_lo
	v_cmp_ne_u32_e32 vcc_lo, 0, v15
	s_delay_alu instid0(VALU_DEP_2) | instskip(SKIP_1) | instid1(VALU_DEP_2)
	v_dual_cndmask_b32 v12, v19, v17 :: v_dual_cndmask_b32 v15, v18, v16
	v_cmp_ne_u32_e32 vcc_lo, 0, v11
	v_cndmask_b32_e32 v11, v14, v12, vcc_lo
	s_delay_alu instid0(VALU_DEP_3) | instskip(NEXT) | instid1(VALU_DEP_2)
	v_cndmask_b32_e32 v2, v2, v15, vcc_lo
	v_xor_b32_e32 v12, v11, v13
	s_delay_alu instid0(VALU_DEP_2) | instskip(NEXT) | instid1(VALU_DEP_1)
	v_xor_b32_e32 v2, v2, v13
	v_sub_co_u32 v11, vcc_lo, v2, v13
	s_delay_alu instid0(VALU_DEP_3)
	v_sub_co_ci_u32_e32 v12, vcc_lo, v12, v13, vcc_lo
.LBB13_10:                              ;   in Loop: Header=BB13_4 Depth=1
	s_and_not1_saveexec_b32 s0, s1
	s_cbranch_execz .LBB13_12
; %bb.11:                               ;   in Loop: Header=BB13_4 Depth=1
	v_cvt_f32_u32_e32 v2, s33
	s_sub_i32 s1, 0, s33
	s_delay_alu instid0(VALU_DEP_1) | instskip(SKIP_2) | instid1(VALU_DEP_1)
	v_rcp_iflag_f32_e32 v2, v2
	s_waitcnt_depctr 0xfff
	v_mul_f32_e32 v2, 0x4f7ffffe, v2
	v_cvt_u32_f32_e32 v2, v2
	s_delay_alu instid0(VALU_DEP_1) | instskip(NEXT) | instid1(VALU_DEP_1)
	v_mul_lo_u32 v11, s1, v2
	v_mul_hi_u32 v11, v2, v11
	s_delay_alu instid0(VALU_DEP_1) | instskip(NEXT) | instid1(VALU_DEP_1)
	v_add_nc_u32_e32 v2, v2, v11
	v_mul_hi_u32 v2, v3, v2
	s_delay_alu instid0(VALU_DEP_1) | instskip(SKIP_1) | instid1(VALU_DEP_2)
	v_mul_lo_u32 v11, v2, s33
	v_add_nc_u32_e32 v12, 1, v2
	v_sub_nc_u32_e32 v11, v3, v11
	s_delay_alu instid0(VALU_DEP_1) | instskip(SKIP_1) | instid1(VALU_DEP_2)
	v_subrev_nc_u32_e32 v13, s33, v11
	v_cmp_le_u32_e32 vcc_lo, s33, v11
	v_dual_cndmask_b32 v11, v11, v13 :: v_dual_cndmask_b32 v2, v2, v12
	s_delay_alu instid0(VALU_DEP_1) | instskip(NEXT) | instid1(VALU_DEP_2)
	v_cmp_le_u32_e32 vcc_lo, s33, v11
	v_add_nc_u32_e32 v12, 1, v2
	s_delay_alu instid0(VALU_DEP_1)
	v_dual_cndmask_b32 v11, v2, v12 :: v_dual_mov_b32 v12, v1
.LBB13_12:                              ;   in Loop: Header=BB13_4 Depth=1
	s_or_b32 exec_lo, exec_lo, s0
	s_delay_alu instid0(VALU_DEP_1) | instskip(SKIP_1) | instid1(VALU_DEP_1)
	v_or_b32_e32 v2, s7, v12
                                        ; implicit-def: $vgpr13_vgpr14
	s_mov_b32 s0, exec_lo
	v_cmpx_ne_u64_e32 0, v[1:2]
	s_xor_b32 s1, exec_lo, s0
	s_cbranch_execz .LBB13_14
; %bb.13:                               ;   in Loop: Header=BB13_4 Depth=1
	s_add_u32 s4, s6, s7
	s_mov_b32 s2, s7
	s_mov_b32 s3, s7
	s_addc_u32 s5, s7, s7
	s_delay_alu instid0(SALU_CYCLE_1) | instskip(NEXT) | instid1(SALU_CYCLE_1)
	s_xor_b64 s[2:3], s[4:5], s[2:3]
	v_cvt_f32_u32_e32 v2, s2
	v_cvt_f32_u32_e32 v13, s3
	s_sub_u32 s0, 0, s2
	s_subb_u32 s4, 0, s3
	s_delay_alu instid0(VALU_DEP_1) | instskip(NEXT) | instid1(VALU_DEP_1)
	v_fmac_f32_e32 v2, 0x4f800000, v13
	v_rcp_f32_e32 v2, v2
	s_waitcnt_depctr 0xfff
	v_mul_f32_e32 v2, 0x5f7ffffc, v2
	s_delay_alu instid0(VALU_DEP_1) | instskip(NEXT) | instid1(VALU_DEP_1)
	v_mul_f32_e32 v13, 0x2f800000, v2
	v_trunc_f32_e32 v13, v13
	s_delay_alu instid0(VALU_DEP_1) | instskip(SKIP_1) | instid1(VALU_DEP_2)
	v_fmac_f32_e32 v2, 0xcf800000, v13
	v_cvt_u32_f32_e32 v13, v13
	v_cvt_u32_f32_e32 v2, v2
	s_delay_alu instid0(VALU_DEP_2) | instskip(NEXT) | instid1(VALU_DEP_2)
	v_mul_lo_u32 v14, s0, v13
	v_mul_hi_u32 v15, s0, v2
	v_mul_lo_u32 v16, s4, v2
	s_delay_alu instid0(VALU_DEP_2) | instskip(SKIP_1) | instid1(VALU_DEP_2)
	v_add_nc_u32_e32 v14, v15, v14
	v_mul_lo_u32 v15, s0, v2
	v_add_nc_u32_e32 v14, v14, v16
	s_delay_alu instid0(VALU_DEP_2) | instskip(NEXT) | instid1(VALU_DEP_2)
	v_mul_hi_u32 v16, v2, v15
	v_mul_lo_u32 v17, v2, v14
	v_mul_hi_u32 v18, v2, v14
	v_mul_hi_u32 v19, v13, v15
	v_mul_lo_u32 v15, v13, v15
	v_mul_hi_u32 v20, v13, v14
	v_mul_lo_u32 v14, v13, v14
	v_add_co_u32 v16, vcc_lo, v16, v17
	v_add_co_ci_u32_e32 v17, vcc_lo, 0, v18, vcc_lo
	s_delay_alu instid0(VALU_DEP_2) | instskip(NEXT) | instid1(VALU_DEP_2)
	v_add_co_u32 v15, vcc_lo, v16, v15
	v_add_co_ci_u32_e32 v15, vcc_lo, v17, v19, vcc_lo
	v_add_co_ci_u32_e32 v16, vcc_lo, 0, v20, vcc_lo
	v_ashrrev_i32_e32 v19, 31, v12
	s_delay_alu instid0(VALU_DEP_3) | instskip(NEXT) | instid1(VALU_DEP_3)
	v_add_co_u32 v14, vcc_lo, v15, v14
	v_add_co_ci_u32_e32 v15, vcc_lo, 0, v16, vcc_lo
	s_delay_alu instid0(VALU_DEP_2) | instskip(NEXT) | instid1(VALU_DEP_2)
	v_add_co_u32 v2, vcc_lo, v2, v14
	v_add_co_ci_u32_e32 v13, vcc_lo, v13, v15, vcc_lo
	s_delay_alu instid0(VALU_DEP_2) | instskip(SKIP_1) | instid1(VALU_DEP_3)
	v_mul_hi_u32 v14, s0, v2
	v_mul_lo_u32 v16, s4, v2
	v_mul_lo_u32 v15, s0, v13
	s_delay_alu instid0(VALU_DEP_1) | instskip(SKIP_1) | instid1(VALU_DEP_2)
	v_add_nc_u32_e32 v14, v14, v15
	v_mul_lo_u32 v15, s0, v2
	v_add_nc_u32_e32 v14, v14, v16
	s_delay_alu instid0(VALU_DEP_2) | instskip(NEXT) | instid1(VALU_DEP_2)
	v_mul_hi_u32 v16, v2, v15
	v_mul_lo_u32 v17, v2, v14
	v_mul_hi_u32 v18, v2, v14
	v_mul_hi_u32 v20, v13, v15
	v_mul_lo_u32 v15, v13, v15
	v_mul_hi_u32 v21, v13, v14
	v_mul_lo_u32 v14, v13, v14
	v_add_co_u32 v16, vcc_lo, v16, v17
	v_add_co_ci_u32_e32 v17, vcc_lo, 0, v18, vcc_lo
	s_delay_alu instid0(VALU_DEP_2) | instskip(NEXT) | instid1(VALU_DEP_2)
	v_add_co_u32 v15, vcc_lo, v16, v15
	v_add_co_ci_u32_e32 v15, vcc_lo, v17, v20, vcc_lo
	v_add_co_ci_u32_e32 v16, vcc_lo, 0, v21, vcc_lo
	v_add_co_u32 v17, vcc_lo, v11, v19
	v_add_co_ci_u32_e32 v18, vcc_lo, v12, v19, vcc_lo
	s_delay_alu instid0(VALU_DEP_4) | instskip(NEXT) | instid1(VALU_DEP_4)
	v_add_co_u32 v14, vcc_lo, v15, v14
	v_add_co_ci_u32_e32 v15, vcc_lo, 0, v16, vcc_lo
	s_delay_alu instid0(VALU_DEP_4) | instskip(NEXT) | instid1(VALU_DEP_3)
	v_xor_b32_e32 v20, v17, v19
	v_add_co_u32 v2, vcc_lo, v2, v14
	s_delay_alu instid0(VALU_DEP_3) | instskip(SKIP_1) | instid1(VALU_DEP_3)
	v_add_co_ci_u32_e32 v21, vcc_lo, v13, v15, vcc_lo
	v_xor_b32_e32 v22, v18, v19
	v_mul_hi_u32 v23, v20, v2
	s_delay_alu instid0(VALU_DEP_3) | instskip(NEXT) | instid1(VALU_DEP_3)
	v_mad_u64_u32 v[13:14], null, v20, v21, 0
	v_mad_u64_u32 v[15:16], null, v22, v2, 0
	;; [unrolled: 1-line block ×3, first 2 shown]
	s_delay_alu instid0(VALU_DEP_3) | instskip(NEXT) | instid1(VALU_DEP_4)
	v_add_co_u32 v2, vcc_lo, v23, v13
	v_add_co_ci_u32_e32 v13, vcc_lo, 0, v14, vcc_lo
	s_delay_alu instid0(VALU_DEP_2) | instskip(NEXT) | instid1(VALU_DEP_2)
	v_add_co_u32 v2, vcc_lo, v2, v15
	v_add_co_ci_u32_e32 v2, vcc_lo, v13, v16, vcc_lo
	v_add_co_ci_u32_e32 v13, vcc_lo, 0, v18, vcc_lo
	s_delay_alu instid0(VALU_DEP_2) | instskip(NEXT) | instid1(VALU_DEP_2)
	v_add_co_u32 v2, vcc_lo, v2, v17
	v_add_co_ci_u32_e32 v15, vcc_lo, 0, v13, vcc_lo
	s_delay_alu instid0(VALU_DEP_2) | instskip(SKIP_1) | instid1(VALU_DEP_3)
	v_mul_lo_u32 v16, s3, v2
	v_mad_u64_u32 v[13:14], null, s2, v2, 0
	v_mul_lo_u32 v2, s2, v15
	s_delay_alu instid0(VALU_DEP_2) | instskip(NEXT) | instid1(VALU_DEP_2)
	v_sub_co_u32 v13, vcc_lo, v20, v13
	v_add3_u32 v2, v14, v2, v16
	s_delay_alu instid0(VALU_DEP_1) | instskip(NEXT) | instid1(VALU_DEP_1)
	v_sub_nc_u32_e32 v14, v22, v2
	v_subrev_co_ci_u32_e64 v14, s0, s3, v14, vcc_lo
	v_sub_co_ci_u32_e32 v2, vcc_lo, v22, v2, vcc_lo
	v_sub_co_u32 v15, vcc_lo, v13, s2
	s_delay_alu instid0(VALU_DEP_1) | instskip(SKIP_3) | instid1(VALU_DEP_3)
	v_subrev_co_ci_u32_e64 v16, s0, 0, v14, vcc_lo
	v_cmp_le_u32_e64 s0, s2, v13
	v_subrev_co_ci_u32_e32 v14, vcc_lo, s3, v14, vcc_lo
	v_cmp_le_u32_e32 vcc_lo, s3, v2
	v_cndmask_b32_e64 v17, 0, -1, s0
	v_cmp_le_u32_e64 s0, s2, v15
	v_cndmask_b32_e64 v21, 0, -1, vcc_lo
	v_cmp_eq_u32_e32 vcc_lo, s3, v16
	s_delay_alu instid0(VALU_DEP_3) | instskip(SKIP_1) | instid1(VALU_DEP_1)
	v_cndmask_b32_e64 v18, 0, -1, s0
	v_cmp_le_u32_e64 s0, s3, v16
	v_cndmask_b32_e64 v20, 0, -1, s0
	v_cmp_eq_u32_e64 s0, s3, v2
	s_delay_alu instid0(VALU_DEP_2) | instskip(SKIP_2) | instid1(VALU_DEP_3)
	v_cndmask_b32_e32 v18, v20, v18, vcc_lo
	v_sub_co_u32 v20, vcc_lo, v15, s2
	v_subrev_co_ci_u32_e32 v14, vcc_lo, 0, v14, vcc_lo
	v_cmp_ne_u32_e32 vcc_lo, 0, v18
	v_cndmask_b32_e64 v17, v21, v17, s0
	s_delay_alu instid0(VALU_DEP_3) | instskip(NEXT) | instid1(VALU_DEP_2)
	v_dual_cndmask_b32 v14, v16, v14 :: v_dual_cndmask_b32 v15, v15, v20
	v_cmp_ne_u32_e32 vcc_lo, 0, v17
	s_delay_alu instid0(VALU_DEP_2) | instskip(NEXT) | instid1(VALU_DEP_1)
	v_dual_cndmask_b32 v13, v13, v15 :: v_dual_cndmask_b32 v2, v2, v14
	v_xor_b32_e32 v13, v13, v19
	s_delay_alu instid0(VALU_DEP_2) | instskip(NEXT) | instid1(VALU_DEP_2)
	v_xor_b32_e32 v2, v2, v19
	v_sub_co_u32 v13, vcc_lo, v13, v19
	s_delay_alu instid0(VALU_DEP_2)
	v_sub_co_ci_u32_e32 v14, vcc_lo, v2, v19, vcc_lo
.LBB13_14:                              ;   in Loop: Header=BB13_4 Depth=1
	s_and_not1_saveexec_b32 s0, s1
	s_cbranch_execz .LBB13_16
; %bb.15:                               ;   in Loop: Header=BB13_4 Depth=1
	v_cvt_f32_u32_e32 v2, s6
	s_sub_i32 s1, 0, s6
	v_mov_b32_e32 v14, v1
	s_delay_alu instid0(VALU_DEP_2) | instskip(SKIP_2) | instid1(VALU_DEP_1)
	v_rcp_iflag_f32_e32 v2, v2
	s_waitcnt_depctr 0xfff
	v_mul_f32_e32 v2, 0x4f7ffffe, v2
	v_cvt_u32_f32_e32 v2, v2
	s_delay_alu instid0(VALU_DEP_1) | instskip(NEXT) | instid1(VALU_DEP_1)
	v_mul_lo_u32 v13, s1, v2
	v_mul_hi_u32 v13, v2, v13
	s_delay_alu instid0(VALU_DEP_1) | instskip(NEXT) | instid1(VALU_DEP_1)
	v_add_nc_u32_e32 v2, v2, v13
	v_mul_hi_u32 v2, v11, v2
	s_delay_alu instid0(VALU_DEP_1) | instskip(NEXT) | instid1(VALU_DEP_1)
	v_mul_lo_u32 v2, v2, s6
	v_sub_nc_u32_e32 v2, v11, v2
	s_delay_alu instid0(VALU_DEP_1) | instskip(SKIP_1) | instid1(VALU_DEP_2)
	v_subrev_nc_u32_e32 v13, s6, v2
	v_cmp_le_u32_e32 vcc_lo, s6, v2
	v_cndmask_b32_e32 v2, v2, v13, vcc_lo
	s_delay_alu instid0(VALU_DEP_1) | instskip(SKIP_1) | instid1(VALU_DEP_2)
	v_subrev_nc_u32_e32 v13, s6, v2
	v_cmp_le_u32_e32 vcc_lo, s6, v2
	v_cndmask_b32_e32 v13, v2, v13, vcc_lo
.LBB13_16:                              ;   in Loop: Header=BB13_4 Depth=1
	s_or_b32 exec_lo, exec_lo, s0
	v_mad_u64_u32 v[17:18], null, s59, v11, v[3:4]
	v_mul_lo_u32 v2, s59, v12
	v_mul_lo_u32 v15, s60, v11
	s_mov_b32 s0, exec_lo
	s_delay_alu instid0(VALU_DEP_1) | instskip(NEXT) | instid1(VALU_DEP_1)
	v_add3_u32 v18, v15, v18, v2
                                        ; implicit-def: $vgpr15_vgpr16
	v_or_b32_e32 v2, s21, v18
	s_delay_alu instid0(VALU_DEP_1)
	v_cmpx_ne_u64_e32 0, v[1:2]
	s_xor_b32 s1, exec_lo, s0
	s_cbranch_execz .LBB13_18
; %bb.17:                               ;   in Loop: Header=BB13_4 Depth=1
	s_ashr_i32 s2, s21, 31
	s_delay_alu instid0(SALU_CYCLE_1) | instskip(SKIP_2) | instid1(SALU_CYCLE_1)
	s_add_u32 s4, s20, s2
	s_mov_b32 s3, s2
	s_addc_u32 s5, s21, s2
	s_xor_b64 s[4:5], s[4:5], s[2:3]
	s_delay_alu instid0(SALU_CYCLE_1) | instskip(SKIP_3) | instid1(VALU_DEP_1)
	v_cvt_f32_u32_e32 v2, s4
	v_cvt_f32_u32_e32 v15, s5
	s_sub_u32 s0, 0, s4
	s_subb_u32 s3, 0, s5
	v_fmac_f32_e32 v2, 0x4f800000, v15
	s_delay_alu instid0(VALU_DEP_1) | instskip(SKIP_2) | instid1(VALU_DEP_1)
	v_rcp_f32_e32 v2, v2
	s_waitcnt_depctr 0xfff
	v_mul_f32_e32 v2, 0x5f7ffffc, v2
	v_mul_f32_e32 v15, 0x2f800000, v2
	s_delay_alu instid0(VALU_DEP_1) | instskip(NEXT) | instid1(VALU_DEP_1)
	v_trunc_f32_e32 v15, v15
	v_fmac_f32_e32 v2, 0xcf800000, v15
	v_cvt_u32_f32_e32 v15, v15
	s_delay_alu instid0(VALU_DEP_2) | instskip(NEXT) | instid1(VALU_DEP_2)
	v_cvt_u32_f32_e32 v2, v2
	v_mul_lo_u32 v16, s0, v15
	s_delay_alu instid0(VALU_DEP_2) | instskip(SKIP_1) | instid1(VALU_DEP_2)
	v_mul_hi_u32 v19, s0, v2
	v_mul_lo_u32 v20, s3, v2
	v_add_nc_u32_e32 v16, v19, v16
	v_mul_lo_u32 v19, s0, v2
	s_delay_alu instid0(VALU_DEP_2) | instskip(NEXT) | instid1(VALU_DEP_2)
	v_add_nc_u32_e32 v16, v16, v20
	v_mul_hi_u32 v20, v2, v19
	s_delay_alu instid0(VALU_DEP_2)
	v_mul_lo_u32 v21, v2, v16
	v_mul_hi_u32 v22, v2, v16
	v_mul_hi_u32 v23, v15, v19
	v_mul_lo_u32 v19, v15, v19
	v_mul_hi_u32 v24, v15, v16
	v_mul_lo_u32 v16, v15, v16
	v_add_co_u32 v20, vcc_lo, v20, v21
	v_add_co_ci_u32_e32 v21, vcc_lo, 0, v22, vcc_lo
	s_delay_alu instid0(VALU_DEP_2) | instskip(NEXT) | instid1(VALU_DEP_2)
	v_add_co_u32 v19, vcc_lo, v20, v19
	v_add_co_ci_u32_e32 v19, vcc_lo, v21, v23, vcc_lo
	v_add_co_ci_u32_e32 v20, vcc_lo, 0, v24, vcc_lo
	v_ashrrev_i32_e32 v23, 31, v18
	s_delay_alu instid0(VALU_DEP_3) | instskip(NEXT) | instid1(VALU_DEP_3)
	v_add_co_u32 v16, vcc_lo, v19, v16
	v_add_co_ci_u32_e32 v19, vcc_lo, 0, v20, vcc_lo
	s_delay_alu instid0(VALU_DEP_2) | instskip(NEXT) | instid1(VALU_DEP_2)
	v_add_co_u32 v2, vcc_lo, v2, v16
	v_add_co_ci_u32_e32 v15, vcc_lo, v15, v19, vcc_lo
	s_delay_alu instid0(VALU_DEP_2) | instskip(SKIP_1) | instid1(VALU_DEP_3)
	v_mul_hi_u32 v16, s0, v2
	v_mul_lo_u32 v20, s3, v2
	v_mul_lo_u32 v19, s0, v15
	s_delay_alu instid0(VALU_DEP_1) | instskip(SKIP_1) | instid1(VALU_DEP_2)
	v_add_nc_u32_e32 v16, v16, v19
	v_mul_lo_u32 v19, s0, v2
	v_add_nc_u32_e32 v16, v16, v20
	s_delay_alu instid0(VALU_DEP_2) | instskip(NEXT) | instid1(VALU_DEP_2)
	v_mul_hi_u32 v20, v2, v19
	v_mul_lo_u32 v21, v2, v16
	v_mul_hi_u32 v22, v2, v16
	v_mul_hi_u32 v24, v15, v19
	v_mul_lo_u32 v19, v15, v19
	v_mul_hi_u32 v25, v15, v16
	v_mul_lo_u32 v16, v15, v16
	v_add_co_u32 v20, vcc_lo, v20, v21
	v_add_co_ci_u32_e32 v21, vcc_lo, 0, v22, vcc_lo
	s_delay_alu instid0(VALU_DEP_2) | instskip(NEXT) | instid1(VALU_DEP_2)
	v_add_co_u32 v19, vcc_lo, v20, v19
	v_add_co_ci_u32_e32 v19, vcc_lo, v21, v24, vcc_lo
	v_add_co_ci_u32_e32 v20, vcc_lo, 0, v25, vcc_lo
	v_add_co_u32 v17, vcc_lo, v17, v23
	v_add_co_ci_u32_e32 v18, vcc_lo, v18, v23, vcc_lo
	s_delay_alu instid0(VALU_DEP_4) | instskip(NEXT) | instid1(VALU_DEP_4)
	v_add_co_u32 v16, vcc_lo, v19, v16
	v_add_co_ci_u32_e32 v19, vcc_lo, 0, v20, vcc_lo
	s_delay_alu instid0(VALU_DEP_4) | instskip(NEXT) | instid1(VALU_DEP_3)
	v_xor_b32_e32 v21, v17, v23
	v_add_co_u32 v2, vcc_lo, v2, v16
	s_delay_alu instid0(VALU_DEP_3) | instskip(SKIP_1) | instid1(VALU_DEP_3)
	v_add_co_ci_u32_e32 v22, vcc_lo, v15, v19, vcc_lo
	v_xor_b32_e32 v24, v18, v23
	v_mul_hi_u32 v25, v21, v2
	s_delay_alu instid0(VALU_DEP_3) | instskip(NEXT) | instid1(VALU_DEP_3)
	v_mad_u64_u32 v[15:16], null, v21, v22, 0
	v_mad_u64_u32 v[17:18], null, v24, v2, 0
	;; [unrolled: 1-line block ×3, first 2 shown]
	s_delay_alu instid0(VALU_DEP_3) | instskip(NEXT) | instid1(VALU_DEP_4)
	v_add_co_u32 v2, vcc_lo, v25, v15
	v_add_co_ci_u32_e32 v15, vcc_lo, 0, v16, vcc_lo
	s_delay_alu instid0(VALU_DEP_2) | instskip(NEXT) | instid1(VALU_DEP_2)
	v_add_co_u32 v2, vcc_lo, v2, v17
	v_add_co_ci_u32_e32 v2, vcc_lo, v15, v18, vcc_lo
	v_add_co_ci_u32_e32 v15, vcc_lo, 0, v20, vcc_lo
	s_delay_alu instid0(VALU_DEP_2) | instskip(NEXT) | instid1(VALU_DEP_2)
	v_add_co_u32 v2, vcc_lo, v2, v19
	v_add_co_ci_u32_e32 v17, vcc_lo, 0, v15, vcc_lo
	s_delay_alu instid0(VALU_DEP_2) | instskip(SKIP_1) | instid1(VALU_DEP_3)
	v_mul_lo_u32 v18, s5, v2
	v_mad_u64_u32 v[15:16], null, s4, v2, 0
	v_mul_lo_u32 v19, s4, v17
	s_delay_alu instid0(VALU_DEP_2) | instskip(NEXT) | instid1(VALU_DEP_2)
	v_sub_co_u32 v15, vcc_lo, v21, v15
	v_add3_u32 v16, v16, v19, v18
	s_delay_alu instid0(VALU_DEP_1) | instskip(NEXT) | instid1(VALU_DEP_1)
	v_sub_nc_u32_e32 v18, v24, v16
	v_subrev_co_ci_u32_e64 v18, s0, s5, v18, vcc_lo
	v_add_co_u32 v19, s0, v2, 2
	s_delay_alu instid0(VALU_DEP_1) | instskip(SKIP_3) | instid1(VALU_DEP_3)
	v_add_co_ci_u32_e64 v20, s0, 0, v17, s0
	v_sub_co_u32 v21, s0, v15, s4
	v_sub_co_ci_u32_e32 v16, vcc_lo, v24, v16, vcc_lo
	v_subrev_co_ci_u32_e64 v18, s0, 0, v18, s0
	v_cmp_le_u32_e32 vcc_lo, s4, v21
	s_delay_alu instid0(VALU_DEP_3) | instskip(SKIP_1) | instid1(VALU_DEP_4)
	v_cmp_eq_u32_e64 s0, s5, v16
	v_cndmask_b32_e64 v21, 0, -1, vcc_lo
	v_cmp_le_u32_e32 vcc_lo, s5, v18
	v_cndmask_b32_e64 v22, 0, -1, vcc_lo
	v_cmp_le_u32_e32 vcc_lo, s4, v15
	;; [unrolled: 2-line block ×3, first 2 shown]
	v_cndmask_b32_e64 v24, 0, -1, vcc_lo
	v_cmp_eq_u32_e32 vcc_lo, s5, v18
	s_delay_alu instid0(VALU_DEP_2) | instskip(SKIP_3) | instid1(VALU_DEP_3)
	v_cndmask_b32_e64 v15, v24, v15, s0
	v_cndmask_b32_e32 v18, v22, v21, vcc_lo
	v_add_co_u32 v21, vcc_lo, v2, 1
	v_add_co_ci_u32_e32 v22, vcc_lo, 0, v17, vcc_lo
	v_cmp_ne_u32_e32 vcc_lo, 0, v18
	s_delay_alu instid0(VALU_DEP_2) | instskip(NEXT) | instid1(VALU_DEP_4)
	v_cndmask_b32_e32 v16, v22, v20, vcc_lo
	v_cndmask_b32_e32 v18, v21, v19, vcc_lo
	v_cmp_ne_u32_e32 vcc_lo, 0, v15
	v_xor_b32_e32 v19, s2, v23
	s_delay_alu instid0(VALU_DEP_3) | instskip(NEXT) | instid1(VALU_DEP_1)
	v_dual_cndmask_b32 v2, v2, v18 :: v_dual_cndmask_b32 v15, v17, v16
                                        ; implicit-def: $vgpr17_vgpr18
	v_xor_b32_e32 v2, v2, v19
	s_delay_alu instid0(VALU_DEP_2) | instskip(NEXT) | instid1(VALU_DEP_2)
	v_xor_b32_e32 v16, v15, v19
	v_sub_co_u32 v15, vcc_lo, v2, v19
	s_delay_alu instid0(VALU_DEP_2)
	v_sub_co_ci_u32_e32 v16, vcc_lo, v16, v19, vcc_lo
.LBB13_18:                              ;   in Loop: Header=BB13_4 Depth=1
	s_and_not1_saveexec_b32 s0, s1
	s_cbranch_execz .LBB13_20
; %bb.19:                               ;   in Loop: Header=BB13_4 Depth=1
	v_cvt_f32_u32_e32 v2, s20
	s_sub_i32 s1, 0, s20
	s_delay_alu instid0(VALU_DEP_1) | instskip(SKIP_2) | instid1(VALU_DEP_1)
	v_rcp_iflag_f32_e32 v2, v2
	s_waitcnt_depctr 0xfff
	v_mul_f32_e32 v2, 0x4f7ffffe, v2
	v_cvt_u32_f32_e32 v2, v2
	s_delay_alu instid0(VALU_DEP_1) | instskip(NEXT) | instid1(VALU_DEP_1)
	v_mul_lo_u32 v15, s1, v2
	v_mul_hi_u32 v15, v2, v15
	s_delay_alu instid0(VALU_DEP_1) | instskip(NEXT) | instid1(VALU_DEP_1)
	v_add_nc_u32_e32 v2, v2, v15
	v_mul_hi_u32 v2, v17, v2
	s_delay_alu instid0(VALU_DEP_1) | instskip(SKIP_1) | instid1(VALU_DEP_2)
	v_mul_lo_u32 v15, v2, s20
	v_add_nc_u32_e32 v16, 1, v2
	v_sub_nc_u32_e32 v15, v17, v15
	s_delay_alu instid0(VALU_DEP_1) | instskip(SKIP_1) | instid1(VALU_DEP_2)
	v_subrev_nc_u32_e32 v17, s20, v15
	v_cmp_le_u32_e32 vcc_lo, s20, v15
	v_dual_cndmask_b32 v15, v15, v17 :: v_dual_cndmask_b32 v2, v2, v16
	s_delay_alu instid0(VALU_DEP_1) | instskip(NEXT) | instid1(VALU_DEP_2)
	v_cmp_le_u32_e32 vcc_lo, s20, v15
	v_add_nc_u32_e32 v16, 1, v2
	s_delay_alu instid0(VALU_DEP_1)
	v_dual_cndmask_b32 v15, v2, v16 :: v_dual_mov_b32 v16, v1
.LBB13_20:                              ;   in Loop: Header=BB13_4 Depth=1
	s_or_b32 exec_lo, exec_lo, s0
	v_mul_lo_u32 v2, s56, v11
	v_mul_lo_u32 v21, s55, v12
	v_mad_u64_u32 v[17:18], null, s55, v11, 0
	v_mul_lo_u32 v24, v12, s33
	v_mul_lo_u32 v25, v11, s42
	v_mad_u64_u32 v[19:20], null, v11, s33, 0
	v_mul_lo_u32 v26, v16, s20
	v_mul_lo_u32 v27, v15, s21
	v_add3_u32 v18, v18, v21, v2
	v_sub_co_u32 v2, vcc_lo, v17, v15
	v_mad_u64_u32 v[21:22], null, v15, s20, 0
	s_delay_alu instid0(VALU_DEP_3) | instskip(NEXT) | instid1(VALU_DEP_3)
	v_sub_co_ci_u32_e32 v23, vcc_lo, v18, v16, vcc_lo
	v_mul_lo_u32 v28, s21, v2
	v_mad_u64_u32 v[17:18], null, s20, v2, 0
	s_delay_alu instid0(VALU_DEP_3)
	v_mul_lo_u32 v29, s20, v23
	v_add3_u32 v20, v20, v25, v24
	v_add3_u32 v22, v22, v27, v26
	v_cmp_lt_i64_e32 vcc_lo, 0, v[15:16]
	v_cmp_ge_i64_e64 s0, s[12:13], v[15:16]
	v_add_co_u32 v24, s1, v3, v17
	v_add3_u32 v18, v18, v29, v28
	s_delay_alu instid0(VALU_DEP_3) | instskip(NEXT) | instid1(VALU_DEP_1)
	s_and_b32 s0, vcc_lo, s0
	v_add_co_ci_u32_e64 v25, s1, v4, v18, s1
	v_sub_co_u32 v19, s1, v3, v19
	s_delay_alu instid0(VALU_DEP_1) | instskip(SKIP_1) | instid1(VALU_DEP_4)
	v_sub_co_ci_u32_e64 v20, s1, v4, v20, s1
	v_cmp_eq_u64_e64 s1, v[17:18], v[5:6]
	v_cmp_lt_i64_e64 s2, s[10:11], v[24:25]
	v_cmp_gt_i64_e64 s3, s[28:29], v[24:25]
	v_cmp_le_i64_e64 s4, s[30:31], v[24:25]
	v_sub_co_u32 v25, s5, v19, v21
	s_delay_alu instid0(VALU_DEP_1) | instskip(SKIP_2) | instid1(VALU_DEP_4)
	v_sub_co_ci_u32_e64 v26, s5, v20, v22, s5
	v_mov_b32_e32 v24, 0
	s_or_b32 s5, s1, s2
	s_and_b32 s2, s3, s4
	s_and_saveexec_b32 s3, s0
	s_cbranch_execz .LBB13_30
; %bb.21:                               ;   in Loop: Header=BB13_4 Depth=1
	v_sub_co_u32 v21, vcc_lo, s12, v15
	v_sub_co_ci_u32_e32 v19, vcc_lo, s13, v16, vcc_lo
	s_mov_b32 s0, exec_lo
	s_delay_alu instid0(VALU_DEP_2) | instskip(NEXT) | instid1(VALU_DEP_2)
	v_mul_lo_u32 v24, v21, s45
	v_mul_lo_u32 v22, v19, s44
	v_mad_u64_u32 v[19:20], null, v21, s44, 0
	s_delay_alu instid0(VALU_DEP_1) | instskip(NEXT) | instid1(VALU_DEP_2)
	v_add3_u32 v20, v20, v24, v22
	v_add_co_u32 v21, vcc_lo, v17, v19
	s_delay_alu instid0(VALU_DEP_2) | instskip(SKIP_2) | instid1(VALU_DEP_2)
	v_add_co_ci_u32_e32 v22, vcc_lo, v18, v20, vcc_lo
	v_add_co_u32 v24, vcc_lo, s10, v3
	v_add_co_ci_u32_e32 v27, vcc_lo, s11, v4, vcc_lo
	v_add_co_u32 v21, vcc_lo, v24, v21
	s_delay_alu instid0(VALU_DEP_2) | instskip(SKIP_1) | instid1(VALU_DEP_2)
	v_add_co_ci_u32_e32 v22, vcc_lo, v27, v22, vcc_lo
	v_mov_b32_e32 v24, 0
	v_cmpx_gt_i64_e64 s[14:15], v[21:22]
	s_cbranch_execz .LBB13_23
; %bb.22:                               ;   in Loop: Header=BB13_4 Depth=1
	v_mul_lo_u32 v24, s47, v9
	v_mul_lo_u32 v31, s52, v10
	v_mad_u64_u32 v[27:28], null, s52, v9, 0
	v_mul_lo_u32 v32, v14, s14
	v_mul_lo_u32 v33, v13, s15
	v_mad_u64_u32 v[29:30], null, v13, s14, 0
	v_lshlrev_b64 v[21:22], 2, v[21:22]
	v_add3_u32 v28, v28, v31, v24
	s_delay_alu instid0(VALU_DEP_3) | instskip(NEXT) | instid1(VALU_DEP_2)
	v_add3_u32 v30, v30, v33, v32
	v_lshlrev_b64 v[27:28], 2, v[27:28]
	s_delay_alu instid0(VALU_DEP_2) | instskip(NEXT) | instid1(VALU_DEP_2)
	v_lshlrev_b64 v[29:30], 2, v[29:30]
	v_add_co_u32 v24, vcc_lo, s18, v27
	s_delay_alu instid0(VALU_DEP_3) | instskip(NEXT) | instid1(VALU_DEP_2)
	v_add_co_ci_u32_e32 v27, vcc_lo, s19, v28, vcc_lo
	v_add_co_u32 v24, vcc_lo, v24, v29
	s_delay_alu instid0(VALU_DEP_2) | instskip(NEXT) | instid1(VALU_DEP_2)
	v_add_co_ci_u32_e32 v27, vcc_lo, v27, v30, vcc_lo
	v_add_co_u32 v21, vcc_lo, v24, v21
	s_delay_alu instid0(VALU_DEP_2)
	v_add_co_ci_u32_e32 v22, vcc_lo, v27, v22, vcc_lo
	global_load_b32 v21, v[21:22], off
	s_waitcnt vmcnt(0)
	v_add_f32_e32 v24, 0, v21
.LBB13_23:                              ;   in Loop: Header=BB13_4 Depth=1
	s_or_b32 exec_lo, exec_lo, s0
	s_mov_b32 s1, 0
                                        ; implicit-def: $vgpr21_vgpr22
	s_and_saveexec_b32 s0, s5
	s_delay_alu instid0(SALU_CYCLE_1)
	s_xor_b32 s4, exec_lo, s0
	s_cbranch_execz .LBB13_49
; %bb.24:                               ;   in Loop: Header=BB13_4 Depth=1
	s_mov_b32 s0, 0
                                        ; implicit-def: $vgpr21_vgpr22
	s_and_saveexec_b32 s1, s2
	s_delay_alu instid0(SALU_CYCLE_1)
	s_xor_b32 s62, exec_lo, s1
	s_cbranch_execz .LBB13_26
; %bb.25:                               ;   in Loop: Header=BB13_4 Depth=1
	v_mad_u64_u32 v[21:22], null, s22, v11, v[15:16]
	v_mul_lo_u32 v27, s22, v12
	v_mul_lo_u32 v28, s23, v11
	s_delay_alu instid0(VALU_DEP_1) | instskip(NEXT) | instid1(VALU_DEP_4)
	v_add3_u32 v22, v28, v22, v27
	v_add_co_u32 v27, vcc_lo, v21, 2
	s_delay_alu instid0(VALU_DEP_2) | instskip(NEXT) | instid1(VALU_DEP_2)
	v_add_co_ci_u32_e32 v28, vcc_lo, 0, v22, vcc_lo
	v_mul_lo_u32 v29, s21, v27
	v_mad_u64_u32 v[21:22], null, s20, v27, v[19:20]
	s_delay_alu instid0(VALU_DEP_3) | instskip(SKIP_2) | instid1(VALU_DEP_2)
	v_mul_lo_u32 v27, s20, v28
	v_add_co_u32 v28, vcc_lo, s10, v5
	v_add_co_ci_u32_e32 v30, vcc_lo, s11, v6, vcc_lo
	v_add_co_u32 v21, vcc_lo, v28, v21
	s_delay_alu instid0(VALU_DEP_4) | instskip(NEXT) | instid1(VALU_DEP_1)
	v_add3_u32 v22, v29, v22, v27
	v_add_co_ci_u32_e32 v22, vcc_lo, v30, v22, vcc_lo
	s_delay_alu instid0(VALU_DEP_3) | instskip(NEXT) | instid1(VALU_DEP_2)
	v_add_co_u32 v21, vcc_lo, v21, -2
	v_add_co_ci_u32_e32 v22, vcc_lo, -1, v22, vcc_lo
	v_sub_co_u32 v27, vcc_lo, s48, v25
	v_sub_co_ci_u32_e32 v28, vcc_lo, s49, v26, vcc_lo
	s_delay_alu instid0(VALU_DEP_3) | instskip(SKIP_1) | instid1(VALU_DEP_4)
	v_cmp_lt_i64_e32 vcc_lo, -1, v[21:22]
	v_cmp_gt_i64_e64 s0, s[14:15], v[21:22]
	v_add_co_u32 v21, s1, v27, v19
	s_delay_alu instid0(VALU_DEP_1) | instskip(NEXT) | instid1(VALU_DEP_3)
	v_add_co_ci_u32_e64 v22, s1, v28, v20, s1
	s_and_b32 s0, vcc_lo, s0
	s_delay_alu instid0(SALU_CYCLE_1)
	s_and_b32 s0, s0, exec_lo
.LBB13_26:                              ;   in Loop: Header=BB13_4 Depth=1
	s_or_b32 exec_lo, exec_lo, s62
	s_delay_alu instid0(SALU_CYCLE_1)
	s_and_b32 s1, s0, exec_lo
                                        ; implicit-def: $vgpr19_vgpr20
	s_and_not1_saveexec_b32 s4, s4
	s_cbranch_execnz .LBB13_50
.LBB13_27:                              ;   in Loop: Header=BB13_4 Depth=1
	s_or_b32 exec_lo, exec_lo, s4
	s_and_saveexec_b32 s0, s1
	s_cbranch_execz .LBB13_29
.LBB13_28:                              ;   in Loop: Header=BB13_4 Depth=1
	v_mul_lo_u32 v29, s47, v9
	v_mul_lo_u32 v30, s52, v10
	v_mad_u64_u32 v[19:20], null, s52, v9, 0
	v_mul_lo_u32 v31, v14, s14
	v_mul_lo_u32 v32, v13, s15
	v_mad_u64_u32 v[27:28], null, v13, s14, 0
	s_delay_alu instid0(VALU_DEP_4) | instskip(NEXT) | instid1(VALU_DEP_2)
	v_add3_u32 v20, v20, v30, v29
	v_add3_u32 v28, v28, v32, v31
	s_delay_alu instid0(VALU_DEP_2) | instskip(NEXT) | instid1(VALU_DEP_2)
	v_lshlrev_b64 v[19:20], 2, v[19:20]
	v_lshlrev_b64 v[27:28], 2, v[27:28]
	s_delay_alu instid0(VALU_DEP_2) | instskip(NEXT) | instid1(VALU_DEP_3)
	v_add_co_u32 v29, vcc_lo, s18, v19
	v_add_co_ci_u32_e32 v30, vcc_lo, s19, v20, vcc_lo
	v_lshlrev_b64 v[19:20], 2, v[21:22]
	s_delay_alu instid0(VALU_DEP_3) | instskip(NEXT) | instid1(VALU_DEP_3)
	v_add_co_u32 v21, vcc_lo, v29, v27
	v_add_co_ci_u32_e32 v22, vcc_lo, v30, v28, vcc_lo
	s_delay_alu instid0(VALU_DEP_2) | instskip(NEXT) | instid1(VALU_DEP_2)
	v_add_co_u32 v19, vcc_lo, v21, v19
	v_add_co_ci_u32_e32 v20, vcc_lo, v22, v20, vcc_lo
	global_load_b32 v19, v[19:20], off
	s_waitcnt vmcnt(0)
	v_add_f32_e32 v24, v24, v19
.LBB13_29:                              ;   in Loop: Header=BB13_4 Depth=1
	s_or_b32 exec_lo, exec_lo, s0
.LBB13_30:                              ;   in Loop: Header=BB13_4 Depth=1
	s_delay_alu instid0(SALU_CYCLE_1) | instskip(SKIP_2) | instid1(VALU_DEP_1)
	s_or_b32 exec_lo, exec_lo, s3
	v_cmp_gt_i64_e32 vcc_lo, s[24:25], v[15:16]
	v_cmp_le_i64_e64 s0, s[26:27], v[15:16]
	s_and_b32 s0, vcc_lo, s0
	s_delay_alu instid0(SALU_CYCLE_1)
	s_and_saveexec_b32 s3, s0
	s_cbranch_execz .LBB13_40
; %bb.31:                               ;   in Loop: Header=BB13_4 Depth=1
	v_sub_co_u32 v21, vcc_lo, s50, v15
	v_sub_co_ci_u32_e32 v19, vcc_lo, s51, v16, vcc_lo
	s_delay_alu instid0(VALU_DEP_2) | instskip(NEXT) | instid1(VALU_DEP_2)
	v_mul_lo_u32 v22, s45, v21
	v_mul_lo_u32 v27, s44, v19
	v_mad_u64_u32 v[19:20], null, s44, v21, 0
	v_add_co_u32 v21, vcc_lo, s10, v3
	s_delay_alu instid0(VALU_DEP_2) | instskip(SKIP_1) | instid1(VALU_DEP_4)
	v_add3_u32 v20, v20, v27, v22
	v_add_co_ci_u32_e32 v22, vcc_lo, s11, v4, vcc_lo
	v_add_co_u32 v27, vcc_lo, v19, v17
	s_delay_alu instid0(VALU_DEP_3) | instskip(NEXT) | instid1(VALU_DEP_2)
	v_add_co_ci_u32_e32 v28, vcc_lo, v20, v18, vcc_lo
	v_add_co_u32 v21, vcc_lo, v21, v27
	s_delay_alu instid0(VALU_DEP_2) | instskip(NEXT) | instid1(VALU_DEP_1)
	v_add_co_ci_u32_e32 v22, vcc_lo, v22, v28, vcc_lo
	v_cmp_lt_i64_e32 vcc_lo, -1, v[21:22]
	v_cmp_gt_i64_e64 s0, s[14:15], v[21:22]
	s_delay_alu instid0(VALU_DEP_1) | instskip(NEXT) | instid1(SALU_CYCLE_1)
	s_and_b32 s1, vcc_lo, s0
	s_and_saveexec_b32 s0, s1
	s_cbranch_execz .LBB13_33
; %bb.32:                               ;   in Loop: Header=BB13_4 Depth=1
	v_mul_lo_u32 v31, s47, v9
	v_mul_lo_u32 v32, s52, v10
	v_mad_u64_u32 v[27:28], null, s52, v9, 0
	v_mul_lo_u32 v33, v14, s14
	v_mul_lo_u32 v34, v13, s15
	v_mad_u64_u32 v[29:30], null, v13, s14, 0
	v_lshlrev_b64 v[21:22], 2, v[21:22]
	v_add3_u32 v28, v28, v32, v31
	s_delay_alu instid0(VALU_DEP_3) | instskip(NEXT) | instid1(VALU_DEP_2)
	v_add3_u32 v30, v30, v34, v33
	v_lshlrev_b64 v[27:28], 2, v[27:28]
	s_delay_alu instid0(VALU_DEP_2) | instskip(NEXT) | instid1(VALU_DEP_2)
	v_lshlrev_b64 v[29:30], 2, v[29:30]
	v_add_co_u32 v27, vcc_lo, s18, v27
	s_delay_alu instid0(VALU_DEP_3) | instskip(NEXT) | instid1(VALU_DEP_2)
	v_add_co_ci_u32_e32 v28, vcc_lo, s19, v28, vcc_lo
	v_add_co_u32 v27, vcc_lo, v27, v29
	s_delay_alu instid0(VALU_DEP_2) | instskip(NEXT) | instid1(VALU_DEP_2)
	v_add_co_ci_u32_e32 v28, vcc_lo, v28, v30, vcc_lo
	v_add_co_u32 v21, vcc_lo, v27, v21
	s_delay_alu instid0(VALU_DEP_2)
	v_add_co_ci_u32_e32 v22, vcc_lo, v28, v22, vcc_lo
	global_load_b32 v21, v[21:22], off
	s_waitcnt vmcnt(0)
	v_add_f32_e32 v24, v24, v21
.LBB13_33:                              ;   in Loop: Header=BB13_4 Depth=1
	s_or_b32 exec_lo, exec_lo, s0
	s_mov_b32 s1, 0
                                        ; implicit-def: $vgpr21_vgpr22
	s_and_saveexec_b32 s0, s5
	s_delay_alu instid0(SALU_CYCLE_1)
	s_xor_b32 s4, exec_lo, s0
	s_cbranch_execz .LBB13_51
; %bb.34:                               ;   in Loop: Header=BB13_4 Depth=1
	s_mov_b32 s0, 0
                                        ; implicit-def: $vgpr21_vgpr22
	s_and_saveexec_b32 s1, s2
	s_delay_alu instid0(SALU_CYCLE_1)
	s_xor_b32 s62, exec_lo, s1
	s_cbranch_execz .LBB13_36
; %bb.35:                               ;   in Loop: Header=BB13_4 Depth=1
	v_mad_u64_u32 v[21:22], null, s22, v11, v[15:16]
	v_mul_lo_u32 v27, s22, v12
	v_mul_lo_u32 v28, s23, v11
	s_delay_alu instid0(VALU_DEP_1) | instskip(NEXT) | instid1(VALU_DEP_4)
	v_add3_u32 v22, v28, v22, v27
	v_add_co_u32 v27, vcc_lo, v21, 2
	s_delay_alu instid0(VALU_DEP_2) | instskip(NEXT) | instid1(VALU_DEP_2)
	v_add_co_ci_u32_e32 v28, vcc_lo, 0, v22, vcc_lo
	v_mul_lo_u32 v29, s21, v27
	v_mad_u64_u32 v[21:22], null, s20, v27, v[19:20]
	s_delay_alu instid0(VALU_DEP_3) | instskip(SKIP_2) | instid1(VALU_DEP_2)
	v_mul_lo_u32 v27, s20, v28
	v_add_co_u32 v28, vcc_lo, s10, v5
	v_add_co_ci_u32_e32 v30, vcc_lo, s11, v6, vcc_lo
	v_add_co_u32 v21, vcc_lo, v28, v21
	s_delay_alu instid0(VALU_DEP_4) | instskip(NEXT) | instid1(VALU_DEP_1)
	v_add3_u32 v22, v29, v22, v27
	v_add_co_ci_u32_e32 v22, vcc_lo, v30, v22, vcc_lo
	s_delay_alu instid0(VALU_DEP_3) | instskip(NEXT) | instid1(VALU_DEP_2)
	v_add_co_u32 v21, vcc_lo, v21, -2
	v_add_co_ci_u32_e32 v22, vcc_lo, -1, v22, vcc_lo
	v_add_co_u32 v19, vcc_lo, s53, v19
	v_add_co_ci_u32_e32 v20, vcc_lo, s54, v20, vcc_lo
	s_delay_alu instid0(VALU_DEP_3) | instskip(SKIP_1) | instid1(VALU_DEP_4)
	v_cmp_lt_i64_e32 vcc_lo, -1, v[21:22]
	v_cmp_gt_i64_e64 s0, s[14:15], v[21:22]
	v_sub_co_u32 v21, s1, v19, v25
	s_delay_alu instid0(VALU_DEP_1) | instskip(NEXT) | instid1(VALU_DEP_3)
	v_sub_co_ci_u32_e64 v22, s1, v20, v26, s1
	s_and_b32 s0, vcc_lo, s0
	s_delay_alu instid0(SALU_CYCLE_1)
	s_and_b32 s0, s0, exec_lo
.LBB13_36:                              ;   in Loop: Header=BB13_4 Depth=1
	s_or_b32 exec_lo, exec_lo, s62
	s_delay_alu instid0(SALU_CYCLE_1)
	s_and_b32 s1, s0, exec_lo
                                        ; implicit-def: $vgpr19_vgpr20
	s_and_not1_saveexec_b32 s4, s4
	s_cbranch_execnz .LBB13_52
.LBB13_37:                              ;   in Loop: Header=BB13_4 Depth=1
	s_or_b32 exec_lo, exec_lo, s4
	s_and_saveexec_b32 s0, s1
	s_cbranch_execz .LBB13_39
.LBB13_38:                              ;   in Loop: Header=BB13_4 Depth=1
	v_mul_lo_u32 v27, s47, v9
	v_mul_lo_u32 v28, s52, v10
	v_mad_u64_u32 v[19:20], null, s52, v9, 0
	v_mul_lo_u32 v29, v14, s14
	v_mul_lo_u32 v30, v13, s15
	v_mad_u64_u32 v[25:26], null, v13, s14, 0
	s_delay_alu instid0(VALU_DEP_4) | instskip(NEXT) | instid1(VALU_DEP_2)
	v_add3_u32 v20, v20, v28, v27
	v_add3_u32 v26, v26, v30, v29
	s_delay_alu instid0(VALU_DEP_2) | instskip(NEXT) | instid1(VALU_DEP_2)
	v_lshlrev_b64 v[19:20], 2, v[19:20]
	v_lshlrev_b64 v[25:26], 2, v[25:26]
	s_delay_alu instid0(VALU_DEP_2) | instskip(NEXT) | instid1(VALU_DEP_3)
	v_add_co_u32 v27, vcc_lo, s18, v19
	v_add_co_ci_u32_e32 v28, vcc_lo, s19, v20, vcc_lo
	v_lshlrev_b64 v[19:20], 2, v[21:22]
	s_delay_alu instid0(VALU_DEP_3) | instskip(NEXT) | instid1(VALU_DEP_3)
	v_add_co_u32 v21, vcc_lo, v27, v25
	v_add_co_ci_u32_e32 v22, vcc_lo, v28, v26, vcc_lo
	s_delay_alu instid0(VALU_DEP_2) | instskip(NEXT) | instid1(VALU_DEP_2)
	v_add_co_u32 v19, vcc_lo, v21, v19
	v_add_co_ci_u32_e32 v20, vcc_lo, v22, v20, vcc_lo
	global_load_b32 v19, v[19:20], off
	s_waitcnt vmcnt(0)
	v_add_f32_e32 v24, v24, v19
.LBB13_39:                              ;   in Loop: Header=BB13_4 Depth=1
	s_or_b32 exec_lo, exec_lo, s0
.LBB13_40:                              ;   in Loop: Header=BB13_4 Depth=1
	s_delay_alu instid0(SALU_CYCLE_1) | instskip(SKIP_1) | instid1(SALU_CYCLE_1)
	s_or_b32 exec_lo, exec_lo, s3
                                        ; implicit-def: $vgpr19_vgpr20
	s_and_saveexec_b32 s0, s5
	s_xor_b32 s0, exec_lo, s0
	s_cbranch_execz .LBB13_43
; %bb.41:                               ;   in Loop: Header=BB13_4 Depth=1
	v_add_co_u32 v17, vcc_lo, v15, s12
	v_add_co_ci_u32_e32 v18, vcc_lo, s13, v16, vcc_lo
	s_delay_alu instid0(VALU_DEP_2) | instskip(SKIP_1) | instid1(VALU_DEP_3)
	v_mul_lo_u32 v21, v17, s45
	v_mad_u64_u32 v[19:20], null, v17, s44, 0
	v_mul_lo_u32 v18, v18, s44
	s_delay_alu instid0(VALU_DEP_1)
	v_add3_u32 v20, v20, v21, v18
                                        ; implicit-def: $vgpr17_vgpr18
	s_and_not1_saveexec_b32 s1, s0
	s_cbranch_execnz .LBB13_44
.LBB13_42:                              ;   in Loop: Header=BB13_4 Depth=1
	s_or_b32 exec_lo, exec_lo, s1
	s_and_saveexec_b32 s1, s2
	s_cbranch_execz .LBB13_3
	s_branch .LBB13_47
.LBB13_43:                              ;   in Loop: Header=BB13_4 Depth=1
	s_and_not1_saveexec_b32 s1, s0
	s_cbranch_execz .LBB13_42
.LBB13_44:                              ;   in Loop: Header=BB13_4 Depth=1
	v_add_co_u32 v21, vcc_lo, v15, s12
	v_add_co_ci_u32_e32 v19, vcc_lo, s13, v16, vcc_lo
	s_delay_alu instid0(VALU_DEP_2) | instskip(NEXT) | instid1(VALU_DEP_2)
	v_mul_lo_u32 v25, v21, s45
	v_mul_lo_u32 v22, v19, s44
	v_mad_u64_u32 v[19:20], null, v21, s44, 0
	v_add_co_u32 v21, vcc_lo, s10, v5
	s_delay_alu instid0(VALU_DEP_2) | instskip(SKIP_1) | instid1(VALU_DEP_4)
	v_add3_u32 v20, v20, v25, v22
	v_add_co_ci_u32_e32 v22, vcc_lo, s11, v6, vcc_lo
	v_sub_co_u32 v17, vcc_lo, v19, v17
	s_delay_alu instid0(VALU_DEP_3) | instskip(NEXT) | instid1(VALU_DEP_2)
	v_sub_co_ci_u32_e32 v18, vcc_lo, v20, v18, vcc_lo
	v_add_co_u32 v17, vcc_lo, v21, v17
	s_delay_alu instid0(VALU_DEP_2) | instskip(NEXT) | instid1(VALU_DEP_1)
	v_add_co_ci_u32_e32 v18, vcc_lo, v22, v18, vcc_lo
	v_cmp_lt_i64_e32 vcc_lo, -1, v[17:18]
	v_cmp_gt_i64_e64 s0, s[14:15], v[17:18]
	s_delay_alu instid0(VALU_DEP_1) | instskip(NEXT) | instid1(SALU_CYCLE_1)
	s_and_b32 s3, vcc_lo, s0
	s_and_saveexec_b32 s0, s3
	s_cbranch_execz .LBB13_46
; %bb.45:                               ;   in Loop: Header=BB13_4 Depth=1
	v_mul_lo_u32 v27, s47, v9
	v_mul_lo_u32 v28, s52, v10
	v_mad_u64_u32 v[21:22], null, s52, v9, 0
	v_mul_lo_u32 v29, v14, s14
	v_mul_lo_u32 v30, v13, s15
	v_mad_u64_u32 v[25:26], null, v13, s14, 0
	v_lshlrev_b64 v[17:18], 2, v[17:18]
	v_add3_u32 v22, v22, v28, v27
	s_delay_alu instid0(VALU_DEP_3) | instskip(NEXT) | instid1(VALU_DEP_2)
	v_add3_u32 v26, v26, v30, v29
	v_lshlrev_b64 v[21:22], 2, v[21:22]
	s_delay_alu instid0(VALU_DEP_2) | instskip(NEXT) | instid1(VALU_DEP_2)
	v_lshlrev_b64 v[25:26], 2, v[25:26]
	v_add_co_u32 v21, vcc_lo, s18, v21
	s_delay_alu instid0(VALU_DEP_3) | instskip(NEXT) | instid1(VALU_DEP_2)
	v_add_co_ci_u32_e32 v22, vcc_lo, s19, v22, vcc_lo
	v_add_co_u32 v21, vcc_lo, v21, v25
	s_delay_alu instid0(VALU_DEP_2) | instskip(NEXT) | instid1(VALU_DEP_2)
	v_add_co_ci_u32_e32 v22, vcc_lo, v22, v26, vcc_lo
	v_add_co_u32 v17, vcc_lo, v21, v17
	s_delay_alu instid0(VALU_DEP_2)
	v_add_co_ci_u32_e32 v18, vcc_lo, v22, v18, vcc_lo
	global_load_b32 v17, v[17:18], off
	s_waitcnt vmcnt(0)
	v_add_f32_e32 v24, v24, v17
.LBB13_46:                              ;   in Loop: Header=BB13_4 Depth=1
	s_or_b32 exec_lo, exec_lo, s0
	s_delay_alu instid0(SALU_CYCLE_1)
	s_or_b32 exec_lo, exec_lo, s1
	s_and_saveexec_b32 s1, s2
	s_cbranch_execz .LBB13_3
.LBB13_47:                              ;   in Loop: Header=BB13_4 Depth=1
	v_mad_u64_u32 v[17:18], null, s22, v11, v[15:16]
	v_mul_lo_u32 v12, s22, v12
	v_mul_lo_u32 v11, s23, v11
	s_delay_alu instid0(VALU_DEP_3) | instskip(NEXT) | instid1(VALU_DEP_2)
	v_add_co_u32 v15, vcc_lo, v17, 2
	v_add3_u32 v11, v11, v18, v12
	s_delay_alu instid0(VALU_DEP_2) | instskip(NEXT) | instid1(VALU_DEP_2)
	v_mul_lo_u32 v17, s21, v15
	v_add_co_ci_u32_e32 v16, vcc_lo, 0, v11, vcc_lo
	v_mad_u64_u32 v[11:12], null, s20, v15, v[19:20]
	s_delay_alu instid0(VALU_DEP_2) | instskip(SKIP_2) | instid1(VALU_DEP_2)
	v_mul_lo_u32 v15, s20, v16
	v_add_co_u32 v16, vcc_lo, s10, v5
	v_add_co_ci_u32_e32 v18, vcc_lo, s11, v6, vcc_lo
	v_add_co_u32 v11, vcc_lo, v16, v11
	s_delay_alu instid0(VALU_DEP_4) | instskip(NEXT) | instid1(VALU_DEP_1)
	v_add3_u32 v12, v17, v12, v15
	v_add_co_ci_u32_e32 v12, vcc_lo, v18, v12, vcc_lo
	s_delay_alu instid0(VALU_DEP_3) | instskip(NEXT) | instid1(VALU_DEP_2)
	v_add_co_u32 v11, vcc_lo, v11, -2
	v_add_co_ci_u32_e32 v12, vcc_lo, -1, v12, vcc_lo
	s_delay_alu instid0(VALU_DEP_1) | instskip(SKIP_1) | instid1(VALU_DEP_1)
	v_cmp_lt_i64_e32 vcc_lo, -1, v[11:12]
	v_cmp_gt_i64_e64 s0, s[14:15], v[11:12]
	s_and_b32 s2, vcc_lo, s0
	s_delay_alu instid0(SALU_CYCLE_1)
	s_and_saveexec_b32 s0, s2
	s_cbranch_execz .LBB13_2
; %bb.48:                               ;   in Loop: Header=BB13_4 Depth=1
	v_mul_lo_u32 v21, s47, v9
	v_mul_lo_u32 v22, s52, v10
	v_mad_u64_u32 v[15:16], null, s52, v9, 0
	v_mul_lo_u32 v25, v14, s14
	v_mul_lo_u32 v26, v13, s15
	v_mad_u64_u32 v[17:18], null, v13, s14, 0
	v_lshlrev_b64 v[11:12], 2, v[11:12]
	v_add3_u32 v16, v16, v22, v21
	s_delay_alu instid0(VALU_DEP_3) | instskip(NEXT) | instid1(VALU_DEP_2)
	v_add3_u32 v18, v18, v26, v25
	v_lshlrev_b64 v[15:16], 2, v[15:16]
	s_delay_alu instid0(VALU_DEP_2) | instskip(NEXT) | instid1(VALU_DEP_2)
	v_lshlrev_b64 v[17:18], 2, v[17:18]
	v_add_co_u32 v15, vcc_lo, s18, v15
	s_delay_alu instid0(VALU_DEP_3) | instskip(NEXT) | instid1(VALU_DEP_2)
	v_add_co_ci_u32_e32 v16, vcc_lo, s19, v16, vcc_lo
	v_add_co_u32 v15, vcc_lo, v15, v17
	s_delay_alu instid0(VALU_DEP_2) | instskip(NEXT) | instid1(VALU_DEP_2)
	v_add_co_ci_u32_e32 v16, vcc_lo, v16, v18, vcc_lo
	v_add_co_u32 v11, vcc_lo, v15, v11
	s_delay_alu instid0(VALU_DEP_2)
	v_add_co_ci_u32_e32 v12, vcc_lo, v16, v12, vcc_lo
	global_load_b32 v11, v[11:12], off
	s_waitcnt vmcnt(0)
	v_add_f32_e32 v24, v24, v11
	s_branch .LBB13_2
.LBB13_49:                              ;   in Loop: Header=BB13_4 Depth=1
	s_and_not1_saveexec_b32 s4, s4
	s_cbranch_execz .LBB13_27
.LBB13_50:                              ;   in Loop: Header=BB13_4 Depth=1
	v_sub_co_u32 v19, vcc_lo, v19, v17
	v_sub_co_ci_u32_e32 v20, vcc_lo, v20, v18, vcc_lo
	v_add_co_u32 v21, vcc_lo, s10, v5
	v_add_co_ci_u32_e32 v22, vcc_lo, s11, v6, vcc_lo
	s_and_not1_b32 s1, s1, exec_lo
	s_delay_alu instid0(VALU_DEP_2) | instskip(NEXT) | instid1(VALU_DEP_2)
	v_add_co_u32 v21, vcc_lo, v21, v19
	v_add_co_ci_u32_e32 v22, vcc_lo, v22, v20, vcc_lo
	s_delay_alu instid0(VALU_DEP_1) | instskip(SKIP_1) | instid1(VALU_DEP_1)
	v_cmp_lt_i64_e32 vcc_lo, -1, v[21:22]
	v_cmp_gt_i64_e64 s0, s[14:15], v[21:22]
	s_and_b32 s0, vcc_lo, s0
	s_delay_alu instid0(SALU_CYCLE_1) | instskip(NEXT) | instid1(SALU_CYCLE_1)
	s_and_b32 s0, s0, exec_lo
	s_or_b32 s1, s1, s0
	s_or_b32 exec_lo, exec_lo, s4
	s_and_saveexec_b32 s0, s1
	s_cbranch_execnz .LBB13_28
	s_branch .LBB13_29
.LBB13_51:                              ;   in Loop: Header=BB13_4 Depth=1
	s_and_not1_saveexec_b32 s4, s4
	s_cbranch_execz .LBB13_37
.LBB13_52:                              ;   in Loop: Header=BB13_4 Depth=1
	v_sub_co_u32 v19, vcc_lo, v19, v17
	v_sub_co_ci_u32_e32 v20, vcc_lo, v20, v18, vcc_lo
	v_add_co_u32 v21, vcc_lo, s10, v5
	v_add_co_ci_u32_e32 v22, vcc_lo, s11, v6, vcc_lo
	s_and_not1_b32 s1, s1, exec_lo
	s_delay_alu instid0(VALU_DEP_2) | instskip(NEXT) | instid1(VALU_DEP_2)
	v_add_co_u32 v21, vcc_lo, v21, v19
	v_add_co_ci_u32_e32 v22, vcc_lo, v22, v20, vcc_lo
	s_delay_alu instid0(VALU_DEP_1) | instskip(SKIP_1) | instid1(VALU_DEP_1)
	v_cmp_lt_i64_e32 vcc_lo, -1, v[21:22]
	v_cmp_gt_i64_e64 s0, s[14:15], v[21:22]
	s_and_b32 s0, vcc_lo, s0
	s_delay_alu instid0(SALU_CYCLE_1) | instskip(NEXT) | instid1(SALU_CYCLE_1)
	s_and_b32 s0, s0, exec_lo
	s_or_b32 s1, s1, s0
	s_or_b32 exec_lo, exec_lo, s4
	s_and_saveexec_b32 s0, s1
	s_cbranch_execnz .LBB13_38
	s_branch .LBB13_39
.LBB13_53:
	s_nop 0
	s_sendmsg sendmsg(MSG_DEALLOC_VGPRS)
	s_endpgm
	.section	.rodata,"a",@progbits
	.p2align	6, 0x0
	.amdhsa_kernel _ZN2at6native12_GLOBAL__N_140reflection_pad2d_backward_det_out_kernelIfEEvPT_PKS3_lliiiiiii
		.amdhsa_group_segment_fixed_size 0
		.amdhsa_private_segment_fixed_size 0
		.amdhsa_kernarg_size 320
		.amdhsa_user_sgpr_count 15
		.amdhsa_user_sgpr_dispatch_ptr 0
		.amdhsa_user_sgpr_queue_ptr 0
		.amdhsa_user_sgpr_kernarg_segment_ptr 1
		.amdhsa_user_sgpr_dispatch_id 0
		.amdhsa_user_sgpr_private_segment_size 0
		.amdhsa_wavefront_size32 1
		.amdhsa_uses_dynamic_stack 0
		.amdhsa_enable_private_segment 0
		.amdhsa_system_sgpr_workgroup_id_x 1
		.amdhsa_system_sgpr_workgroup_id_y 0
		.amdhsa_system_sgpr_workgroup_id_z 0
		.amdhsa_system_sgpr_workgroup_info 0
		.amdhsa_system_vgpr_workitem_id 0
		.amdhsa_next_free_vgpr 35
		.amdhsa_next_free_sgpr 63
		.amdhsa_reserve_vcc 1
		.amdhsa_float_round_mode_32 0
		.amdhsa_float_round_mode_16_64 0
		.amdhsa_float_denorm_mode_32 3
		.amdhsa_float_denorm_mode_16_64 3
		.amdhsa_dx10_clamp 1
		.amdhsa_ieee_mode 1
		.amdhsa_fp16_overflow 0
		.amdhsa_workgroup_processor_mode 1
		.amdhsa_memory_ordered 1
		.amdhsa_forward_progress 0
		.amdhsa_shared_vgpr_count 0
		.amdhsa_exception_fp_ieee_invalid_op 0
		.amdhsa_exception_fp_denorm_src 0
		.amdhsa_exception_fp_ieee_div_zero 0
		.amdhsa_exception_fp_ieee_overflow 0
		.amdhsa_exception_fp_ieee_underflow 0
		.amdhsa_exception_fp_ieee_inexact 0
		.amdhsa_exception_int_div_zero 0
	.end_amdhsa_kernel
	.section	.text._ZN2at6native12_GLOBAL__N_140reflection_pad2d_backward_det_out_kernelIfEEvPT_PKS3_lliiiiiii,"axG",@progbits,_ZN2at6native12_GLOBAL__N_140reflection_pad2d_backward_det_out_kernelIfEEvPT_PKS3_lliiiiiii,comdat
.Lfunc_end13:
	.size	_ZN2at6native12_GLOBAL__N_140reflection_pad2d_backward_det_out_kernelIfEEvPT_PKS3_lliiiiiii, .Lfunc_end13-_ZN2at6native12_GLOBAL__N_140reflection_pad2d_backward_det_out_kernelIfEEvPT_PKS3_lliiiiiii
                                        ; -- End function
	.section	.AMDGPU.csdata,"",@progbits
; Kernel info:
; codeLenInByte = 7456
; NumSgprs: 65
; NumVgprs: 35
; ScratchSize: 0
; MemoryBound: 0
; FloatMode: 240
; IeeeMode: 1
; LDSByteSize: 0 bytes/workgroup (compile time only)
; SGPRBlocks: 8
; VGPRBlocks: 4
; NumSGPRsForWavesPerEU: 65
; NumVGPRsForWavesPerEU: 35
; Occupancy: 16
; WaveLimiterHint : 0
; COMPUTE_PGM_RSRC2:SCRATCH_EN: 0
; COMPUTE_PGM_RSRC2:USER_SGPR: 15
; COMPUTE_PGM_RSRC2:TRAP_HANDLER: 0
; COMPUTE_PGM_RSRC2:TGID_X_EN: 1
; COMPUTE_PGM_RSRC2:TGID_Y_EN: 0
; COMPUTE_PGM_RSRC2:TGID_Z_EN: 0
; COMPUTE_PGM_RSRC2:TIDIG_COMP_CNT: 0
	.section	.text._ZN2at6native12_GLOBAL__N_136reflection_pad2d_backward_out_kernelIfEEvPT_PKS3_lliiiiiii,"axG",@progbits,_ZN2at6native12_GLOBAL__N_136reflection_pad2d_backward_out_kernelIfEEvPT_PKS3_lliiiiiii,comdat
	.globl	_ZN2at6native12_GLOBAL__N_136reflection_pad2d_backward_out_kernelIfEEvPT_PKS3_lliiiiiii ; -- Begin function _ZN2at6native12_GLOBAL__N_136reflection_pad2d_backward_out_kernelIfEEvPT_PKS3_lliiiiiii
	.p2align	8
	.type	_ZN2at6native12_GLOBAL__N_136reflection_pad2d_backward_out_kernelIfEEvPT_PKS3_lliiiiiii,@function
_ZN2at6native12_GLOBAL__N_136reflection_pad2d_backward_out_kernelIfEEvPT_PKS3_lliiiiiii: ; @_ZN2at6native12_GLOBAL__N_136reflection_pad2d_backward_out_kernelIfEEvPT_PKS3_lliiiiiii
; %bb.0:
	s_clause 0x2
	s_load_b32 s2, s[0:1], 0x4c
	s_load_b128 s[16:19], s[0:1], 0x20
	s_load_b256 s[4:11], s[0:1], 0x0
	s_waitcnt lgkmcnt(0)
	s_and_b32 s2, s2, 0xffff
	s_ashr_i32 s3, s18, 31
	s_add_u32 s27, s18, s8
	v_mad_u64_u32 v[1:2], null, s13, s2, v[0:1]
	s_addc_u32 s28, s3, s9
	s_ashr_i32 s2, s19, 31
	s_add_u32 s26, s27, s19
	s_addc_u32 s13, s28, s2
	s_ashr_i32 s21, s16, 31
	s_add_u32 s31, s16, s10
	s_addc_u32 s33, s21, s11
	s_ashr_i32 s2, s17, 31
	s_add_u32 s30, s31, s17
	s_addc_u32 s29, s33, s2
	s_mul_hi_u32 s2, s26, s30
	s_mul_i32 s12, s26, s29
	v_mov_b32_e32 v2, 0
	s_mul_i32 s17, s13, s30
	s_add_i32 s2, s2, s12
	s_mul_i32 s22, s26, s30
	s_add_i32 s23, s2, s17
	s_mov_b32 s12, exec_lo
	v_cmpx_gt_i64_e64 s[22:23], v[1:2]
	s_cbranch_execz .LBB14_6
; %bb.1:
	s_mov_b32 s2, s18
	s_mov_b32 s20, s16
	s_load_b128 s[16:19], s[0:1], 0x30
	s_mov_b32 s12, 0
	s_delay_alu instid0(SALU_CYCLE_1)
	s_cmp_lg_u64 s[12:13], 0
	s_cbranch_scc0 .LBB14_7
; %bb.2:
	s_ashr_i32 s22, s13, 31
	s_delay_alu instid0(SALU_CYCLE_1) | instskip(SKIP_2) | instid1(SALU_CYCLE_1)
	s_add_u32 s0, s26, s22
	s_mov_b32 s23, s22
	s_addc_u32 s1, s13, s22
	s_xor_b64 s[24:25], s[0:1], s[22:23]
	s_delay_alu instid0(SALU_CYCLE_1) | instskip(SKIP_3) | instid1(VALU_DEP_1)
	v_cvt_f32_u32_e32 v0, s24
	v_cvt_f32_u32_e32 v2, s25
	s_sub_u32 s0, 0, s24
	s_subb_u32 s1, 0, s25
	v_fmamk_f32 v0, v2, 0x4f800000, v0
	s_delay_alu instid0(VALU_DEP_1) | instskip(SKIP_2) | instid1(VALU_DEP_1)
	v_rcp_f32_e32 v0, v0
	s_waitcnt_depctr 0xfff
	v_mul_f32_e32 v0, 0x5f7ffffc, v0
	v_mul_f32_e32 v2, 0x2f800000, v0
	s_delay_alu instid0(VALU_DEP_1) | instskip(NEXT) | instid1(VALU_DEP_1)
	v_trunc_f32_e32 v2, v2
	v_fmamk_f32 v0, v2, 0xcf800000, v0
	v_cvt_u32_f32_e32 v2, v2
	s_delay_alu instid0(VALU_DEP_2) | instskip(NEXT) | instid1(VALU_DEP_2)
	v_cvt_u32_f32_e32 v0, v0
	v_mul_lo_u32 v3, s0, v2
	s_delay_alu instid0(VALU_DEP_2) | instskip(SKIP_1) | instid1(VALU_DEP_2)
	v_mul_hi_u32 v4, s0, v0
	v_mul_lo_u32 v5, s1, v0
	v_add_nc_u32_e32 v3, v4, v3
	v_mul_lo_u32 v4, s0, v0
	s_delay_alu instid0(VALU_DEP_2) | instskip(NEXT) | instid1(VALU_DEP_2)
	v_add_nc_u32_e32 v3, v3, v5
	v_mul_hi_u32 v5, v0, v4
	s_delay_alu instid0(VALU_DEP_2)
	v_mul_lo_u32 v6, v0, v3
	v_mul_hi_u32 v7, v0, v3
	v_mul_hi_u32 v8, v2, v4
	v_mul_lo_u32 v4, v2, v4
	v_mul_hi_u32 v9, v2, v3
	v_mul_lo_u32 v3, v2, v3
	v_add_co_u32 v5, vcc_lo, v5, v6
	v_add_co_ci_u32_e32 v6, vcc_lo, 0, v7, vcc_lo
	s_delay_alu instid0(VALU_DEP_2) | instskip(NEXT) | instid1(VALU_DEP_2)
	v_add_co_u32 v4, vcc_lo, v5, v4
	v_add_co_ci_u32_e32 v4, vcc_lo, v6, v8, vcc_lo
	v_add_co_ci_u32_e32 v5, vcc_lo, 0, v9, vcc_lo
	v_ashrrev_i32_e64 v8, 31, 0
	s_delay_alu instid0(VALU_DEP_3) | instskip(NEXT) | instid1(VALU_DEP_3)
	v_add_co_u32 v3, vcc_lo, v4, v3
	v_add_co_ci_u32_e32 v4, vcc_lo, 0, v5, vcc_lo
	s_delay_alu instid0(VALU_DEP_2) | instskip(NEXT) | instid1(VALU_DEP_2)
	v_add_co_u32 v0, vcc_lo, v0, v3
	v_add_co_ci_u32_e32 v2, vcc_lo, v2, v4, vcc_lo
	s_delay_alu instid0(VALU_DEP_2) | instskip(SKIP_1) | instid1(VALU_DEP_3)
	v_mul_hi_u32 v3, s0, v0
	v_mul_lo_u32 v5, s1, v0
	v_mul_lo_u32 v4, s0, v2
	s_delay_alu instid0(VALU_DEP_1) | instskip(SKIP_1) | instid1(VALU_DEP_2)
	v_add_nc_u32_e32 v3, v3, v4
	v_mul_lo_u32 v4, s0, v0
	v_add_nc_u32_e32 v3, v3, v5
	s_delay_alu instid0(VALU_DEP_2) | instskip(NEXT) | instid1(VALU_DEP_2)
	v_mul_hi_u32 v5, v0, v4
	v_mul_lo_u32 v6, v0, v3
	v_mul_hi_u32 v7, v0, v3
	v_mul_hi_u32 v9, v2, v4
	v_mul_lo_u32 v4, v2, v4
	v_mul_hi_u32 v10, v2, v3
	v_mul_lo_u32 v3, v2, v3
	v_add_co_u32 v5, vcc_lo, v5, v6
	v_add_co_ci_u32_e32 v6, vcc_lo, 0, v7, vcc_lo
	s_delay_alu instid0(VALU_DEP_2) | instskip(NEXT) | instid1(VALU_DEP_2)
	v_add_co_u32 v4, vcc_lo, v5, v4
	v_add_co_ci_u32_e32 v4, vcc_lo, v6, v9, vcc_lo
	v_add_co_ci_u32_e32 v5, vcc_lo, 0, v10, vcc_lo
	v_add_co_u32 v6, vcc_lo, v1, v8
	v_add_co_ci_u32_e32 v7, vcc_lo, 0, v8, vcc_lo
	s_delay_alu instid0(VALU_DEP_4) | instskip(NEXT) | instid1(VALU_DEP_4)
	v_add_co_u32 v3, vcc_lo, v4, v3
	v_add_co_ci_u32_e32 v4, vcc_lo, 0, v5, vcc_lo
	s_delay_alu instid0(VALU_DEP_4) | instskip(NEXT) | instid1(VALU_DEP_3)
	v_xor_b32_e32 v9, v6, v8
	v_add_co_u32 v0, vcc_lo, v0, v3
	s_delay_alu instid0(VALU_DEP_3) | instskip(SKIP_1) | instid1(VALU_DEP_3)
	v_add_co_ci_u32_e32 v10, vcc_lo, v2, v4, vcc_lo
	v_xor_b32_e32 v11, v7, v8
	v_mul_hi_u32 v12, v9, v0
	s_delay_alu instid0(VALU_DEP_3) | instskip(NEXT) | instid1(VALU_DEP_3)
	v_mad_u64_u32 v[2:3], null, v9, v10, 0
	v_mad_u64_u32 v[4:5], null, v11, v0, 0
	;; [unrolled: 1-line block ×3, first 2 shown]
	s_delay_alu instid0(VALU_DEP_3) | instskip(NEXT) | instid1(VALU_DEP_4)
	v_add_co_u32 v0, vcc_lo, v12, v2
	v_add_co_ci_u32_e32 v2, vcc_lo, 0, v3, vcc_lo
	s_delay_alu instid0(VALU_DEP_2) | instskip(NEXT) | instid1(VALU_DEP_2)
	v_add_co_u32 v0, vcc_lo, v0, v4
	v_add_co_ci_u32_e32 v0, vcc_lo, v2, v5, vcc_lo
	v_add_co_ci_u32_e32 v2, vcc_lo, 0, v7, vcc_lo
	s_delay_alu instid0(VALU_DEP_2) | instskip(NEXT) | instid1(VALU_DEP_2)
	v_add_co_u32 v0, vcc_lo, v0, v6
	v_add_co_ci_u32_e32 v4, vcc_lo, 0, v2, vcc_lo
	s_delay_alu instid0(VALU_DEP_2) | instskip(SKIP_1) | instid1(VALU_DEP_3)
	v_mul_lo_u32 v5, s25, v0
	v_mad_u64_u32 v[2:3], null, s24, v0, 0
	v_mul_lo_u32 v6, s24, v4
	s_delay_alu instid0(VALU_DEP_2) | instskip(NEXT) | instid1(VALU_DEP_2)
	v_sub_co_u32 v2, vcc_lo, v9, v2
	v_add3_u32 v3, v3, v6, v5
	s_delay_alu instid0(VALU_DEP_1) | instskip(NEXT) | instid1(VALU_DEP_1)
	v_sub_nc_u32_e32 v5, v11, v3
	v_subrev_co_ci_u32_e64 v5, s0, s25, v5, vcc_lo
	v_add_co_u32 v6, s0, v0, 2
	s_delay_alu instid0(VALU_DEP_1) | instskip(SKIP_3) | instid1(VALU_DEP_3)
	v_add_co_ci_u32_e64 v7, s0, 0, v4, s0
	v_sub_co_u32 v9, s0, v2, s24
	v_sub_co_ci_u32_e32 v3, vcc_lo, v11, v3, vcc_lo
	v_subrev_co_ci_u32_e64 v5, s0, 0, v5, s0
	v_cmp_le_u32_e32 vcc_lo, s24, v9
	s_delay_alu instid0(VALU_DEP_3) | instskip(SKIP_1) | instid1(VALU_DEP_4)
	v_cmp_eq_u32_e64 s0, s25, v3
	v_cndmask_b32_e64 v9, 0, -1, vcc_lo
	v_cmp_le_u32_e32 vcc_lo, s25, v5
	v_cndmask_b32_e64 v10, 0, -1, vcc_lo
	v_cmp_le_u32_e32 vcc_lo, s24, v2
	;; [unrolled: 2-line block ×3, first 2 shown]
	v_cndmask_b32_e64 v11, 0, -1, vcc_lo
	v_cmp_eq_u32_e32 vcc_lo, s25, v5
	s_delay_alu instid0(VALU_DEP_2) | instskip(SKIP_3) | instid1(VALU_DEP_3)
	v_cndmask_b32_e64 v2, v11, v2, s0
	v_cndmask_b32_e32 v5, v10, v9, vcc_lo
	v_add_co_u32 v9, vcc_lo, v0, 1
	v_add_co_ci_u32_e32 v10, vcc_lo, 0, v4, vcc_lo
	v_cmp_ne_u32_e32 vcc_lo, 0, v5
	s_delay_alu instid0(VALU_DEP_3) | instskip(NEXT) | instid1(VALU_DEP_3)
	v_cndmask_b32_e32 v5, v9, v6, vcc_lo
	v_cndmask_b32_e32 v3, v10, v7, vcc_lo
	v_cmp_ne_u32_e32 vcc_lo, 0, v2
	v_xor_b32_e32 v6, s22, v8
	s_delay_alu instid0(VALU_DEP_4) | instskip(NEXT) | instid1(VALU_DEP_4)
	v_cndmask_b32_e32 v0, v0, v5, vcc_lo
	v_cndmask_b32_e32 v2, v4, v3, vcc_lo
	s_delay_alu instid0(VALU_DEP_2) | instskip(NEXT) | instid1(VALU_DEP_2)
	v_xor_b32_e32 v0, v0, v6
	v_xor_b32_e32 v3, v2, v6
	s_delay_alu instid0(VALU_DEP_2) | instskip(NEXT) | instid1(VALU_DEP_2)
	v_sub_co_u32 v2, vcc_lo, v0, v6
	v_sub_co_ci_u32_e32 v3, vcc_lo, v3, v6, vcc_lo
	s_and_not1_b32 vcc_lo, exec_lo, s12
	s_cbranch_vccnz .LBB14_4
.LBB14_3:
	v_cvt_f32_u32_e32 v0, s26
	s_sub_i32 s0, 0, s26
	s_delay_alu instid0(VALU_DEP_1) | instskip(SKIP_2) | instid1(VALU_DEP_1)
	v_rcp_iflag_f32_e32 v0, v0
	s_waitcnt_depctr 0xfff
	v_mul_f32_e32 v0, 0x4f7ffffe, v0
	v_cvt_u32_f32_e32 v0, v0
	s_delay_alu instid0(VALU_DEP_1) | instskip(NEXT) | instid1(VALU_DEP_1)
	v_mul_lo_u32 v2, s0, v0
	v_mul_hi_u32 v2, v0, v2
	s_delay_alu instid0(VALU_DEP_1) | instskip(NEXT) | instid1(VALU_DEP_1)
	v_add_nc_u32_e32 v0, v0, v2
	v_mul_hi_u32 v0, v1, v0
	s_delay_alu instid0(VALU_DEP_1) | instskip(SKIP_1) | instid1(VALU_DEP_2)
	v_mul_lo_u32 v2, v0, s26
	v_add_nc_u32_e32 v3, 1, v0
	v_sub_nc_u32_e32 v2, v1, v2
	s_delay_alu instid0(VALU_DEP_1) | instskip(SKIP_1) | instid1(VALU_DEP_2)
	v_subrev_nc_u32_e32 v4, s26, v2
	v_cmp_le_u32_e32 vcc_lo, s26, v2
	v_cndmask_b32_e32 v2, v2, v4, vcc_lo
	v_cndmask_b32_e32 v0, v0, v3, vcc_lo
	s_delay_alu instid0(VALU_DEP_2) | instskip(NEXT) | instid1(VALU_DEP_2)
	v_cmp_le_u32_e32 vcc_lo, s26, v2
	v_add_nc_u32_e32 v3, 1, v0
	s_delay_alu instid0(VALU_DEP_1)
	v_dual_cndmask_b32 v2, v0, v3 :: v_dual_mov_b32 v3, 0
.LBB14_4:
	s_delay_alu instid0(VALU_DEP_1) | instskip(NEXT) | instid1(VALU_DEP_2)
	v_mul_lo_u32 v0, v3, s26
	v_mul_lo_u32 v6, v2, s13
	v_mad_u64_u32 v[4:5], null, v2, s26, 0
	s_sub_u32 s0, 0, s20
	s_subb_u32 s1, 0, s21
	s_sub_u32 s22, 0, s2
	s_subb_u32 s23, 0, s3
	s_waitcnt lgkmcnt(0)
	s_add_i32 s12, s15, s17
	s_add_i32 s14, s14, s16
	v_add3_u32 v5, v5, v6, v0
	v_sub_co_u32 v0, vcc_lo, v1, v4
	s_mul_i32 s12, s12, s18
	s_delay_alu instid0(VALU_DEP_2) | instskip(NEXT) | instid1(VALU_DEP_2)
	v_sub_co_ci_u32_e32 v1, vcc_lo, 0, v5, vcc_lo
	v_sub_co_u32 v4, vcc_lo, v0, s2
	s_add_i32 s12, s14, s12
	s_delay_alu instid0(VALU_DEP_2) | instskip(SKIP_2) | instid1(VALU_DEP_3)
	v_subrev_co_ci_u32_e32 v5, vcc_lo, s3, v1, vcc_lo
	v_sub_co_u32 v6, vcc_lo, v0, s27
	v_subrev_co_ci_u32_e32 v7, vcc_lo, s28, v1, vcc_lo
	v_ashrrev_i32_e32 v10, 31, v5
	s_delay_alu instid0(VALU_DEP_3) | instskip(NEXT) | instid1(VALU_DEP_3)
	v_add_co_u32 v6, vcc_lo, v6, 1
	v_add_co_ci_u32_e32 v7, vcc_lo, 0, v7, vcc_lo
	v_sub_co_u32 v8, vcc_lo, v2, s31
	v_subrev_co_ci_u32_e32 v9, vcc_lo, s33, v3, vcc_lo
	v_sub_co_u32 v11, vcc_lo, v2, s20
	v_subrev_co_ci_u32_e32 v12, vcc_lo, s21, v3, vcc_lo
	s_mul_i32 s11, s12, s11
	s_mul_hi_u32 s14, s12, s10
	v_add_co_u32 v8, vcc_lo, v8, 1
	s_mul_i32 s15, s12, s10
	v_cmp_gt_i64_e64 s10, s[22:23], 0
	s_add_i32 s14, s14, s11
	v_cmp_gt_i64_e64 s11, s[0:1], 0
	v_add_co_ci_u32_e32 v9, vcc_lo, 0, v9, vcc_lo
	v_xor_b32_e32 v14, v5, v10
	v_ashrrev_i32_e32 v5, 31, v12
	s_and_b32 s10, s10, exec_lo
	v_xor_b32_e32 v15, v4, v10
	v_ashrrev_i32_e32 v4, 31, v9
	s_cselect_b32 s16, s23, 0
	v_cmp_gt_i64_e64 s10, s[2:3], 0
	s_cselect_b32 s17, s22, 0
	s_and_b32 s11, s11, exec_lo
	v_cmp_gt_i64_e64 s11, s[20:21], 0
	v_xor_b32_e32 v11, v11, v5
	v_xor_b32_e32 v12, v12, v5
	;; [unrolled: 1-line block ×3, first 2 shown]
	s_cselect_b32 s18, s1, 0
	s_cselect_b32 s19, s0, 0
	s_and_b32 s0, s10, exec_lo
	v_xor_b32_e32 v9, v9, v4
	v_sub_co_u32 v11, vcc_lo, v11, v5
	s_cselect_b32 s1, s3, 0
	s_cselect_b32 s0, s2, 0
	s_and_b32 s10, s11, exec_lo
	s_cselect_b32 s11, s21, 0
	s_cselect_b32 s10, s20, 0
	v_sub_co_ci_u32_e32 v5, vcc_lo, v12, v5, vcc_lo
	v_sub_co_u32 v8, vcc_lo, v8, v4
	s_not_b64 s[0:1], s[0:1]
	s_not_b64 s[10:11], s[10:11]
	v_sub_co_ci_u32_e32 v4, vcc_lo, v9, v4, vcc_lo
	s_add_u32 s20, s31, s20
	s_addc_u32 s21, s33, s21
	s_add_u32 s10, s20, s10
	s_addc_u32 s11, s21, s11
	v_add_co_u32 v8, vcc_lo, v2, v8
	s_add_u32 s10, s10, s19
	s_addc_u32 s11, s11, s18
	v_add_co_ci_u32_e32 v4, vcc_lo, v3, v4, vcc_lo
	s_add_u32 s10, s10, s15
	s_addc_u32 s11, s11, s14
	v_sub_co_u32 v8, vcc_lo, s10, v8
	v_ashrrev_i32_e32 v13, 31, v7
	v_sub_co_ci_u32_e32 v4, vcc_lo, s11, v4, vcc_lo
	s_delay_alu instid0(VALU_DEP_3) | instskip(NEXT) | instid1(VALU_DEP_3)
	v_add_co_u32 v8, vcc_lo, v8, v11
	v_xor_b32_e32 v6, v6, v13
	s_delay_alu instid0(VALU_DEP_3) | instskip(SKIP_2) | instid1(VALU_DEP_4)
	v_add_co_ci_u32_e32 v9, vcc_lo, v4, v5, vcc_lo
	v_mad_u64_u32 v[4:5], null, s30, s12, v[2:3]
	v_xor_b32_e32 v7, v7, v13
	v_sub_co_u32 v11, vcc_lo, v6, v13
	s_add_u32 s2, s27, s2
	s_addc_u32 s3, s28, s3
	s_delay_alu instid0(VALU_DEP_2) | instskip(NEXT) | instid1(VALU_DEP_4)
	v_sub_co_ci_u32_e32 v12, vcc_lo, v7, v13, vcc_lo
	v_mad_u64_u32 v[6:7], null, s29, s12, v[5:6]
	v_add_co_u32 v5, vcc_lo, v0, v11
	s_add_u32 s0, s2, s0
	v_mul_lo_u32 v16, v8, s9
	v_mad_u64_u32 v[2:3], null, v8, s8, 0
	s_addc_u32 s1, s3, s1
	v_add_co_ci_u32_e32 v8, vcc_lo, v1, v12, vcc_lo
	s_add_u32 s0, s0, s17
	s_addc_u32 s1, s1, s16
	v_sub_co_u32 v7, vcc_lo, s0, v5
	s_delay_alu instid0(VALU_DEP_2)
	v_sub_co_ci_u32_e32 v8, vcc_lo, s1, v8, vcc_lo
	v_mul_lo_u32 v11, v6, s26
	v_mul_lo_u32 v12, v4, s13
	v_mad_u64_u32 v[5:6], null, v4, s26, 0
	v_mul_lo_u32 v13, v9, s8
	v_sub_co_u32 v9, vcc_lo, v15, v10
	v_sub_co_ci_u32_e32 v10, vcc_lo, v14, v10, vcc_lo
	v_lshlrev_b64 v[7:8], 2, v[7:8]
	v_add3_u32 v6, v6, v12, v11
	v_lshlrev_b64 v[0:1], 2, v[0:1]
	s_delay_alu instid0(VALU_DEP_4)
	v_lshlrev_b64 v[9:10], 2, v[9:10]
	v_add3_u32 v3, v3, v16, v13
	s_mov_b32 s0, 0
	v_add_co_u32 v7, vcc_lo, s4, v7
	v_add_co_ci_u32_e32 v8, vcc_lo, s5, v8, vcc_lo
	v_lshlrev_b64 v[4:5], 2, v[5:6]
	s_delay_alu instid0(VALU_DEP_3) | instskip(NEXT) | instid1(VALU_DEP_3)
	v_add_co_u32 v6, vcc_lo, v7, v9
	v_add_co_ci_u32_e32 v7, vcc_lo, v8, v10, vcc_lo
	v_lshlrev_b64 v[2:3], 2, v[2:3]
	s_delay_alu instid0(VALU_DEP_4) | instskip(SKIP_1) | instid1(VALU_DEP_2)
	v_add_co_u32 v4, vcc_lo, s6, v4
	v_add_co_ci_u32_e32 v5, vcc_lo, s7, v5, vcc_lo
	v_add_co_u32 v4, vcc_lo, v4, v0
	s_delay_alu instid0(VALU_DEP_2)
	v_add_co_ci_u32_e32 v5, vcc_lo, v5, v1, vcc_lo
	v_add_co_u32 v0, vcc_lo, v6, v2
	v_add_co_ci_u32_e32 v1, vcc_lo, v7, v3, vcc_lo
	global_load_b32 v4, v[4:5], off
	global_load_b32 v3, v[0:1], off
.LBB14_5:                               ; =>This Inner Loop Header: Depth=1
	s_waitcnt vmcnt(0)
	v_add_f32_e32 v2, v3, v4
	global_atomic_cmpswap_b32 v2, v[0:1], v[2:3], off glc
	s_waitcnt vmcnt(0)
	v_cmp_eq_u32_e32 vcc_lo, v2, v3
	v_mov_b32_e32 v3, v2
	s_or_b32 s0, vcc_lo, s0
	s_delay_alu instid0(SALU_CYCLE_1)
	s_and_not1_b32 exec_lo, exec_lo, s0
	s_cbranch_execnz .LBB14_5
.LBB14_6:
	s_endpgm
.LBB14_7:
                                        ; implicit-def: $vgpr2_vgpr3
	s_branch .LBB14_3
	.section	.rodata,"a",@progbits
	.p2align	6, 0x0
	.amdhsa_kernel _ZN2at6native12_GLOBAL__N_136reflection_pad2d_backward_out_kernelIfEEvPT_PKS3_lliiiiiii
		.amdhsa_group_segment_fixed_size 0
		.amdhsa_private_segment_fixed_size 0
		.amdhsa_kernarg_size 320
		.amdhsa_user_sgpr_count 13
		.amdhsa_user_sgpr_dispatch_ptr 0
		.amdhsa_user_sgpr_queue_ptr 0
		.amdhsa_user_sgpr_kernarg_segment_ptr 1
		.amdhsa_user_sgpr_dispatch_id 0
		.amdhsa_user_sgpr_private_segment_size 0
		.amdhsa_wavefront_size32 1
		.amdhsa_uses_dynamic_stack 0
		.amdhsa_enable_private_segment 0
		.amdhsa_system_sgpr_workgroup_id_x 1
		.amdhsa_system_sgpr_workgroup_id_y 1
		.amdhsa_system_sgpr_workgroup_id_z 1
		.amdhsa_system_sgpr_workgroup_info 0
		.amdhsa_system_vgpr_workitem_id 0
		.amdhsa_next_free_vgpr 17
		.amdhsa_next_free_sgpr 34
		.amdhsa_reserve_vcc 1
		.amdhsa_float_round_mode_32 0
		.amdhsa_float_round_mode_16_64 0
		.amdhsa_float_denorm_mode_32 3
		.amdhsa_float_denorm_mode_16_64 3
		.amdhsa_dx10_clamp 1
		.amdhsa_ieee_mode 1
		.amdhsa_fp16_overflow 0
		.amdhsa_workgroup_processor_mode 1
		.amdhsa_memory_ordered 1
		.amdhsa_forward_progress 0
		.amdhsa_shared_vgpr_count 0
		.amdhsa_exception_fp_ieee_invalid_op 0
		.amdhsa_exception_fp_denorm_src 0
		.amdhsa_exception_fp_ieee_div_zero 0
		.amdhsa_exception_fp_ieee_overflow 0
		.amdhsa_exception_fp_ieee_underflow 0
		.amdhsa_exception_fp_ieee_inexact 0
		.amdhsa_exception_int_div_zero 0
	.end_amdhsa_kernel
	.section	.text._ZN2at6native12_GLOBAL__N_136reflection_pad2d_backward_out_kernelIfEEvPT_PKS3_lliiiiiii,"axG",@progbits,_ZN2at6native12_GLOBAL__N_136reflection_pad2d_backward_out_kernelIfEEvPT_PKS3_lliiiiiii,comdat
.Lfunc_end14:
	.size	_ZN2at6native12_GLOBAL__N_136reflection_pad2d_backward_out_kernelIfEEvPT_PKS3_lliiiiiii, .Lfunc_end14-_ZN2at6native12_GLOBAL__N_136reflection_pad2d_backward_out_kernelIfEEvPT_PKS3_lliiiiiii
                                        ; -- End function
	.section	.AMDGPU.csdata,"",@progbits
; Kernel info:
; codeLenInByte = 1912
; NumSgprs: 36
; NumVgprs: 17
; ScratchSize: 0
; MemoryBound: 0
; FloatMode: 240
; IeeeMode: 1
; LDSByteSize: 0 bytes/workgroup (compile time only)
; SGPRBlocks: 4
; VGPRBlocks: 2
; NumSGPRsForWavesPerEU: 36
; NumVGPRsForWavesPerEU: 17
; Occupancy: 16
; WaveLimiterHint : 0
; COMPUTE_PGM_RSRC2:SCRATCH_EN: 0
; COMPUTE_PGM_RSRC2:USER_SGPR: 13
; COMPUTE_PGM_RSRC2:TRAP_HANDLER: 0
; COMPUTE_PGM_RSRC2:TGID_X_EN: 1
; COMPUTE_PGM_RSRC2:TGID_Y_EN: 1
; COMPUTE_PGM_RSRC2:TGID_Z_EN: 1
; COMPUTE_PGM_RSRC2:TIDIG_COMP_CNT: 0
	.section	.text._ZN2at6native12_GLOBAL__N_140reflection_pad2d_backward_det_out_kernelIN3c107complexIdEEEEvPT_PKS6_lliiiiiii,"axG",@progbits,_ZN2at6native12_GLOBAL__N_140reflection_pad2d_backward_det_out_kernelIN3c107complexIdEEEEvPT_PKS6_lliiiiiii,comdat
	.globl	_ZN2at6native12_GLOBAL__N_140reflection_pad2d_backward_det_out_kernelIN3c107complexIdEEEEvPT_PKS6_lliiiiiii ; -- Begin function _ZN2at6native12_GLOBAL__N_140reflection_pad2d_backward_det_out_kernelIN3c107complexIdEEEEvPT_PKS6_lliiiiiii
	.p2align	8
	.type	_ZN2at6native12_GLOBAL__N_140reflection_pad2d_backward_det_out_kernelIN3c107complexIdEEEEvPT_PKS6_lliiiiiii,@function
_ZN2at6native12_GLOBAL__N_140reflection_pad2d_backward_det_out_kernelIN3c107complexIdEEEEvPT_PKS6_lliiiiiii: ; @_ZN2at6native12_GLOBAL__N_140reflection_pad2d_backward_det_out_kernelIN3c107complexIdEEEEvPT_PKS6_lliiiiiii
; %bb.0:
	s_clause 0x2
	s_load_b32 s6, s[0:1], 0x4c
	s_load_b64 s[2:3], s[0:1], 0x30
	s_load_b256 s[16:23], s[0:1], 0x0
	v_mov_b32_e32 v1, 0
	s_add_u32 s4, s0, 64
	s_addc_u32 s5, s1, 0
	s_waitcnt lgkmcnt(0)
	s_and_b32 s34, s6, 0xffff
	s_ashr_i32 s6, s2, 31
	s_mul_i32 s8, s22, s21
	s_mul_hi_u32 s9, s22, s20
	s_mul_i32 s10, s23, s20
	s_mul_i32 s33, s22, s20
	s_add_i32 s42, s9, s8
	s_mul_i32 s6, s33, s6
	s_mul_hi_u32 s8, s33, s2
	s_add_i32 s42, s42, s10
	s_ashr_i32 s7, s3, 31
	v_mad_u64_u32 v[3:4], null, s15, s34, v[0:1]
	s_mul_i32 s11, s33, s2
	s_add_i32 s6, s8, s6
	s_mul_i32 s2, s42, s2
	s_mul_i32 s8, s11, s7
	s_mul_hi_u32 s9, s11, s3
	s_add_i32 s2, s6, s2
	v_mov_b32_e32 v4, v1
	s_add_i32 s6, s9, s8
	s_mul_i32 s2, s2, s3
	s_mul_i32 s8, s11, s3
	s_add_i32 s9, s6, s2
	s_mov_b32 s2, exec_lo
	v_cmpx_gt_i64_e64 s[8:9], v[3:4]
	s_cbranch_execz .LBB15_53
; %bb.1:
	s_mov_b32 s6, s3
	s_load_b128 s[0:3], s[0:1], 0x20
	s_load_b32 s36, s[4:5], 0x0
	s_mul_i32 s14, s33, s7
	s_mul_hi_u32 s15, s33, s6
	s_mul_i32 s24, s42, s6
	s_mul_i32 s43, s33, s6
	v_lshlrev_b64 v[7:8], 4, v[3:4]
	v_cvt_f32_u32_e32 v0, s43
	s_mov_b32 s61, 0
	s_delay_alu instid0(VALU_DEP_1) | instskip(NEXT) | instid1(VALU_DEP_2)
	v_rcp_iflag_f32_e32 v0, v0
	v_or_b32_e32 v7, 8, v7
	s_waitcnt lgkmcnt(0)
	s_ashr_i32 s11, s2, 31
	s_add_u32 s37, s2, s20
	s_addc_u32 s38, s11, s21
	s_ashr_i32 s5, s3, 31
	s_add_u32 s44, s37, s3
	s_addc_u32 s45, s38, s5
	s_ashr_i32 s13, s0, 31
	s_mov_b32 s4, s3
	s_add_u32 s3, s0, s22
	s_addc_u32 s25, s13, s23
	s_ashr_i32 s27, s1, 31
	s_mov_b32 s26, s1
	s_add_u32 s1, s3, s1
	s_addc_u32 s3, s25, s27
	s_add_i32 s15, s15, s14
	s_mul_hi_u32 s25, s44, s1
	s_mul_i32 s28, s45, s1
	s_mul_i32 s14, s44, s1
	;; [unrolled: 1-line block ×3, first 2 shown]
	s_add_i32 s46, s15, s24
	s_add_i32 s1, s25, s1
	s_mul_i32 s3, s14, s7
	s_add_i32 s15, s1, s28
	s_add_u32 s24, s22, -1
	s_addc_u32 s25, s23, -1
	s_not_b64 s[26:27], s[26:27]
	s_mul_hi_u32 s1, s14, s6
	s_add_u32 s26, s26, s22
	s_addc_u32 s27, s27, s23
	s_add_u32 s28, s20, -1
	s_addc_u32 s29, s21, -1
	s_not_b64 s[4:5], s[4:5]
	s_mul_i32 s39, s15, s6
	s_add_u32 s30, s4, s20
	s_addc_u32 s31, s5, s21
	s_add_i32 s1, s1, s3
	s_mov_b32 s12, s0
	s_add_i32 s47, s1, s39
	s_add_u32 s1, s20, s37
	s_addc_u32 s3, s21, s38
	s_add_u32 s48, s1, -2
	s_addc_u32 s49, s3, -1
	s_lshl_b64 s[4:5], s[24:25], 1
	s_waitcnt_depctr 0xfff
	v_mul_f32_e32 v0, 0x4f7ffffe, v0
	s_add_u32 s50, s4, s0
	s_addc_u32 s51, s5, s13
	s_lshl_b64 s[0:1], s[28:29], 1
	s_mov_b32 s10, s2
	s_add_u32 s53, s0, s2
	s_addc_u32 s54, s1, s11
	v_sub_co_u32 v5, s0, 0, v3
	s_sub_u32 s55, 0, s22
	s_subb_u32 s56, 0, s23
	v_sub_co_ci_u32_e64 v6, null, 0, 0, s0
	s_lshl_b64 s[0:1], s[10:11], 4
	s_mul_hi_u32 s35, s34, s36
	s_mul_i32 s34, s34, s36
	s_lshl_b64 s[36:37], s[6:7], 4
	s_lshl_b64 s[38:39], s[20:21], 4
	s_add_u32 s57, s18, s0
	v_cvt_u32_f32_e32 v0, v0
	s_addc_u32 s58, s19, s1
	s_lshl_b64 s[40:41], s[34:35], 4
	s_sub_u32 s59, 0, s33
	s_mul_i32 s52, s14, s6
	s_subb_u32 s60, 0, s42
	s_branch .LBB15_4
.LBB15_2:                               ;   in Loop: Header=BB15_4 Depth=1
	s_or_b32 exec_lo, exec_lo, s0
.LBB15_3:                               ;   in Loop: Header=BB15_4 Depth=1
	s_delay_alu instid0(SALU_CYCLE_1)
	s_or_b32 exec_lo, exec_lo, s1
	v_lshlrev_b64 v[11:12], 4, v[13:14]
	v_mul_lo_u32 v10, s36, v10
	v_mul_lo_u32 v21, s37, v9
	;; [unrolled: 1-line block ×4, first 2 shown]
	v_mad_u64_u32 v[13:14], null, s38, v2, 0
	v_mad_u64_u32 v[15:16], null, s36, v9, v[11:12]
	v_lshlrev_b64 v[11:12], 4, v[23:24]
	s_delay_alu instid0(VALU_DEP_3) | instskip(NEXT) | instid1(VALU_DEP_3)
	v_add3_u32 v14, v14, v25, v22
	v_add3_u32 v2, v21, v16, v10
	s_delay_alu instid0(VALU_DEP_2) | instskip(SKIP_1) | instid1(VALU_DEP_3)
	v_mad_u64_u32 v[9:10], null, s14, v15, v[13:14]
	v_mul_lo_u32 v13, s15, v15
	v_mul_lo_u32 v2, s14, v2
	s_delay_alu instid0(VALU_DEP_3) | instskip(NEXT) | instid1(VALU_DEP_2)
	v_add_co_u32 v9, vcc_lo, v9, v11
	v_add3_u32 v2, v13, v10, v2
	s_delay_alu instid0(VALU_DEP_1) | instskip(NEXT) | instid1(VALU_DEP_3)
	v_add_co_ci_u32_e32 v2, vcc_lo, v2, v12, vcc_lo
	v_add_co_u32 v9, vcc_lo, v7, v9
	s_delay_alu instid0(VALU_DEP_2) | instskip(NEXT) | instid1(VALU_DEP_2)
	v_add_co_ci_u32_e32 v2, vcc_lo, v8, v2, vcc_lo
	v_add_co_u32 v9, vcc_lo, s57, v9
	s_delay_alu instid0(VALU_DEP_2)
	v_add_co_ci_u32_e32 v10, vcc_lo, s58, v2, vcc_lo
	v_add_co_u32 v21, vcc_lo, s16, v7
	v_add_co_ci_u32_e32 v22, vcc_lo, s17, v8, vcc_lo
	global_load_b128 v[9:12], v[9:10], off offset:-8
	v_add_co_u32 v3, vcc_lo, v3, s34
	global_load_b128 v[13:16], v[21:22], off offset:-8
	v_add_co_ci_u32_e32 v4, vcc_lo, s35, v4, vcc_lo
	v_sub_co_u32 v5, vcc_lo, v5, s34
	v_subrev_co_ci_u32_e32 v6, vcc_lo, s35, v6, vcc_lo
	s_delay_alu instid0(VALU_DEP_3) | instskip(SKIP_1) | instid1(VALU_DEP_1)
	v_cmp_le_i64_e32 vcc_lo, s[8:9], v[3:4]
	v_add_co_u32 v7, s0, v7, s40
	v_add_co_ci_u32_e64 v8, s0, s41, v8, s0
	s_or_b32 s61, vcc_lo, s61
	s_waitcnt vmcnt(1)
	v_add_f64 v[9:10], v[19:20], v[9:10]
	v_add_f64 v[11:12], v[17:18], v[11:12]
	s_waitcnt vmcnt(0)
	s_delay_alu instid0(VALU_DEP_2) | instskip(NEXT) | instid1(VALU_DEP_2)
	v_add_f64 v[9:10], v[9:10], v[13:14]
	v_add_f64 v[11:12], v[11:12], v[15:16]
	global_store_b128 v[21:22], v[9:12], off offset:-8
	s_and_not1_b32 exec_lo, exec_lo, s61
	s_cbranch_execz .LBB15_53
.LBB15_4:                               ; =>This Inner Loop Header: Depth=1
	v_or_b32_e32 v2, s46, v4
	v_ashrrev_i32_e32 v13, 31, v4
                                        ; implicit-def: $vgpr9_vgpr10
	s_mov_b32 s0, exec_lo
	s_delay_alu instid0(VALU_DEP_2)
	v_cmpx_ne_u64_e32 0, v[1:2]
	s_xor_b32 s1, exec_lo, s0
	s_cbranch_execz .LBB15_6
; %bb.5:                                ;   in Loop: Header=BB15_4 Depth=1
	s_ashr_i32 s2, s46, 31
	s_delay_alu instid0(SALU_CYCLE_1) | instskip(SKIP_2) | instid1(SALU_CYCLE_1)
	s_add_u32 s4, s43, s2
	s_mov_b32 s3, s2
	s_addc_u32 s5, s46, s2
	s_xor_b64 s[4:5], s[4:5], s[2:3]
	s_delay_alu instid0(SALU_CYCLE_1) | instskip(SKIP_3) | instid1(VALU_DEP_1)
	v_cvt_f32_u32_e32 v2, s4
	v_cvt_f32_u32_e32 v9, s5
	s_sub_u32 s0, 0, s4
	s_subb_u32 s3, 0, s5
	v_fmac_f32_e32 v2, 0x4f800000, v9
	s_delay_alu instid0(VALU_DEP_1) | instskip(SKIP_2) | instid1(VALU_DEP_1)
	v_rcp_f32_e32 v2, v2
	s_waitcnt_depctr 0xfff
	v_mul_f32_e32 v2, 0x5f7ffffc, v2
	v_mul_f32_e32 v9, 0x2f800000, v2
	s_delay_alu instid0(VALU_DEP_1) | instskip(NEXT) | instid1(VALU_DEP_1)
	v_trunc_f32_e32 v9, v9
	v_fmac_f32_e32 v2, 0xcf800000, v9
	v_cvt_u32_f32_e32 v9, v9
	s_delay_alu instid0(VALU_DEP_2) | instskip(NEXT) | instid1(VALU_DEP_2)
	v_cvt_u32_f32_e32 v2, v2
	v_mul_lo_u32 v10, s0, v9
	s_delay_alu instid0(VALU_DEP_2) | instskip(SKIP_1) | instid1(VALU_DEP_2)
	v_mul_hi_u32 v11, s0, v2
	v_mul_lo_u32 v12, s3, v2
	v_add_nc_u32_e32 v10, v11, v10
	v_mul_lo_u32 v11, s0, v2
	s_delay_alu instid0(VALU_DEP_2) | instskip(NEXT) | instid1(VALU_DEP_2)
	v_add_nc_u32_e32 v10, v10, v12
	v_mul_hi_u32 v12, v2, v11
	s_delay_alu instid0(VALU_DEP_2)
	v_mul_lo_u32 v14, v2, v10
	v_mul_hi_u32 v15, v2, v10
	v_mul_hi_u32 v16, v9, v11
	v_mul_lo_u32 v11, v9, v11
	v_mul_hi_u32 v17, v9, v10
	v_mul_lo_u32 v10, v9, v10
	v_add_co_u32 v12, vcc_lo, v12, v14
	v_add_co_ci_u32_e32 v14, vcc_lo, 0, v15, vcc_lo
	s_delay_alu instid0(VALU_DEP_2) | instskip(NEXT) | instid1(VALU_DEP_2)
	v_add_co_u32 v11, vcc_lo, v12, v11
	v_add_co_ci_u32_e32 v11, vcc_lo, v14, v16, vcc_lo
	v_add_co_ci_u32_e32 v12, vcc_lo, 0, v17, vcc_lo
	s_delay_alu instid0(VALU_DEP_2) | instskip(NEXT) | instid1(VALU_DEP_2)
	v_add_co_u32 v10, vcc_lo, v11, v10
	v_add_co_ci_u32_e32 v11, vcc_lo, 0, v12, vcc_lo
	s_delay_alu instid0(VALU_DEP_2) | instskip(NEXT) | instid1(VALU_DEP_2)
	v_add_co_u32 v2, vcc_lo, v2, v10
	v_add_co_ci_u32_e32 v9, vcc_lo, v9, v11, vcc_lo
	s_delay_alu instid0(VALU_DEP_2) | instskip(SKIP_1) | instid1(VALU_DEP_3)
	v_mul_hi_u32 v10, s0, v2
	v_mul_lo_u32 v12, s3, v2
	v_mul_lo_u32 v11, s0, v9
	s_delay_alu instid0(VALU_DEP_1) | instskip(SKIP_1) | instid1(VALU_DEP_2)
	v_add_nc_u32_e32 v10, v10, v11
	v_mul_lo_u32 v11, s0, v2
	v_add_nc_u32_e32 v10, v10, v12
	s_delay_alu instid0(VALU_DEP_2) | instskip(NEXT) | instid1(VALU_DEP_2)
	v_mul_hi_u32 v12, v2, v11
	v_mul_lo_u32 v14, v2, v10
	v_mul_hi_u32 v15, v2, v10
	v_mul_hi_u32 v16, v9, v11
	v_mul_lo_u32 v11, v9, v11
	v_mul_hi_u32 v17, v9, v10
	v_mul_lo_u32 v10, v9, v10
	v_add_co_u32 v12, vcc_lo, v12, v14
	v_add_co_ci_u32_e32 v14, vcc_lo, 0, v15, vcc_lo
	s_delay_alu instid0(VALU_DEP_2) | instskip(NEXT) | instid1(VALU_DEP_2)
	v_add_co_u32 v11, vcc_lo, v12, v11
	v_add_co_ci_u32_e32 v11, vcc_lo, v14, v16, vcc_lo
	v_add_co_ci_u32_e32 v12, vcc_lo, 0, v17, vcc_lo
	v_add_co_u32 v14, vcc_lo, v3, v13
	v_add_co_ci_u32_e32 v15, vcc_lo, v4, v13, vcc_lo
	s_delay_alu instid0(VALU_DEP_4) | instskip(NEXT) | instid1(VALU_DEP_4)
	v_add_co_u32 v10, vcc_lo, v11, v10
	v_add_co_ci_u32_e32 v11, vcc_lo, 0, v12, vcc_lo
	s_delay_alu instid0(VALU_DEP_4) | instskip(NEXT) | instid1(VALU_DEP_3)
	v_xor_b32_e32 v16, v14, v13
	v_add_co_u32 v2, vcc_lo, v2, v10
	s_delay_alu instid0(VALU_DEP_3) | instskip(SKIP_1) | instid1(VALU_DEP_3)
	v_add_co_ci_u32_e32 v17, vcc_lo, v9, v11, vcc_lo
	v_xor_b32_e32 v18, v15, v13
	v_mul_hi_u32 v19, v16, v2
	s_delay_alu instid0(VALU_DEP_3) | instskip(NEXT) | instid1(VALU_DEP_3)
	v_mad_u64_u32 v[9:10], null, v16, v17, 0
	v_mad_u64_u32 v[11:12], null, v18, v2, 0
	;; [unrolled: 1-line block ×3, first 2 shown]
	s_delay_alu instid0(VALU_DEP_3) | instskip(NEXT) | instid1(VALU_DEP_4)
	v_add_co_u32 v2, vcc_lo, v19, v9
	v_add_co_ci_u32_e32 v9, vcc_lo, 0, v10, vcc_lo
	s_delay_alu instid0(VALU_DEP_2) | instskip(NEXT) | instid1(VALU_DEP_2)
	v_add_co_u32 v2, vcc_lo, v2, v11
	v_add_co_ci_u32_e32 v2, vcc_lo, v9, v12, vcc_lo
	v_add_co_ci_u32_e32 v9, vcc_lo, 0, v15, vcc_lo
	s_delay_alu instid0(VALU_DEP_2) | instskip(NEXT) | instid1(VALU_DEP_2)
	v_add_co_u32 v2, vcc_lo, v2, v14
	v_add_co_ci_u32_e32 v11, vcc_lo, 0, v9, vcc_lo
	s_delay_alu instid0(VALU_DEP_2) | instskip(SKIP_1) | instid1(VALU_DEP_3)
	v_mul_lo_u32 v12, s5, v2
	v_mad_u64_u32 v[9:10], null, s4, v2, 0
	v_mul_lo_u32 v14, s4, v11
	s_delay_alu instid0(VALU_DEP_2) | instskip(NEXT) | instid1(VALU_DEP_2)
	v_sub_co_u32 v9, vcc_lo, v16, v9
	v_add3_u32 v10, v10, v14, v12
	s_delay_alu instid0(VALU_DEP_1) | instskip(NEXT) | instid1(VALU_DEP_1)
	v_sub_nc_u32_e32 v12, v18, v10
	v_subrev_co_ci_u32_e64 v12, s0, s5, v12, vcc_lo
	v_add_co_u32 v14, s0, v2, 2
	s_delay_alu instid0(VALU_DEP_1) | instskip(SKIP_3) | instid1(VALU_DEP_3)
	v_add_co_ci_u32_e64 v15, s0, 0, v11, s0
	v_sub_co_u32 v16, s0, v9, s4
	v_sub_co_ci_u32_e32 v10, vcc_lo, v18, v10, vcc_lo
	v_subrev_co_ci_u32_e64 v12, s0, 0, v12, s0
	v_cmp_le_u32_e32 vcc_lo, s4, v16
	s_delay_alu instid0(VALU_DEP_3) | instskip(SKIP_1) | instid1(VALU_DEP_4)
	v_cmp_eq_u32_e64 s0, s5, v10
	v_cndmask_b32_e64 v16, 0, -1, vcc_lo
	v_cmp_le_u32_e32 vcc_lo, s5, v12
	v_cndmask_b32_e64 v17, 0, -1, vcc_lo
	v_cmp_le_u32_e32 vcc_lo, s4, v9
	;; [unrolled: 2-line block ×3, first 2 shown]
	v_cndmask_b32_e64 v18, 0, -1, vcc_lo
	v_cmp_eq_u32_e32 vcc_lo, s5, v12
	s_delay_alu instid0(VALU_DEP_2) | instskip(SKIP_3) | instid1(VALU_DEP_3)
	v_cndmask_b32_e64 v9, v18, v9, s0
	v_cndmask_b32_e32 v12, v17, v16, vcc_lo
	v_add_co_u32 v16, vcc_lo, v2, 1
	v_add_co_ci_u32_e32 v17, vcc_lo, 0, v11, vcc_lo
	v_cmp_ne_u32_e32 vcc_lo, 0, v12
	s_delay_alu instid0(VALU_DEP_2) | instskip(NEXT) | instid1(VALU_DEP_4)
	v_cndmask_b32_e32 v10, v17, v15, vcc_lo
	v_cndmask_b32_e32 v12, v16, v14, vcc_lo
	v_cmp_ne_u32_e32 vcc_lo, 0, v9
	v_xor_b32_e32 v14, s2, v13
	s_delay_alu instid0(VALU_DEP_3) | instskip(NEXT) | instid1(VALU_DEP_1)
	v_dual_cndmask_b32 v2, v2, v12 :: v_dual_cndmask_b32 v9, v11, v10
	v_xor_b32_e32 v2, v2, v14
	s_delay_alu instid0(VALU_DEP_2) | instskip(NEXT) | instid1(VALU_DEP_2)
	v_xor_b32_e32 v10, v9, v14
	v_sub_co_u32 v9, vcc_lo, v2, v14
	s_delay_alu instid0(VALU_DEP_2)
	v_sub_co_ci_u32_e32 v10, vcc_lo, v10, v14, vcc_lo
.LBB15_6:                               ;   in Loop: Header=BB15_4 Depth=1
	s_and_not1_saveexec_b32 s0, s1
	s_cbranch_execz .LBB15_8
; %bb.7:                                ;   in Loop: Header=BB15_4 Depth=1
	s_sub_i32 s1, 0, s43
	s_delay_alu instid0(SALU_CYCLE_1) | instskip(NEXT) | instid1(VALU_DEP_1)
	v_mul_lo_u32 v2, s1, v0
	v_mul_hi_u32 v2, v0, v2
	s_delay_alu instid0(VALU_DEP_1) | instskip(NEXT) | instid1(VALU_DEP_1)
	v_add_nc_u32_e32 v2, v0, v2
	v_mul_hi_u32 v2, v3, v2
	s_delay_alu instid0(VALU_DEP_1) | instskip(SKIP_1) | instid1(VALU_DEP_2)
	v_mul_lo_u32 v9, v2, s43
	v_add_nc_u32_e32 v10, 1, v2
	v_sub_nc_u32_e32 v9, v3, v9
	s_delay_alu instid0(VALU_DEP_1) | instskip(SKIP_1) | instid1(VALU_DEP_2)
	v_subrev_nc_u32_e32 v11, s43, v9
	v_cmp_le_u32_e32 vcc_lo, s43, v9
	v_dual_cndmask_b32 v9, v9, v11 :: v_dual_cndmask_b32 v2, v2, v10
	s_delay_alu instid0(VALU_DEP_1) | instskip(NEXT) | instid1(VALU_DEP_2)
	v_cmp_le_u32_e32 vcc_lo, s43, v9
	v_add_nc_u32_e32 v10, 1, v2
	s_delay_alu instid0(VALU_DEP_1)
	v_dual_cndmask_b32 v9, v2, v10 :: v_dual_mov_b32 v10, v1
.LBB15_8:                               ;   in Loop: Header=BB15_4 Depth=1
	s_or_b32 exec_lo, exec_lo, s0
	v_or_b32_e32 v2, s42, v4
                                        ; implicit-def: $vgpr11_vgpr12
	s_mov_b32 s0, exec_lo
	s_delay_alu instid0(VALU_DEP_1)
	v_cmpx_ne_u64_e32 0, v[1:2]
	s_xor_b32 s1, exec_lo, s0
	s_cbranch_execz .LBB15_10
; %bb.9:                                ;   in Loop: Header=BB15_4 Depth=1
	s_ashr_i32 s2, s42, 31
	s_delay_alu instid0(SALU_CYCLE_1) | instskip(SKIP_2) | instid1(SALU_CYCLE_1)
	s_add_u32 s4, s33, s2
	s_mov_b32 s3, s2
	s_addc_u32 s5, s42, s2
	s_xor_b64 s[4:5], s[4:5], s[2:3]
	s_delay_alu instid0(SALU_CYCLE_1) | instskip(SKIP_3) | instid1(VALU_DEP_1)
	v_cvt_f32_u32_e32 v2, s4
	v_cvt_f32_u32_e32 v11, s5
	s_sub_u32 s0, 0, s4
	s_subb_u32 s3, 0, s5
	v_fmac_f32_e32 v2, 0x4f800000, v11
	s_delay_alu instid0(VALU_DEP_1) | instskip(SKIP_2) | instid1(VALU_DEP_1)
	v_rcp_f32_e32 v2, v2
	s_waitcnt_depctr 0xfff
	v_mul_f32_e32 v2, 0x5f7ffffc, v2
	v_mul_f32_e32 v11, 0x2f800000, v2
	s_delay_alu instid0(VALU_DEP_1) | instskip(NEXT) | instid1(VALU_DEP_1)
	v_trunc_f32_e32 v11, v11
	v_fmac_f32_e32 v2, 0xcf800000, v11
	v_cvt_u32_f32_e32 v11, v11
	s_delay_alu instid0(VALU_DEP_2) | instskip(NEXT) | instid1(VALU_DEP_2)
	v_cvt_u32_f32_e32 v2, v2
	v_mul_lo_u32 v12, s0, v11
	s_delay_alu instid0(VALU_DEP_2) | instskip(SKIP_1) | instid1(VALU_DEP_2)
	v_mul_hi_u32 v14, s0, v2
	v_mul_lo_u32 v15, s3, v2
	v_add_nc_u32_e32 v12, v14, v12
	v_mul_lo_u32 v14, s0, v2
	s_delay_alu instid0(VALU_DEP_2) | instskip(NEXT) | instid1(VALU_DEP_2)
	v_add_nc_u32_e32 v12, v12, v15
	v_mul_hi_u32 v15, v2, v14
	s_delay_alu instid0(VALU_DEP_2)
	v_mul_lo_u32 v16, v2, v12
	v_mul_hi_u32 v17, v2, v12
	v_mul_hi_u32 v18, v11, v14
	v_mul_lo_u32 v14, v11, v14
	v_mul_hi_u32 v19, v11, v12
	v_mul_lo_u32 v12, v11, v12
	v_add_co_u32 v15, vcc_lo, v15, v16
	v_add_co_ci_u32_e32 v16, vcc_lo, 0, v17, vcc_lo
	s_delay_alu instid0(VALU_DEP_2) | instskip(NEXT) | instid1(VALU_DEP_2)
	v_add_co_u32 v14, vcc_lo, v15, v14
	v_add_co_ci_u32_e32 v14, vcc_lo, v16, v18, vcc_lo
	v_add_co_ci_u32_e32 v15, vcc_lo, 0, v19, vcc_lo
	s_delay_alu instid0(VALU_DEP_2) | instskip(NEXT) | instid1(VALU_DEP_2)
	v_add_co_u32 v12, vcc_lo, v14, v12
	v_add_co_ci_u32_e32 v14, vcc_lo, 0, v15, vcc_lo
	s_delay_alu instid0(VALU_DEP_2) | instskip(NEXT) | instid1(VALU_DEP_2)
	v_add_co_u32 v2, vcc_lo, v2, v12
	v_add_co_ci_u32_e32 v11, vcc_lo, v11, v14, vcc_lo
	s_delay_alu instid0(VALU_DEP_2) | instskip(SKIP_1) | instid1(VALU_DEP_3)
	v_mul_hi_u32 v12, s0, v2
	v_mul_lo_u32 v15, s3, v2
	v_mul_lo_u32 v14, s0, v11
	s_delay_alu instid0(VALU_DEP_1) | instskip(SKIP_1) | instid1(VALU_DEP_2)
	v_add_nc_u32_e32 v12, v12, v14
	v_mul_lo_u32 v14, s0, v2
	v_add_nc_u32_e32 v12, v12, v15
	s_delay_alu instid0(VALU_DEP_2) | instskip(NEXT) | instid1(VALU_DEP_2)
	v_mul_hi_u32 v15, v2, v14
	v_mul_lo_u32 v16, v2, v12
	v_mul_hi_u32 v17, v2, v12
	v_mul_hi_u32 v18, v11, v14
	v_mul_lo_u32 v14, v11, v14
	v_mul_hi_u32 v19, v11, v12
	v_mul_lo_u32 v12, v11, v12
	v_add_co_u32 v15, vcc_lo, v15, v16
	v_add_co_ci_u32_e32 v16, vcc_lo, 0, v17, vcc_lo
	s_delay_alu instid0(VALU_DEP_2) | instskip(NEXT) | instid1(VALU_DEP_2)
	v_add_co_u32 v14, vcc_lo, v15, v14
	v_add_co_ci_u32_e32 v14, vcc_lo, v16, v18, vcc_lo
	v_add_co_ci_u32_e32 v15, vcc_lo, 0, v19, vcc_lo
	v_add_co_u32 v16, vcc_lo, v3, v13
	v_add_co_ci_u32_e32 v17, vcc_lo, v4, v13, vcc_lo
	s_delay_alu instid0(VALU_DEP_4) | instskip(NEXT) | instid1(VALU_DEP_4)
	v_add_co_u32 v12, vcc_lo, v14, v12
	v_add_co_ci_u32_e32 v14, vcc_lo, 0, v15, vcc_lo
	s_delay_alu instid0(VALU_DEP_4) | instskip(NEXT) | instid1(VALU_DEP_3)
	v_xor_b32_e32 v18, v16, v13
	v_add_co_u32 v2, vcc_lo, v2, v12
	s_delay_alu instid0(VALU_DEP_3) | instskip(SKIP_1) | instid1(VALU_DEP_3)
	v_add_co_ci_u32_e32 v19, vcc_lo, v11, v14, vcc_lo
	v_xor_b32_e32 v20, v17, v13
	v_mul_hi_u32 v21, v18, v2
	v_xor_b32_e32 v13, s2, v13
	s_delay_alu instid0(VALU_DEP_4) | instskip(NEXT) | instid1(VALU_DEP_4)
	v_mad_u64_u32 v[11:12], null, v18, v19, 0
	v_mad_u64_u32 v[14:15], null, v20, v2, 0
	;; [unrolled: 1-line block ×3, first 2 shown]
	s_delay_alu instid0(VALU_DEP_3) | instskip(NEXT) | instid1(VALU_DEP_4)
	v_add_co_u32 v2, vcc_lo, v21, v11
	v_add_co_ci_u32_e32 v11, vcc_lo, 0, v12, vcc_lo
	s_delay_alu instid0(VALU_DEP_2) | instskip(NEXT) | instid1(VALU_DEP_2)
	v_add_co_u32 v2, vcc_lo, v2, v14
	v_add_co_ci_u32_e32 v2, vcc_lo, v11, v15, vcc_lo
	v_add_co_ci_u32_e32 v11, vcc_lo, 0, v17, vcc_lo
	s_delay_alu instid0(VALU_DEP_2) | instskip(NEXT) | instid1(VALU_DEP_2)
	v_add_co_u32 v2, vcc_lo, v2, v16
	v_add_co_ci_u32_e32 v14, vcc_lo, 0, v11, vcc_lo
	s_delay_alu instid0(VALU_DEP_2) | instskip(SKIP_1) | instid1(VALU_DEP_3)
	v_mul_lo_u32 v15, s5, v2
	v_mad_u64_u32 v[11:12], null, s4, v2, 0
	v_mul_lo_u32 v16, s4, v14
	s_delay_alu instid0(VALU_DEP_2) | instskip(NEXT) | instid1(VALU_DEP_2)
	v_sub_co_u32 v11, vcc_lo, v18, v11
	v_add3_u32 v12, v12, v16, v15
	s_delay_alu instid0(VALU_DEP_1) | instskip(NEXT) | instid1(VALU_DEP_1)
	v_sub_nc_u32_e32 v15, v20, v12
	v_subrev_co_ci_u32_e64 v15, s0, s5, v15, vcc_lo
	v_add_co_u32 v16, s0, v2, 2
	s_delay_alu instid0(VALU_DEP_1) | instskip(SKIP_3) | instid1(VALU_DEP_3)
	v_add_co_ci_u32_e64 v17, s0, 0, v14, s0
	v_sub_co_u32 v18, s0, v11, s4
	v_sub_co_ci_u32_e32 v12, vcc_lo, v20, v12, vcc_lo
	v_subrev_co_ci_u32_e64 v15, s0, 0, v15, s0
	v_cmp_le_u32_e32 vcc_lo, s4, v18
	s_delay_alu instid0(VALU_DEP_3) | instskip(SKIP_1) | instid1(VALU_DEP_4)
	v_cmp_eq_u32_e64 s0, s5, v12
	v_cndmask_b32_e64 v18, 0, -1, vcc_lo
	v_cmp_le_u32_e32 vcc_lo, s5, v15
	v_cndmask_b32_e64 v19, 0, -1, vcc_lo
	v_cmp_le_u32_e32 vcc_lo, s4, v11
	;; [unrolled: 2-line block ×3, first 2 shown]
	v_cndmask_b32_e64 v20, 0, -1, vcc_lo
	v_cmp_eq_u32_e32 vcc_lo, s5, v15
	s_delay_alu instid0(VALU_DEP_2) | instskip(SKIP_3) | instid1(VALU_DEP_3)
	v_cndmask_b32_e64 v11, v20, v11, s0
	v_cndmask_b32_e32 v15, v19, v18, vcc_lo
	v_add_co_u32 v18, vcc_lo, v2, 1
	v_add_co_ci_u32_e32 v19, vcc_lo, 0, v14, vcc_lo
	v_cmp_ne_u32_e32 vcc_lo, 0, v15
	s_delay_alu instid0(VALU_DEP_2) | instskip(SKIP_1) | instid1(VALU_DEP_2)
	v_dual_cndmask_b32 v12, v19, v17 :: v_dual_cndmask_b32 v15, v18, v16
	v_cmp_ne_u32_e32 vcc_lo, 0, v11
	v_cndmask_b32_e32 v11, v14, v12, vcc_lo
	s_delay_alu instid0(VALU_DEP_3) | instskip(NEXT) | instid1(VALU_DEP_2)
	v_cndmask_b32_e32 v2, v2, v15, vcc_lo
	v_xor_b32_e32 v12, v11, v13
	s_delay_alu instid0(VALU_DEP_2) | instskip(NEXT) | instid1(VALU_DEP_1)
	v_xor_b32_e32 v2, v2, v13
	v_sub_co_u32 v11, vcc_lo, v2, v13
	s_delay_alu instid0(VALU_DEP_3)
	v_sub_co_ci_u32_e32 v12, vcc_lo, v12, v13, vcc_lo
.LBB15_10:                              ;   in Loop: Header=BB15_4 Depth=1
	s_and_not1_saveexec_b32 s0, s1
	s_cbranch_execz .LBB15_12
; %bb.11:                               ;   in Loop: Header=BB15_4 Depth=1
	v_cvt_f32_u32_e32 v2, s33
	s_sub_i32 s1, 0, s33
	s_delay_alu instid0(VALU_DEP_1) | instskip(SKIP_2) | instid1(VALU_DEP_1)
	v_rcp_iflag_f32_e32 v2, v2
	s_waitcnt_depctr 0xfff
	v_mul_f32_e32 v2, 0x4f7ffffe, v2
	v_cvt_u32_f32_e32 v2, v2
	s_delay_alu instid0(VALU_DEP_1) | instskip(NEXT) | instid1(VALU_DEP_1)
	v_mul_lo_u32 v11, s1, v2
	v_mul_hi_u32 v11, v2, v11
	s_delay_alu instid0(VALU_DEP_1) | instskip(NEXT) | instid1(VALU_DEP_1)
	v_add_nc_u32_e32 v2, v2, v11
	v_mul_hi_u32 v2, v3, v2
	s_delay_alu instid0(VALU_DEP_1) | instskip(SKIP_1) | instid1(VALU_DEP_2)
	v_mul_lo_u32 v11, v2, s33
	v_add_nc_u32_e32 v12, 1, v2
	v_sub_nc_u32_e32 v11, v3, v11
	s_delay_alu instid0(VALU_DEP_1) | instskip(SKIP_1) | instid1(VALU_DEP_2)
	v_subrev_nc_u32_e32 v13, s33, v11
	v_cmp_le_u32_e32 vcc_lo, s33, v11
	v_dual_cndmask_b32 v11, v11, v13 :: v_dual_cndmask_b32 v2, v2, v12
	s_delay_alu instid0(VALU_DEP_1) | instskip(NEXT) | instid1(VALU_DEP_2)
	v_cmp_le_u32_e32 vcc_lo, s33, v11
	v_add_nc_u32_e32 v12, 1, v2
	s_delay_alu instid0(VALU_DEP_1)
	v_dual_cndmask_b32 v11, v2, v12 :: v_dual_mov_b32 v12, v1
.LBB15_12:                              ;   in Loop: Header=BB15_4 Depth=1
	s_or_b32 exec_lo, exec_lo, s0
	s_delay_alu instid0(VALU_DEP_1) | instskip(SKIP_1) | instid1(VALU_DEP_1)
	v_or_b32_e32 v2, s7, v12
                                        ; implicit-def: $vgpr13_vgpr14
	s_mov_b32 s0, exec_lo
	v_cmpx_ne_u64_e32 0, v[1:2]
	s_xor_b32 s1, exec_lo, s0
	s_cbranch_execz .LBB15_14
; %bb.13:                               ;   in Loop: Header=BB15_4 Depth=1
	s_add_u32 s4, s6, s7
	s_mov_b32 s2, s7
	s_mov_b32 s3, s7
	s_addc_u32 s5, s7, s7
	s_delay_alu instid0(SALU_CYCLE_1) | instskip(NEXT) | instid1(SALU_CYCLE_1)
	s_xor_b64 s[2:3], s[4:5], s[2:3]
	v_cvt_f32_u32_e32 v2, s2
	v_cvt_f32_u32_e32 v13, s3
	s_sub_u32 s0, 0, s2
	s_subb_u32 s4, 0, s3
	s_delay_alu instid0(VALU_DEP_1) | instskip(NEXT) | instid1(VALU_DEP_1)
	v_fmac_f32_e32 v2, 0x4f800000, v13
	v_rcp_f32_e32 v2, v2
	s_waitcnt_depctr 0xfff
	v_mul_f32_e32 v2, 0x5f7ffffc, v2
	s_delay_alu instid0(VALU_DEP_1) | instskip(NEXT) | instid1(VALU_DEP_1)
	v_mul_f32_e32 v13, 0x2f800000, v2
	v_trunc_f32_e32 v13, v13
	s_delay_alu instid0(VALU_DEP_1) | instskip(SKIP_1) | instid1(VALU_DEP_2)
	v_fmac_f32_e32 v2, 0xcf800000, v13
	v_cvt_u32_f32_e32 v13, v13
	v_cvt_u32_f32_e32 v2, v2
	s_delay_alu instid0(VALU_DEP_2) | instskip(NEXT) | instid1(VALU_DEP_2)
	v_mul_lo_u32 v14, s0, v13
	v_mul_hi_u32 v15, s0, v2
	v_mul_lo_u32 v16, s4, v2
	s_delay_alu instid0(VALU_DEP_2) | instskip(SKIP_1) | instid1(VALU_DEP_2)
	v_add_nc_u32_e32 v14, v15, v14
	v_mul_lo_u32 v15, s0, v2
	v_add_nc_u32_e32 v14, v14, v16
	s_delay_alu instid0(VALU_DEP_2) | instskip(NEXT) | instid1(VALU_DEP_2)
	v_mul_hi_u32 v16, v2, v15
	v_mul_lo_u32 v17, v2, v14
	v_mul_hi_u32 v18, v2, v14
	v_mul_hi_u32 v19, v13, v15
	v_mul_lo_u32 v15, v13, v15
	v_mul_hi_u32 v20, v13, v14
	v_mul_lo_u32 v14, v13, v14
	v_add_co_u32 v16, vcc_lo, v16, v17
	v_add_co_ci_u32_e32 v17, vcc_lo, 0, v18, vcc_lo
	s_delay_alu instid0(VALU_DEP_2) | instskip(NEXT) | instid1(VALU_DEP_2)
	v_add_co_u32 v15, vcc_lo, v16, v15
	v_add_co_ci_u32_e32 v15, vcc_lo, v17, v19, vcc_lo
	v_add_co_ci_u32_e32 v16, vcc_lo, 0, v20, vcc_lo
	v_ashrrev_i32_e32 v19, 31, v12
	s_delay_alu instid0(VALU_DEP_3) | instskip(NEXT) | instid1(VALU_DEP_3)
	v_add_co_u32 v14, vcc_lo, v15, v14
	v_add_co_ci_u32_e32 v15, vcc_lo, 0, v16, vcc_lo
	s_delay_alu instid0(VALU_DEP_2) | instskip(NEXT) | instid1(VALU_DEP_2)
	v_add_co_u32 v2, vcc_lo, v2, v14
	v_add_co_ci_u32_e32 v13, vcc_lo, v13, v15, vcc_lo
	s_delay_alu instid0(VALU_DEP_2) | instskip(SKIP_1) | instid1(VALU_DEP_3)
	v_mul_hi_u32 v14, s0, v2
	v_mul_lo_u32 v16, s4, v2
	v_mul_lo_u32 v15, s0, v13
	s_delay_alu instid0(VALU_DEP_1) | instskip(SKIP_1) | instid1(VALU_DEP_2)
	v_add_nc_u32_e32 v14, v14, v15
	v_mul_lo_u32 v15, s0, v2
	v_add_nc_u32_e32 v14, v14, v16
	s_delay_alu instid0(VALU_DEP_2) | instskip(NEXT) | instid1(VALU_DEP_2)
	v_mul_hi_u32 v16, v2, v15
	v_mul_lo_u32 v17, v2, v14
	v_mul_hi_u32 v18, v2, v14
	v_mul_hi_u32 v20, v13, v15
	v_mul_lo_u32 v15, v13, v15
	v_mul_hi_u32 v21, v13, v14
	v_mul_lo_u32 v14, v13, v14
	v_add_co_u32 v16, vcc_lo, v16, v17
	v_add_co_ci_u32_e32 v17, vcc_lo, 0, v18, vcc_lo
	s_delay_alu instid0(VALU_DEP_2) | instskip(NEXT) | instid1(VALU_DEP_2)
	v_add_co_u32 v15, vcc_lo, v16, v15
	v_add_co_ci_u32_e32 v15, vcc_lo, v17, v20, vcc_lo
	v_add_co_ci_u32_e32 v16, vcc_lo, 0, v21, vcc_lo
	v_add_co_u32 v17, vcc_lo, v11, v19
	v_add_co_ci_u32_e32 v18, vcc_lo, v12, v19, vcc_lo
	s_delay_alu instid0(VALU_DEP_4) | instskip(NEXT) | instid1(VALU_DEP_4)
	v_add_co_u32 v14, vcc_lo, v15, v14
	v_add_co_ci_u32_e32 v15, vcc_lo, 0, v16, vcc_lo
	s_delay_alu instid0(VALU_DEP_4) | instskip(NEXT) | instid1(VALU_DEP_3)
	v_xor_b32_e32 v20, v17, v19
	v_add_co_u32 v2, vcc_lo, v2, v14
	s_delay_alu instid0(VALU_DEP_3) | instskip(SKIP_1) | instid1(VALU_DEP_3)
	v_add_co_ci_u32_e32 v21, vcc_lo, v13, v15, vcc_lo
	v_xor_b32_e32 v22, v18, v19
	v_mul_hi_u32 v23, v20, v2
	s_delay_alu instid0(VALU_DEP_3) | instskip(NEXT) | instid1(VALU_DEP_3)
	v_mad_u64_u32 v[13:14], null, v20, v21, 0
	v_mad_u64_u32 v[15:16], null, v22, v2, 0
	;; [unrolled: 1-line block ×3, first 2 shown]
	s_delay_alu instid0(VALU_DEP_3) | instskip(NEXT) | instid1(VALU_DEP_4)
	v_add_co_u32 v2, vcc_lo, v23, v13
	v_add_co_ci_u32_e32 v13, vcc_lo, 0, v14, vcc_lo
	s_delay_alu instid0(VALU_DEP_2) | instskip(NEXT) | instid1(VALU_DEP_2)
	v_add_co_u32 v2, vcc_lo, v2, v15
	v_add_co_ci_u32_e32 v2, vcc_lo, v13, v16, vcc_lo
	v_add_co_ci_u32_e32 v13, vcc_lo, 0, v18, vcc_lo
	s_delay_alu instid0(VALU_DEP_2) | instskip(NEXT) | instid1(VALU_DEP_2)
	v_add_co_u32 v2, vcc_lo, v2, v17
	v_add_co_ci_u32_e32 v15, vcc_lo, 0, v13, vcc_lo
	s_delay_alu instid0(VALU_DEP_2) | instskip(SKIP_1) | instid1(VALU_DEP_3)
	v_mul_lo_u32 v16, s3, v2
	v_mad_u64_u32 v[13:14], null, s2, v2, 0
	v_mul_lo_u32 v2, s2, v15
	s_delay_alu instid0(VALU_DEP_2) | instskip(NEXT) | instid1(VALU_DEP_2)
	v_sub_co_u32 v13, vcc_lo, v20, v13
	v_add3_u32 v2, v14, v2, v16
	s_delay_alu instid0(VALU_DEP_1) | instskip(NEXT) | instid1(VALU_DEP_1)
	v_sub_nc_u32_e32 v14, v22, v2
	v_subrev_co_ci_u32_e64 v14, s0, s3, v14, vcc_lo
	v_sub_co_ci_u32_e32 v2, vcc_lo, v22, v2, vcc_lo
	v_sub_co_u32 v15, vcc_lo, v13, s2
	s_delay_alu instid0(VALU_DEP_1) | instskip(SKIP_3) | instid1(VALU_DEP_3)
	v_subrev_co_ci_u32_e64 v16, s0, 0, v14, vcc_lo
	v_cmp_le_u32_e64 s0, s2, v13
	v_subrev_co_ci_u32_e32 v14, vcc_lo, s3, v14, vcc_lo
	v_cmp_le_u32_e32 vcc_lo, s3, v2
	v_cndmask_b32_e64 v17, 0, -1, s0
	v_cmp_le_u32_e64 s0, s2, v15
	v_cndmask_b32_e64 v21, 0, -1, vcc_lo
	v_cmp_eq_u32_e32 vcc_lo, s3, v16
	s_delay_alu instid0(VALU_DEP_3) | instskip(SKIP_1) | instid1(VALU_DEP_1)
	v_cndmask_b32_e64 v18, 0, -1, s0
	v_cmp_le_u32_e64 s0, s3, v16
	v_cndmask_b32_e64 v20, 0, -1, s0
	v_cmp_eq_u32_e64 s0, s3, v2
	s_delay_alu instid0(VALU_DEP_2) | instskip(SKIP_2) | instid1(VALU_DEP_3)
	v_cndmask_b32_e32 v18, v20, v18, vcc_lo
	v_sub_co_u32 v20, vcc_lo, v15, s2
	v_subrev_co_ci_u32_e32 v14, vcc_lo, 0, v14, vcc_lo
	v_cmp_ne_u32_e32 vcc_lo, 0, v18
	v_cndmask_b32_e64 v17, v21, v17, s0
	s_delay_alu instid0(VALU_DEP_3) | instskip(NEXT) | instid1(VALU_DEP_2)
	v_dual_cndmask_b32 v14, v16, v14 :: v_dual_cndmask_b32 v15, v15, v20
	v_cmp_ne_u32_e32 vcc_lo, 0, v17
	s_delay_alu instid0(VALU_DEP_2) | instskip(NEXT) | instid1(VALU_DEP_1)
	v_dual_cndmask_b32 v13, v13, v15 :: v_dual_cndmask_b32 v2, v2, v14
	v_xor_b32_e32 v13, v13, v19
	s_delay_alu instid0(VALU_DEP_2) | instskip(NEXT) | instid1(VALU_DEP_2)
	v_xor_b32_e32 v2, v2, v19
	v_sub_co_u32 v13, vcc_lo, v13, v19
	s_delay_alu instid0(VALU_DEP_2)
	v_sub_co_ci_u32_e32 v14, vcc_lo, v2, v19, vcc_lo
.LBB15_14:                              ;   in Loop: Header=BB15_4 Depth=1
	s_and_not1_saveexec_b32 s0, s1
	s_cbranch_execz .LBB15_16
; %bb.15:                               ;   in Loop: Header=BB15_4 Depth=1
	v_cvt_f32_u32_e32 v2, s6
	s_sub_i32 s1, 0, s6
	v_mov_b32_e32 v14, v1
	s_delay_alu instid0(VALU_DEP_2) | instskip(SKIP_2) | instid1(VALU_DEP_1)
	v_rcp_iflag_f32_e32 v2, v2
	s_waitcnt_depctr 0xfff
	v_mul_f32_e32 v2, 0x4f7ffffe, v2
	v_cvt_u32_f32_e32 v2, v2
	s_delay_alu instid0(VALU_DEP_1) | instskip(NEXT) | instid1(VALU_DEP_1)
	v_mul_lo_u32 v13, s1, v2
	v_mul_hi_u32 v13, v2, v13
	s_delay_alu instid0(VALU_DEP_1) | instskip(NEXT) | instid1(VALU_DEP_1)
	v_add_nc_u32_e32 v2, v2, v13
	v_mul_hi_u32 v2, v11, v2
	s_delay_alu instid0(VALU_DEP_1) | instskip(NEXT) | instid1(VALU_DEP_1)
	v_mul_lo_u32 v2, v2, s6
	v_sub_nc_u32_e32 v2, v11, v2
	s_delay_alu instid0(VALU_DEP_1) | instskip(SKIP_1) | instid1(VALU_DEP_2)
	v_subrev_nc_u32_e32 v13, s6, v2
	v_cmp_le_u32_e32 vcc_lo, s6, v2
	v_cndmask_b32_e32 v2, v2, v13, vcc_lo
	s_delay_alu instid0(VALU_DEP_1) | instskip(SKIP_1) | instid1(VALU_DEP_2)
	v_subrev_nc_u32_e32 v13, s6, v2
	v_cmp_le_u32_e32 vcc_lo, s6, v2
	v_cndmask_b32_e32 v13, v2, v13, vcc_lo
.LBB15_16:                              ;   in Loop: Header=BB15_4 Depth=1
	s_or_b32 exec_lo, exec_lo, s0
	v_mad_u64_u32 v[17:18], null, s59, v11, v[3:4]
	v_mul_lo_u32 v2, s59, v12
	v_mul_lo_u32 v15, s60, v11
	s_mov_b32 s0, exec_lo
	s_delay_alu instid0(VALU_DEP_1) | instskip(NEXT) | instid1(VALU_DEP_1)
	v_add3_u32 v18, v15, v18, v2
                                        ; implicit-def: $vgpr15_vgpr16
	v_or_b32_e32 v2, s21, v18
	s_delay_alu instid0(VALU_DEP_1)
	v_cmpx_ne_u64_e32 0, v[1:2]
	s_xor_b32 s1, exec_lo, s0
	s_cbranch_execz .LBB15_18
; %bb.17:                               ;   in Loop: Header=BB15_4 Depth=1
	s_ashr_i32 s2, s21, 31
	s_delay_alu instid0(SALU_CYCLE_1) | instskip(SKIP_2) | instid1(SALU_CYCLE_1)
	s_add_u32 s4, s20, s2
	s_mov_b32 s3, s2
	s_addc_u32 s5, s21, s2
	s_xor_b64 s[4:5], s[4:5], s[2:3]
	s_delay_alu instid0(SALU_CYCLE_1) | instskip(SKIP_3) | instid1(VALU_DEP_1)
	v_cvt_f32_u32_e32 v2, s4
	v_cvt_f32_u32_e32 v15, s5
	s_sub_u32 s0, 0, s4
	s_subb_u32 s3, 0, s5
	v_fmac_f32_e32 v2, 0x4f800000, v15
	s_delay_alu instid0(VALU_DEP_1) | instskip(SKIP_2) | instid1(VALU_DEP_1)
	v_rcp_f32_e32 v2, v2
	s_waitcnt_depctr 0xfff
	v_mul_f32_e32 v2, 0x5f7ffffc, v2
	v_mul_f32_e32 v15, 0x2f800000, v2
	s_delay_alu instid0(VALU_DEP_1) | instskip(NEXT) | instid1(VALU_DEP_1)
	v_trunc_f32_e32 v15, v15
	v_fmac_f32_e32 v2, 0xcf800000, v15
	v_cvt_u32_f32_e32 v15, v15
	s_delay_alu instid0(VALU_DEP_2) | instskip(NEXT) | instid1(VALU_DEP_2)
	v_cvt_u32_f32_e32 v2, v2
	v_mul_lo_u32 v16, s0, v15
	s_delay_alu instid0(VALU_DEP_2) | instskip(SKIP_1) | instid1(VALU_DEP_2)
	v_mul_hi_u32 v19, s0, v2
	v_mul_lo_u32 v20, s3, v2
	v_add_nc_u32_e32 v16, v19, v16
	v_mul_lo_u32 v19, s0, v2
	s_delay_alu instid0(VALU_DEP_2) | instskip(NEXT) | instid1(VALU_DEP_2)
	v_add_nc_u32_e32 v16, v16, v20
	v_mul_hi_u32 v20, v2, v19
	s_delay_alu instid0(VALU_DEP_2)
	v_mul_lo_u32 v21, v2, v16
	v_mul_hi_u32 v22, v2, v16
	v_mul_hi_u32 v23, v15, v19
	v_mul_lo_u32 v19, v15, v19
	v_mul_hi_u32 v24, v15, v16
	v_mul_lo_u32 v16, v15, v16
	v_add_co_u32 v20, vcc_lo, v20, v21
	v_add_co_ci_u32_e32 v21, vcc_lo, 0, v22, vcc_lo
	s_delay_alu instid0(VALU_DEP_2) | instskip(NEXT) | instid1(VALU_DEP_2)
	v_add_co_u32 v19, vcc_lo, v20, v19
	v_add_co_ci_u32_e32 v19, vcc_lo, v21, v23, vcc_lo
	v_add_co_ci_u32_e32 v20, vcc_lo, 0, v24, vcc_lo
	v_ashrrev_i32_e32 v23, 31, v18
	s_delay_alu instid0(VALU_DEP_3) | instskip(NEXT) | instid1(VALU_DEP_3)
	v_add_co_u32 v16, vcc_lo, v19, v16
	v_add_co_ci_u32_e32 v19, vcc_lo, 0, v20, vcc_lo
	s_delay_alu instid0(VALU_DEP_2) | instskip(NEXT) | instid1(VALU_DEP_2)
	v_add_co_u32 v2, vcc_lo, v2, v16
	v_add_co_ci_u32_e32 v15, vcc_lo, v15, v19, vcc_lo
	s_delay_alu instid0(VALU_DEP_2) | instskip(SKIP_1) | instid1(VALU_DEP_3)
	v_mul_hi_u32 v16, s0, v2
	v_mul_lo_u32 v20, s3, v2
	v_mul_lo_u32 v19, s0, v15
	s_delay_alu instid0(VALU_DEP_1) | instskip(SKIP_1) | instid1(VALU_DEP_2)
	v_add_nc_u32_e32 v16, v16, v19
	v_mul_lo_u32 v19, s0, v2
	v_add_nc_u32_e32 v16, v16, v20
	s_delay_alu instid0(VALU_DEP_2) | instskip(NEXT) | instid1(VALU_DEP_2)
	v_mul_hi_u32 v20, v2, v19
	v_mul_lo_u32 v21, v2, v16
	v_mul_hi_u32 v22, v2, v16
	v_mul_hi_u32 v24, v15, v19
	v_mul_lo_u32 v19, v15, v19
	v_mul_hi_u32 v25, v15, v16
	v_mul_lo_u32 v16, v15, v16
	v_add_co_u32 v20, vcc_lo, v20, v21
	v_add_co_ci_u32_e32 v21, vcc_lo, 0, v22, vcc_lo
	s_delay_alu instid0(VALU_DEP_2) | instskip(NEXT) | instid1(VALU_DEP_2)
	v_add_co_u32 v19, vcc_lo, v20, v19
	v_add_co_ci_u32_e32 v19, vcc_lo, v21, v24, vcc_lo
	v_add_co_ci_u32_e32 v20, vcc_lo, 0, v25, vcc_lo
	v_add_co_u32 v17, vcc_lo, v17, v23
	v_add_co_ci_u32_e32 v18, vcc_lo, v18, v23, vcc_lo
	s_delay_alu instid0(VALU_DEP_4) | instskip(NEXT) | instid1(VALU_DEP_4)
	v_add_co_u32 v16, vcc_lo, v19, v16
	v_add_co_ci_u32_e32 v19, vcc_lo, 0, v20, vcc_lo
	s_delay_alu instid0(VALU_DEP_4) | instskip(NEXT) | instid1(VALU_DEP_3)
	v_xor_b32_e32 v21, v17, v23
	v_add_co_u32 v2, vcc_lo, v2, v16
	s_delay_alu instid0(VALU_DEP_3) | instskip(SKIP_1) | instid1(VALU_DEP_3)
	v_add_co_ci_u32_e32 v22, vcc_lo, v15, v19, vcc_lo
	v_xor_b32_e32 v24, v18, v23
	v_mul_hi_u32 v25, v21, v2
	s_delay_alu instid0(VALU_DEP_3) | instskip(NEXT) | instid1(VALU_DEP_3)
	v_mad_u64_u32 v[15:16], null, v21, v22, 0
	v_mad_u64_u32 v[17:18], null, v24, v2, 0
	;; [unrolled: 1-line block ×3, first 2 shown]
	s_delay_alu instid0(VALU_DEP_3) | instskip(NEXT) | instid1(VALU_DEP_4)
	v_add_co_u32 v2, vcc_lo, v25, v15
	v_add_co_ci_u32_e32 v15, vcc_lo, 0, v16, vcc_lo
	s_delay_alu instid0(VALU_DEP_2) | instskip(NEXT) | instid1(VALU_DEP_2)
	v_add_co_u32 v2, vcc_lo, v2, v17
	v_add_co_ci_u32_e32 v2, vcc_lo, v15, v18, vcc_lo
	v_add_co_ci_u32_e32 v15, vcc_lo, 0, v20, vcc_lo
	s_delay_alu instid0(VALU_DEP_2) | instskip(NEXT) | instid1(VALU_DEP_2)
	v_add_co_u32 v2, vcc_lo, v2, v19
	v_add_co_ci_u32_e32 v17, vcc_lo, 0, v15, vcc_lo
	s_delay_alu instid0(VALU_DEP_2) | instskip(SKIP_1) | instid1(VALU_DEP_3)
	v_mul_lo_u32 v18, s5, v2
	v_mad_u64_u32 v[15:16], null, s4, v2, 0
	v_mul_lo_u32 v19, s4, v17
	s_delay_alu instid0(VALU_DEP_2) | instskip(NEXT) | instid1(VALU_DEP_2)
	v_sub_co_u32 v15, vcc_lo, v21, v15
	v_add3_u32 v16, v16, v19, v18
	s_delay_alu instid0(VALU_DEP_1) | instskip(NEXT) | instid1(VALU_DEP_1)
	v_sub_nc_u32_e32 v18, v24, v16
	v_subrev_co_ci_u32_e64 v18, s0, s5, v18, vcc_lo
	v_add_co_u32 v19, s0, v2, 2
	s_delay_alu instid0(VALU_DEP_1) | instskip(SKIP_3) | instid1(VALU_DEP_3)
	v_add_co_ci_u32_e64 v20, s0, 0, v17, s0
	v_sub_co_u32 v21, s0, v15, s4
	v_sub_co_ci_u32_e32 v16, vcc_lo, v24, v16, vcc_lo
	v_subrev_co_ci_u32_e64 v18, s0, 0, v18, s0
	v_cmp_le_u32_e32 vcc_lo, s4, v21
	s_delay_alu instid0(VALU_DEP_3) | instskip(SKIP_1) | instid1(VALU_DEP_4)
	v_cmp_eq_u32_e64 s0, s5, v16
	v_cndmask_b32_e64 v21, 0, -1, vcc_lo
	v_cmp_le_u32_e32 vcc_lo, s5, v18
	v_cndmask_b32_e64 v22, 0, -1, vcc_lo
	v_cmp_le_u32_e32 vcc_lo, s4, v15
	;; [unrolled: 2-line block ×3, first 2 shown]
	v_cndmask_b32_e64 v24, 0, -1, vcc_lo
	v_cmp_eq_u32_e32 vcc_lo, s5, v18
	s_delay_alu instid0(VALU_DEP_2) | instskip(SKIP_3) | instid1(VALU_DEP_3)
	v_cndmask_b32_e64 v15, v24, v15, s0
	v_cndmask_b32_e32 v18, v22, v21, vcc_lo
	v_add_co_u32 v21, vcc_lo, v2, 1
	v_add_co_ci_u32_e32 v22, vcc_lo, 0, v17, vcc_lo
	v_cmp_ne_u32_e32 vcc_lo, 0, v18
	s_delay_alu instid0(VALU_DEP_2) | instskip(NEXT) | instid1(VALU_DEP_4)
	v_cndmask_b32_e32 v16, v22, v20, vcc_lo
	v_cndmask_b32_e32 v18, v21, v19, vcc_lo
	v_cmp_ne_u32_e32 vcc_lo, 0, v15
	v_xor_b32_e32 v19, s2, v23
	s_delay_alu instid0(VALU_DEP_3) | instskip(NEXT) | instid1(VALU_DEP_1)
	v_dual_cndmask_b32 v2, v2, v18 :: v_dual_cndmask_b32 v15, v17, v16
                                        ; implicit-def: $vgpr17_vgpr18
	v_xor_b32_e32 v2, v2, v19
	s_delay_alu instid0(VALU_DEP_2) | instskip(NEXT) | instid1(VALU_DEP_2)
	v_xor_b32_e32 v16, v15, v19
	v_sub_co_u32 v15, vcc_lo, v2, v19
	s_delay_alu instid0(VALU_DEP_2)
	v_sub_co_ci_u32_e32 v16, vcc_lo, v16, v19, vcc_lo
.LBB15_18:                              ;   in Loop: Header=BB15_4 Depth=1
	s_and_not1_saveexec_b32 s0, s1
	s_cbranch_execz .LBB15_20
; %bb.19:                               ;   in Loop: Header=BB15_4 Depth=1
	v_cvt_f32_u32_e32 v2, s20
	s_sub_i32 s1, 0, s20
	s_delay_alu instid0(VALU_DEP_1) | instskip(SKIP_2) | instid1(VALU_DEP_1)
	v_rcp_iflag_f32_e32 v2, v2
	s_waitcnt_depctr 0xfff
	v_mul_f32_e32 v2, 0x4f7ffffe, v2
	v_cvt_u32_f32_e32 v2, v2
	s_delay_alu instid0(VALU_DEP_1) | instskip(NEXT) | instid1(VALU_DEP_1)
	v_mul_lo_u32 v15, s1, v2
	v_mul_hi_u32 v15, v2, v15
	s_delay_alu instid0(VALU_DEP_1) | instskip(NEXT) | instid1(VALU_DEP_1)
	v_add_nc_u32_e32 v2, v2, v15
	v_mul_hi_u32 v2, v17, v2
	s_delay_alu instid0(VALU_DEP_1) | instskip(SKIP_1) | instid1(VALU_DEP_2)
	v_mul_lo_u32 v15, v2, s20
	v_add_nc_u32_e32 v16, 1, v2
	v_sub_nc_u32_e32 v15, v17, v15
	s_delay_alu instid0(VALU_DEP_1) | instskip(SKIP_1) | instid1(VALU_DEP_2)
	v_subrev_nc_u32_e32 v17, s20, v15
	v_cmp_le_u32_e32 vcc_lo, s20, v15
	v_dual_cndmask_b32 v15, v15, v17 :: v_dual_cndmask_b32 v2, v2, v16
	s_delay_alu instid0(VALU_DEP_1) | instskip(NEXT) | instid1(VALU_DEP_2)
	v_cmp_le_u32_e32 vcc_lo, s20, v15
	v_add_nc_u32_e32 v16, 1, v2
	s_delay_alu instid0(VALU_DEP_1)
	v_dual_cndmask_b32 v15, v2, v16 :: v_dual_mov_b32 v16, v1
.LBB15_20:                              ;   in Loop: Header=BB15_4 Depth=1
	s_or_b32 exec_lo, exec_lo, s0
	v_mul_lo_u32 v2, s56, v11
	v_mul_lo_u32 v21, s55, v12
	v_mad_u64_u32 v[17:18], null, s55, v11, 0
	v_mul_lo_u32 v25, v12, s33
	v_mul_lo_u32 v26, v11, s42
	v_mad_u64_u32 v[19:20], null, v11, s33, 0
	v_mad_u64_u32 v[23:24], null, v15, s20, 0
	v_add3_u32 v18, v18, v21, v2
	v_sub_co_u32 v2, vcc_lo, v17, v15
	v_mul_lo_u32 v17, v16, s20
	v_add3_u32 v20, v20, v26, v25
	s_delay_alu instid0(VALU_DEP_4) | instskip(NEXT) | instid1(VALU_DEP_4)
	v_sub_co_ci_u32_e32 v27, vcc_lo, v18, v16, vcc_lo
	v_mul_lo_u32 v28, s21, v2
	v_mad_u64_u32 v[21:22], null, s20, v2, 0
	s_delay_alu instid0(VALU_DEP_3) | instskip(SKIP_3) | instid1(VALU_DEP_4)
	v_mul_lo_u32 v29, s20, v27
	v_mul_lo_u32 v18, v15, s21
	v_cmp_lt_i64_e32 vcc_lo, 0, v[15:16]
	v_cmp_ge_i64_e64 s0, s[12:13], v[15:16]
	v_add3_u32 v22, v22, v29, v28
	s_delay_alu instid0(VALU_DEP_4) | instskip(SKIP_2) | instid1(VALU_DEP_4)
	v_add3_u32 v26, v24, v18, v17
	v_add_co_u32 v24, s1, v3, v21
	v_mov_b32_e32 v17, 0
	v_add_co_ci_u32_e64 v25, s1, v4, v22, s1
	v_sub_co_u32 v19, s1, v3, v19
	s_delay_alu instid0(VALU_DEP_1)
	v_sub_co_ci_u32_e64 v20, s1, v4, v20, s1
	v_mov_b32_e32 v18, 0
	v_cmp_eq_u64_e64 s1, v[21:22], v[5:6]
	v_cmp_lt_i64_e64 s2, s[10:11], v[24:25]
	v_cmp_gt_i64_e64 s3, s[28:29], v[24:25]
	v_cmp_le_i64_e64 s4, s[30:31], v[24:25]
	v_sub_co_u32 v28, s5, v19, v23
	s_delay_alu instid0(VALU_DEP_1)
	v_sub_co_ci_u32_e64 v29, s5, v20, v26, s5
	v_dual_mov_b32 v20, v18 :: v_dual_mov_b32 v19, v17
	s_and_b32 s0, vcc_lo, s0
	s_or_b32 s5, s1, s2
	s_and_b32 s2, s3, s4
	s_and_saveexec_b32 s3, s0
	s_cbranch_execz .LBB15_30
; %bb.21:                               ;   in Loop: Header=BB15_4 Depth=1
	v_sub_co_u32 v17, vcc_lo, s12, v15
	v_sub_co_ci_u32_e32 v18, vcc_lo, s13, v16, vcc_lo
	s_mov_b32 s0, exec_lo
	s_delay_alu instid0(VALU_DEP_2) | instskip(SKIP_1) | instid1(VALU_DEP_3)
	v_mul_lo_u32 v19, v17, s45
	v_mad_u64_u32 v[23:24], null, v17, s44, 0
	v_mul_lo_u32 v18, v18, s44
	v_add_co_u32 v17, vcc_lo, s10, v3
	s_delay_alu instid0(VALU_DEP_2) | instskip(SKIP_2) | instid1(VALU_DEP_3)
	v_add3_u32 v24, v24, v19, v18
	v_add_co_ci_u32_e32 v18, vcc_lo, s11, v4, vcc_lo
	v_add_co_u32 v19, vcc_lo, v21, v23
	v_add_co_ci_u32_e32 v20, vcc_lo, v22, v24, vcc_lo
	s_delay_alu instid0(VALU_DEP_2) | instskip(NEXT) | instid1(VALU_DEP_2)
	v_add_co_u32 v25, vcc_lo, v17, v19
	v_add_co_ci_u32_e32 v26, vcc_lo, v18, v20, vcc_lo
	v_mov_b32_e32 v19, 0
	v_mov_b32_e32 v20, 0
	s_delay_alu instid0(VALU_DEP_1) | instskip(NEXT) | instid1(VALU_DEP_4)
	v_dual_mov_b32 v17, v19 :: v_dual_mov_b32 v18, v20
	v_cmpx_gt_i64_e64 s[14:15], v[25:26]
	s_cbranch_execz .LBB15_23
; %bb.22:                               ;   in Loop: Header=BB15_4 Depth=1
	v_mul_lo_u32 v30, s47, v9
	v_mul_lo_u32 v31, s52, v10
	v_mad_u64_u32 v[17:18], null, s52, v9, 0
	v_mul_lo_u32 v32, v14, s14
	v_mul_lo_u32 v33, v13, s15
	v_mad_u64_u32 v[19:20], null, v13, s14, 0
	s_delay_alu instid0(VALU_DEP_4) | instskip(NEXT) | instid1(VALU_DEP_2)
	v_add3_u32 v18, v18, v31, v30
	v_add3_u32 v20, v20, v33, v32
	s_delay_alu instid0(VALU_DEP_2) | instskip(NEXT) | instid1(VALU_DEP_2)
	v_lshlrev_b64 v[17:18], 4, v[17:18]
	v_lshlrev_b64 v[19:20], 4, v[19:20]
	s_delay_alu instid0(VALU_DEP_2) | instskip(NEXT) | instid1(VALU_DEP_3)
	v_add_co_u32 v30, vcc_lo, s18, v17
	v_add_co_ci_u32_e32 v31, vcc_lo, s19, v18, vcc_lo
	v_lshlrev_b64 v[17:18], 4, v[25:26]
	s_delay_alu instid0(VALU_DEP_3) | instskip(NEXT) | instid1(VALU_DEP_3)
	v_add_co_u32 v19, vcc_lo, v30, v19
	v_add_co_ci_u32_e32 v20, vcc_lo, v31, v20, vcc_lo
	s_delay_alu instid0(VALU_DEP_2) | instskip(NEXT) | instid1(VALU_DEP_2)
	v_add_co_u32 v17, vcc_lo, v19, v17
	v_add_co_ci_u32_e32 v18, vcc_lo, v20, v18, vcc_lo
	global_load_b128 v[30:33], v[17:18], off
	s_waitcnt vmcnt(0)
	v_add_f64 v[19:20], v[30:31], 0
	v_add_f64 v[17:18], v[32:33], 0
.LBB15_23:                              ;   in Loop: Header=BB15_4 Depth=1
	s_or_b32 exec_lo, exec_lo, s0
	s_mov_b32 s1, 0
                                        ; implicit-def: $vgpr25_vgpr26
	s_and_saveexec_b32 s0, s5
	s_delay_alu instid0(SALU_CYCLE_1)
	s_xor_b32 s4, exec_lo, s0
	s_cbranch_execz .LBB15_49
; %bb.24:                               ;   in Loop: Header=BB15_4 Depth=1
	s_mov_b32 s0, 0
                                        ; implicit-def: $vgpr25_vgpr26
	s_and_saveexec_b32 s1, s2
	s_delay_alu instid0(SALU_CYCLE_1)
	s_xor_b32 s62, exec_lo, s1
	s_cbranch_execz .LBB15_26
; %bb.25:                               ;   in Loop: Header=BB15_4 Depth=1
	v_mad_u64_u32 v[25:26], null, s22, v11, v[15:16]
	v_mul_lo_u32 v30, s22, v12
	v_mul_lo_u32 v31, s23, v11
	s_delay_alu instid0(VALU_DEP_1) | instskip(NEXT) | instid1(VALU_DEP_4)
	v_add3_u32 v26, v31, v26, v30
	v_add_co_u32 v30, vcc_lo, v25, 2
	s_delay_alu instid0(VALU_DEP_2) | instskip(NEXT) | instid1(VALU_DEP_2)
	v_add_co_ci_u32_e32 v31, vcc_lo, 0, v26, vcc_lo
	v_mul_lo_u32 v32, s21, v30
	v_mad_u64_u32 v[25:26], null, s20, v30, v[23:24]
	s_delay_alu instid0(VALU_DEP_3) | instskip(SKIP_2) | instid1(VALU_DEP_2)
	v_mul_lo_u32 v30, s20, v31
	v_add_co_u32 v31, vcc_lo, s10, v5
	v_add_co_ci_u32_e32 v33, vcc_lo, s11, v6, vcc_lo
	v_add_co_u32 v25, vcc_lo, v31, v25
	s_delay_alu instid0(VALU_DEP_4) | instskip(NEXT) | instid1(VALU_DEP_1)
	v_add3_u32 v26, v32, v26, v30
	v_add_co_ci_u32_e32 v26, vcc_lo, v33, v26, vcc_lo
	s_delay_alu instid0(VALU_DEP_3) | instskip(NEXT) | instid1(VALU_DEP_2)
	v_add_co_u32 v25, vcc_lo, v25, -2
	v_add_co_ci_u32_e32 v26, vcc_lo, -1, v26, vcc_lo
	v_sub_co_u32 v30, vcc_lo, s48, v28
	v_sub_co_ci_u32_e32 v31, vcc_lo, s49, v29, vcc_lo
	s_delay_alu instid0(VALU_DEP_3) | instskip(SKIP_1) | instid1(VALU_DEP_4)
	v_cmp_lt_i64_e32 vcc_lo, -1, v[25:26]
	v_cmp_gt_i64_e64 s0, s[14:15], v[25:26]
	v_add_co_u32 v25, s1, v30, v23
	s_delay_alu instid0(VALU_DEP_1) | instskip(NEXT) | instid1(VALU_DEP_3)
	v_add_co_ci_u32_e64 v26, s1, v31, v24, s1
	s_and_b32 s0, vcc_lo, s0
	s_delay_alu instid0(SALU_CYCLE_1)
	s_and_b32 s0, s0, exec_lo
.LBB15_26:                              ;   in Loop: Header=BB15_4 Depth=1
	s_or_b32 exec_lo, exec_lo, s62
	s_delay_alu instid0(SALU_CYCLE_1)
	s_and_b32 s1, s0, exec_lo
                                        ; implicit-def: $vgpr23_vgpr24
	s_and_not1_saveexec_b32 s4, s4
	s_cbranch_execnz .LBB15_50
.LBB15_27:                              ;   in Loop: Header=BB15_4 Depth=1
	s_or_b32 exec_lo, exec_lo, s4
	s_and_saveexec_b32 s0, s1
	s_cbranch_execz .LBB15_29
.LBB15_28:                              ;   in Loop: Header=BB15_4 Depth=1
	v_mul_lo_u32 v32, s47, v9
	v_mul_lo_u32 v33, s52, v10
	v_mad_u64_u32 v[23:24], null, s52, v9, 0
	v_mul_lo_u32 v34, v14, s14
	v_mul_lo_u32 v35, v13, s15
	v_mad_u64_u32 v[30:31], null, v13, s14, 0
	s_delay_alu instid0(VALU_DEP_4) | instskip(NEXT) | instid1(VALU_DEP_2)
	v_add3_u32 v24, v24, v33, v32
	v_add3_u32 v31, v31, v35, v34
	s_delay_alu instid0(VALU_DEP_2) | instskip(NEXT) | instid1(VALU_DEP_2)
	v_lshlrev_b64 v[23:24], 4, v[23:24]
	v_lshlrev_b64 v[30:31], 4, v[30:31]
	s_delay_alu instid0(VALU_DEP_2) | instskip(NEXT) | instid1(VALU_DEP_3)
	v_add_co_u32 v32, vcc_lo, s18, v23
	v_add_co_ci_u32_e32 v33, vcc_lo, s19, v24, vcc_lo
	v_lshlrev_b64 v[23:24], 4, v[25:26]
	s_delay_alu instid0(VALU_DEP_3) | instskip(NEXT) | instid1(VALU_DEP_3)
	v_add_co_u32 v25, vcc_lo, v32, v30
	v_add_co_ci_u32_e32 v26, vcc_lo, v33, v31, vcc_lo
	s_delay_alu instid0(VALU_DEP_2) | instskip(NEXT) | instid1(VALU_DEP_2)
	v_add_co_u32 v23, vcc_lo, v25, v23
	v_add_co_ci_u32_e32 v24, vcc_lo, v26, v24, vcc_lo
	global_load_b128 v[23:26], v[23:24], off
	s_waitcnt vmcnt(0)
	v_add_f64 v[19:20], v[19:20], v[23:24]
	v_add_f64 v[17:18], v[17:18], v[25:26]
.LBB15_29:                              ;   in Loop: Header=BB15_4 Depth=1
	s_or_b32 exec_lo, exec_lo, s0
.LBB15_30:                              ;   in Loop: Header=BB15_4 Depth=1
	s_delay_alu instid0(SALU_CYCLE_1) | instskip(SKIP_2) | instid1(VALU_DEP_1)
	s_or_b32 exec_lo, exec_lo, s3
	v_cmp_gt_i64_e32 vcc_lo, s[24:25], v[15:16]
	v_cmp_le_i64_e64 s0, s[26:27], v[15:16]
	s_and_b32 s0, vcc_lo, s0
	s_delay_alu instid0(SALU_CYCLE_1)
	s_and_saveexec_b32 s3, s0
	s_cbranch_execz .LBB15_40
; %bb.31:                               ;   in Loop: Header=BB15_4 Depth=1
	v_sub_co_u32 v25, vcc_lo, s50, v15
	v_sub_co_ci_u32_e32 v23, vcc_lo, s51, v16, vcc_lo
	s_delay_alu instid0(VALU_DEP_2) | instskip(NEXT) | instid1(VALU_DEP_2)
	v_mul_lo_u32 v26, s45, v25
	v_mul_lo_u32 v30, s44, v23
	v_mad_u64_u32 v[23:24], null, s44, v25, 0
	v_add_co_u32 v25, vcc_lo, s10, v3
	s_delay_alu instid0(VALU_DEP_2) | instskip(SKIP_1) | instid1(VALU_DEP_4)
	v_add3_u32 v24, v24, v30, v26
	v_add_co_ci_u32_e32 v26, vcc_lo, s11, v4, vcc_lo
	v_add_co_u32 v30, vcc_lo, v23, v21
	s_delay_alu instid0(VALU_DEP_3) | instskip(NEXT) | instid1(VALU_DEP_2)
	v_add_co_ci_u32_e32 v31, vcc_lo, v24, v22, vcc_lo
	v_add_co_u32 v25, vcc_lo, v25, v30
	s_delay_alu instid0(VALU_DEP_2) | instskip(NEXT) | instid1(VALU_DEP_1)
	v_add_co_ci_u32_e32 v26, vcc_lo, v26, v31, vcc_lo
	v_cmp_lt_i64_e32 vcc_lo, -1, v[25:26]
	v_cmp_gt_i64_e64 s0, s[14:15], v[25:26]
	s_delay_alu instid0(VALU_DEP_1) | instskip(NEXT) | instid1(SALU_CYCLE_1)
	s_and_b32 s1, vcc_lo, s0
	s_and_saveexec_b32 s0, s1
	s_cbranch_execz .LBB15_33
; %bb.32:                               ;   in Loop: Header=BB15_4 Depth=1
	v_mul_lo_u32 v34, s47, v9
	v_mul_lo_u32 v35, s52, v10
	v_mad_u64_u32 v[30:31], null, s52, v9, 0
	v_mul_lo_u32 v36, v14, s14
	v_mul_lo_u32 v37, v13, s15
	v_mad_u64_u32 v[32:33], null, v13, s14, 0
	v_lshlrev_b64 v[25:26], 4, v[25:26]
	v_add3_u32 v31, v31, v35, v34
	s_delay_alu instid0(VALU_DEP_3) | instskip(NEXT) | instid1(VALU_DEP_2)
	v_add3_u32 v33, v33, v37, v36
	v_lshlrev_b64 v[30:31], 4, v[30:31]
	s_delay_alu instid0(VALU_DEP_2) | instskip(NEXT) | instid1(VALU_DEP_2)
	v_lshlrev_b64 v[32:33], 4, v[32:33]
	v_add_co_u32 v30, vcc_lo, s18, v30
	s_delay_alu instid0(VALU_DEP_3) | instskip(NEXT) | instid1(VALU_DEP_2)
	v_add_co_ci_u32_e32 v31, vcc_lo, s19, v31, vcc_lo
	v_add_co_u32 v30, vcc_lo, v30, v32
	s_delay_alu instid0(VALU_DEP_2) | instskip(NEXT) | instid1(VALU_DEP_2)
	v_add_co_ci_u32_e32 v31, vcc_lo, v31, v33, vcc_lo
	v_add_co_u32 v25, vcc_lo, v30, v25
	s_delay_alu instid0(VALU_DEP_2)
	v_add_co_ci_u32_e32 v26, vcc_lo, v31, v26, vcc_lo
	global_load_b128 v[30:33], v[25:26], off
	s_waitcnt vmcnt(0)
	v_add_f64 v[19:20], v[19:20], v[30:31]
	v_add_f64 v[17:18], v[17:18], v[32:33]
.LBB15_33:                              ;   in Loop: Header=BB15_4 Depth=1
	s_or_b32 exec_lo, exec_lo, s0
	s_mov_b32 s1, 0
                                        ; implicit-def: $vgpr25_vgpr26
	s_and_saveexec_b32 s0, s5
	s_delay_alu instid0(SALU_CYCLE_1)
	s_xor_b32 s4, exec_lo, s0
	s_cbranch_execz .LBB15_51
; %bb.34:                               ;   in Loop: Header=BB15_4 Depth=1
	s_mov_b32 s0, 0
                                        ; implicit-def: $vgpr25_vgpr26
	s_and_saveexec_b32 s1, s2
	s_delay_alu instid0(SALU_CYCLE_1)
	s_xor_b32 s62, exec_lo, s1
	s_cbranch_execz .LBB15_36
; %bb.35:                               ;   in Loop: Header=BB15_4 Depth=1
	v_mad_u64_u32 v[25:26], null, s22, v11, v[15:16]
	v_mul_lo_u32 v30, s22, v12
	v_mul_lo_u32 v31, s23, v11
	s_delay_alu instid0(VALU_DEP_1) | instskip(NEXT) | instid1(VALU_DEP_4)
	v_add3_u32 v26, v31, v26, v30
	v_add_co_u32 v30, vcc_lo, v25, 2
	s_delay_alu instid0(VALU_DEP_2) | instskip(NEXT) | instid1(VALU_DEP_2)
	v_add_co_ci_u32_e32 v31, vcc_lo, 0, v26, vcc_lo
	v_mul_lo_u32 v32, s21, v30
	v_mad_u64_u32 v[25:26], null, s20, v30, v[23:24]
	s_delay_alu instid0(VALU_DEP_3) | instskip(SKIP_2) | instid1(VALU_DEP_2)
	v_mul_lo_u32 v30, s20, v31
	v_add_co_u32 v31, vcc_lo, s10, v5
	v_add_co_ci_u32_e32 v33, vcc_lo, s11, v6, vcc_lo
	v_add_co_u32 v25, vcc_lo, v31, v25
	s_delay_alu instid0(VALU_DEP_4) | instskip(NEXT) | instid1(VALU_DEP_1)
	v_add3_u32 v26, v32, v26, v30
	v_add_co_ci_u32_e32 v26, vcc_lo, v33, v26, vcc_lo
	s_delay_alu instid0(VALU_DEP_3) | instskip(NEXT) | instid1(VALU_DEP_2)
	v_add_co_u32 v25, vcc_lo, v25, -2
	v_add_co_ci_u32_e32 v26, vcc_lo, -1, v26, vcc_lo
	v_add_co_u32 v23, vcc_lo, s53, v23
	v_add_co_ci_u32_e32 v24, vcc_lo, s54, v24, vcc_lo
	s_delay_alu instid0(VALU_DEP_3) | instskip(SKIP_1) | instid1(VALU_DEP_4)
	v_cmp_lt_i64_e32 vcc_lo, -1, v[25:26]
	v_cmp_gt_i64_e64 s0, s[14:15], v[25:26]
	v_sub_co_u32 v25, s1, v23, v28
	s_delay_alu instid0(VALU_DEP_1) | instskip(NEXT) | instid1(VALU_DEP_3)
	v_sub_co_ci_u32_e64 v26, s1, v24, v29, s1
	s_and_b32 s0, vcc_lo, s0
	s_delay_alu instid0(SALU_CYCLE_1)
	s_and_b32 s0, s0, exec_lo
.LBB15_36:                              ;   in Loop: Header=BB15_4 Depth=1
	s_or_b32 exec_lo, exec_lo, s62
	s_delay_alu instid0(SALU_CYCLE_1)
	s_and_b32 s1, s0, exec_lo
                                        ; implicit-def: $vgpr23_vgpr24
	s_and_not1_saveexec_b32 s4, s4
	s_cbranch_execnz .LBB15_52
.LBB15_37:                              ;   in Loop: Header=BB15_4 Depth=1
	s_or_b32 exec_lo, exec_lo, s4
	s_and_saveexec_b32 s0, s1
	s_cbranch_execz .LBB15_39
.LBB15_38:                              ;   in Loop: Header=BB15_4 Depth=1
	v_mul_lo_u32 v30, s47, v9
	v_mul_lo_u32 v31, s52, v10
	v_mad_u64_u32 v[23:24], null, s52, v9, 0
	v_mul_lo_u32 v32, v14, s14
	v_mul_lo_u32 v33, v13, s15
	v_mad_u64_u32 v[28:29], null, v13, s14, 0
	s_delay_alu instid0(VALU_DEP_4) | instskip(NEXT) | instid1(VALU_DEP_2)
	v_add3_u32 v24, v24, v31, v30
	v_add3_u32 v29, v29, v33, v32
	s_delay_alu instid0(VALU_DEP_2) | instskip(NEXT) | instid1(VALU_DEP_2)
	v_lshlrev_b64 v[23:24], 4, v[23:24]
	v_lshlrev_b64 v[28:29], 4, v[28:29]
	s_delay_alu instid0(VALU_DEP_2) | instskip(NEXT) | instid1(VALU_DEP_3)
	v_add_co_u32 v30, vcc_lo, s18, v23
	v_add_co_ci_u32_e32 v31, vcc_lo, s19, v24, vcc_lo
	v_lshlrev_b64 v[23:24], 4, v[25:26]
	s_delay_alu instid0(VALU_DEP_3) | instskip(NEXT) | instid1(VALU_DEP_3)
	v_add_co_u32 v25, vcc_lo, v30, v28
	v_add_co_ci_u32_e32 v26, vcc_lo, v31, v29, vcc_lo
	s_delay_alu instid0(VALU_DEP_2) | instskip(NEXT) | instid1(VALU_DEP_2)
	v_add_co_u32 v23, vcc_lo, v25, v23
	v_add_co_ci_u32_e32 v24, vcc_lo, v26, v24, vcc_lo
	global_load_b128 v[23:26], v[23:24], off
	s_waitcnt vmcnt(0)
	v_add_f64 v[19:20], v[19:20], v[23:24]
	v_add_f64 v[17:18], v[17:18], v[25:26]
.LBB15_39:                              ;   in Loop: Header=BB15_4 Depth=1
	s_or_b32 exec_lo, exec_lo, s0
.LBB15_40:                              ;   in Loop: Header=BB15_4 Depth=1
	s_delay_alu instid0(SALU_CYCLE_1) | instskip(SKIP_1) | instid1(SALU_CYCLE_1)
	s_or_b32 exec_lo, exec_lo, s3
                                        ; implicit-def: $vgpr23_vgpr24
	s_and_saveexec_b32 s0, s5
	s_xor_b32 s0, exec_lo, s0
	s_cbranch_execz .LBB15_43
; %bb.41:                               ;   in Loop: Header=BB15_4 Depth=1
	v_add_co_u32 v21, vcc_lo, v15, s12
	v_add_co_ci_u32_e32 v22, vcc_lo, s13, v16, vcc_lo
	s_delay_alu instid0(VALU_DEP_2) | instskip(SKIP_1) | instid1(VALU_DEP_3)
	v_mul_lo_u32 v25, v21, s45
	v_mad_u64_u32 v[23:24], null, v21, s44, 0
	v_mul_lo_u32 v22, v22, s44
	s_delay_alu instid0(VALU_DEP_1)
	v_add3_u32 v24, v24, v25, v22
                                        ; implicit-def: $vgpr21_vgpr22
	s_and_not1_saveexec_b32 s1, s0
	s_cbranch_execnz .LBB15_44
.LBB15_42:                              ;   in Loop: Header=BB15_4 Depth=1
	s_or_b32 exec_lo, exec_lo, s1
	s_and_saveexec_b32 s1, s2
	s_cbranch_execz .LBB15_3
	s_branch .LBB15_47
.LBB15_43:                              ;   in Loop: Header=BB15_4 Depth=1
	s_and_not1_saveexec_b32 s1, s0
	s_cbranch_execz .LBB15_42
.LBB15_44:                              ;   in Loop: Header=BB15_4 Depth=1
	v_add_co_u32 v25, vcc_lo, v15, s12
	v_add_co_ci_u32_e32 v23, vcc_lo, s13, v16, vcc_lo
	s_delay_alu instid0(VALU_DEP_2) | instskip(NEXT) | instid1(VALU_DEP_2)
	v_mul_lo_u32 v28, v25, s45
	v_mul_lo_u32 v26, v23, s44
	v_mad_u64_u32 v[23:24], null, v25, s44, 0
	v_add_co_u32 v25, vcc_lo, s10, v5
	s_delay_alu instid0(VALU_DEP_2) | instskip(SKIP_1) | instid1(VALU_DEP_4)
	v_add3_u32 v24, v24, v28, v26
	v_add_co_ci_u32_e32 v26, vcc_lo, s11, v6, vcc_lo
	v_sub_co_u32 v21, vcc_lo, v23, v21
	s_delay_alu instid0(VALU_DEP_3) | instskip(NEXT) | instid1(VALU_DEP_2)
	v_sub_co_ci_u32_e32 v22, vcc_lo, v24, v22, vcc_lo
	v_add_co_u32 v21, vcc_lo, v25, v21
	s_delay_alu instid0(VALU_DEP_2) | instskip(NEXT) | instid1(VALU_DEP_1)
	v_add_co_ci_u32_e32 v22, vcc_lo, v26, v22, vcc_lo
	v_cmp_lt_i64_e32 vcc_lo, -1, v[21:22]
	v_cmp_gt_i64_e64 s0, s[14:15], v[21:22]
	s_delay_alu instid0(VALU_DEP_1) | instskip(NEXT) | instid1(SALU_CYCLE_1)
	s_and_b32 s3, vcc_lo, s0
	s_and_saveexec_b32 s0, s3
	s_cbranch_execz .LBB15_46
; %bb.45:                               ;   in Loop: Header=BB15_4 Depth=1
	v_mul_lo_u32 v30, s47, v9
	v_mul_lo_u32 v31, s52, v10
	v_mad_u64_u32 v[25:26], null, s52, v9, 0
	v_mul_lo_u32 v32, v14, s14
	v_mul_lo_u32 v33, v13, s15
	v_mad_u64_u32 v[28:29], null, v13, s14, 0
	v_lshlrev_b64 v[21:22], 4, v[21:22]
	v_add3_u32 v26, v26, v31, v30
	s_delay_alu instid0(VALU_DEP_3) | instskip(NEXT) | instid1(VALU_DEP_2)
	v_add3_u32 v29, v29, v33, v32
	v_lshlrev_b64 v[25:26], 4, v[25:26]
	s_delay_alu instid0(VALU_DEP_2) | instskip(NEXT) | instid1(VALU_DEP_2)
	v_lshlrev_b64 v[28:29], 4, v[28:29]
	v_add_co_u32 v25, vcc_lo, s18, v25
	s_delay_alu instid0(VALU_DEP_3) | instskip(NEXT) | instid1(VALU_DEP_2)
	v_add_co_ci_u32_e32 v26, vcc_lo, s19, v26, vcc_lo
	v_add_co_u32 v25, vcc_lo, v25, v28
	s_delay_alu instid0(VALU_DEP_2) | instskip(NEXT) | instid1(VALU_DEP_2)
	v_add_co_ci_u32_e32 v26, vcc_lo, v26, v29, vcc_lo
	v_add_co_u32 v21, vcc_lo, v25, v21
	s_delay_alu instid0(VALU_DEP_2)
	v_add_co_ci_u32_e32 v22, vcc_lo, v26, v22, vcc_lo
	global_load_b128 v[28:31], v[21:22], off
	s_waitcnt vmcnt(0)
	v_add_f64 v[19:20], v[19:20], v[28:29]
	v_add_f64 v[17:18], v[17:18], v[30:31]
.LBB15_46:                              ;   in Loop: Header=BB15_4 Depth=1
	s_or_b32 exec_lo, exec_lo, s0
	s_delay_alu instid0(SALU_CYCLE_1)
	s_or_b32 exec_lo, exec_lo, s1
	s_and_saveexec_b32 s1, s2
	s_cbranch_execz .LBB15_3
.LBB15_47:                              ;   in Loop: Header=BB15_4 Depth=1
	v_mad_u64_u32 v[21:22], null, s22, v11, v[15:16]
	v_mul_lo_u32 v12, s22, v12
	v_mul_lo_u32 v11, s23, v11
	s_delay_alu instid0(VALU_DEP_3) | instskip(NEXT) | instid1(VALU_DEP_2)
	v_add_co_u32 v15, vcc_lo, v21, 2
	v_add3_u32 v11, v11, v22, v12
	s_delay_alu instid0(VALU_DEP_2) | instskip(NEXT) | instid1(VALU_DEP_2)
	v_mul_lo_u32 v21, s21, v15
	v_add_co_ci_u32_e32 v16, vcc_lo, 0, v11, vcc_lo
	v_mad_u64_u32 v[11:12], null, s20, v15, v[23:24]
	s_delay_alu instid0(VALU_DEP_2) | instskip(SKIP_2) | instid1(VALU_DEP_2)
	v_mul_lo_u32 v15, s20, v16
	v_add_co_u32 v16, vcc_lo, s10, v5
	v_add_co_ci_u32_e32 v22, vcc_lo, s11, v6, vcc_lo
	v_add_co_u32 v11, vcc_lo, v16, v11
	s_delay_alu instid0(VALU_DEP_4) | instskip(NEXT) | instid1(VALU_DEP_1)
	v_add3_u32 v12, v21, v12, v15
	v_add_co_ci_u32_e32 v12, vcc_lo, v22, v12, vcc_lo
	s_delay_alu instid0(VALU_DEP_3) | instskip(NEXT) | instid1(VALU_DEP_2)
	v_add_co_u32 v11, vcc_lo, v11, -2
	v_add_co_ci_u32_e32 v12, vcc_lo, -1, v12, vcc_lo
	s_delay_alu instid0(VALU_DEP_1) | instskip(SKIP_1) | instid1(VALU_DEP_1)
	v_cmp_lt_i64_e32 vcc_lo, -1, v[11:12]
	v_cmp_gt_i64_e64 s0, s[14:15], v[11:12]
	s_and_b32 s2, vcc_lo, s0
	s_delay_alu instid0(SALU_CYCLE_1)
	s_and_saveexec_b32 s0, s2
	s_cbranch_execz .LBB15_2
; %bb.48:                               ;   in Loop: Header=BB15_4 Depth=1
	v_mul_lo_u32 v25, s47, v9
	v_mul_lo_u32 v26, s52, v10
	v_mad_u64_u32 v[15:16], null, s52, v9, 0
	v_mul_lo_u32 v28, v14, s14
	v_mul_lo_u32 v29, v13, s15
	v_mad_u64_u32 v[21:22], null, v13, s14, 0
	v_lshlrev_b64 v[11:12], 4, v[11:12]
	v_add3_u32 v16, v16, v26, v25
	s_delay_alu instid0(VALU_DEP_3) | instskip(NEXT) | instid1(VALU_DEP_2)
	v_add3_u32 v22, v22, v29, v28
	v_lshlrev_b64 v[15:16], 4, v[15:16]
	s_delay_alu instid0(VALU_DEP_2) | instskip(NEXT) | instid1(VALU_DEP_2)
	v_lshlrev_b64 v[21:22], 4, v[21:22]
	v_add_co_u32 v15, vcc_lo, s18, v15
	s_delay_alu instid0(VALU_DEP_3) | instskip(NEXT) | instid1(VALU_DEP_2)
	v_add_co_ci_u32_e32 v16, vcc_lo, s19, v16, vcc_lo
	v_add_co_u32 v15, vcc_lo, v15, v21
	s_delay_alu instid0(VALU_DEP_2) | instskip(NEXT) | instid1(VALU_DEP_2)
	v_add_co_ci_u32_e32 v16, vcc_lo, v16, v22, vcc_lo
	v_add_co_u32 v11, vcc_lo, v15, v11
	s_delay_alu instid0(VALU_DEP_2)
	v_add_co_ci_u32_e32 v12, vcc_lo, v16, v12, vcc_lo
	global_load_b128 v[28:31], v[11:12], off
	s_waitcnt vmcnt(0)
	v_add_f64 v[19:20], v[19:20], v[28:29]
	v_add_f64 v[17:18], v[17:18], v[30:31]
	s_branch .LBB15_2
.LBB15_49:                              ;   in Loop: Header=BB15_4 Depth=1
	s_and_not1_saveexec_b32 s4, s4
	s_cbranch_execz .LBB15_27
.LBB15_50:                              ;   in Loop: Header=BB15_4 Depth=1
	v_sub_co_u32 v23, vcc_lo, v23, v21
	v_sub_co_ci_u32_e32 v24, vcc_lo, v24, v22, vcc_lo
	v_add_co_u32 v25, vcc_lo, s10, v5
	v_add_co_ci_u32_e32 v26, vcc_lo, s11, v6, vcc_lo
	s_and_not1_b32 s1, s1, exec_lo
	s_delay_alu instid0(VALU_DEP_2) | instskip(NEXT) | instid1(VALU_DEP_2)
	v_add_co_u32 v25, vcc_lo, v25, v23
	v_add_co_ci_u32_e32 v26, vcc_lo, v26, v24, vcc_lo
	s_delay_alu instid0(VALU_DEP_1) | instskip(SKIP_1) | instid1(VALU_DEP_1)
	v_cmp_lt_i64_e32 vcc_lo, -1, v[25:26]
	v_cmp_gt_i64_e64 s0, s[14:15], v[25:26]
	s_and_b32 s0, vcc_lo, s0
	s_delay_alu instid0(SALU_CYCLE_1) | instskip(NEXT) | instid1(SALU_CYCLE_1)
	s_and_b32 s0, s0, exec_lo
	s_or_b32 s1, s1, s0
	s_or_b32 exec_lo, exec_lo, s4
	s_and_saveexec_b32 s0, s1
	s_cbranch_execnz .LBB15_28
	s_branch .LBB15_29
.LBB15_51:                              ;   in Loop: Header=BB15_4 Depth=1
	s_and_not1_saveexec_b32 s4, s4
	s_cbranch_execz .LBB15_37
.LBB15_52:                              ;   in Loop: Header=BB15_4 Depth=1
	v_sub_co_u32 v23, vcc_lo, v23, v21
	v_sub_co_ci_u32_e32 v24, vcc_lo, v24, v22, vcc_lo
	v_add_co_u32 v25, vcc_lo, s10, v5
	v_add_co_ci_u32_e32 v26, vcc_lo, s11, v6, vcc_lo
	s_and_not1_b32 s1, s1, exec_lo
	s_delay_alu instid0(VALU_DEP_2) | instskip(NEXT) | instid1(VALU_DEP_2)
	v_add_co_u32 v25, vcc_lo, v25, v23
	v_add_co_ci_u32_e32 v26, vcc_lo, v26, v24, vcc_lo
	s_delay_alu instid0(VALU_DEP_1) | instskip(SKIP_1) | instid1(VALU_DEP_1)
	v_cmp_lt_i64_e32 vcc_lo, -1, v[25:26]
	v_cmp_gt_i64_e64 s0, s[14:15], v[25:26]
	s_and_b32 s0, vcc_lo, s0
	s_delay_alu instid0(SALU_CYCLE_1) | instskip(NEXT) | instid1(SALU_CYCLE_1)
	s_and_b32 s0, s0, exec_lo
	s_or_b32 s1, s1, s0
	s_or_b32 exec_lo, exec_lo, s4
	s_and_saveexec_b32 s0, s1
	s_cbranch_execnz .LBB15_38
	s_branch .LBB15_39
.LBB15_53:
	s_nop 0
	s_sendmsg sendmsg(MSG_DEALLOC_VGPRS)
	s_endpgm
	.section	.rodata,"a",@progbits
	.p2align	6, 0x0
	.amdhsa_kernel _ZN2at6native12_GLOBAL__N_140reflection_pad2d_backward_det_out_kernelIN3c107complexIdEEEEvPT_PKS6_lliiiiiii
		.amdhsa_group_segment_fixed_size 0
		.amdhsa_private_segment_fixed_size 0
		.amdhsa_kernarg_size 320
		.amdhsa_user_sgpr_count 15
		.amdhsa_user_sgpr_dispatch_ptr 0
		.amdhsa_user_sgpr_queue_ptr 0
		.amdhsa_user_sgpr_kernarg_segment_ptr 1
		.amdhsa_user_sgpr_dispatch_id 0
		.amdhsa_user_sgpr_private_segment_size 0
		.amdhsa_wavefront_size32 1
		.amdhsa_uses_dynamic_stack 0
		.amdhsa_enable_private_segment 0
		.amdhsa_system_sgpr_workgroup_id_x 1
		.amdhsa_system_sgpr_workgroup_id_y 0
		.amdhsa_system_sgpr_workgroup_id_z 0
		.amdhsa_system_sgpr_workgroup_info 0
		.amdhsa_system_vgpr_workitem_id 0
		.amdhsa_next_free_vgpr 38
		.amdhsa_next_free_sgpr 63
		.amdhsa_reserve_vcc 1
		.amdhsa_float_round_mode_32 0
		.amdhsa_float_round_mode_16_64 0
		.amdhsa_float_denorm_mode_32 3
		.amdhsa_float_denorm_mode_16_64 3
		.amdhsa_dx10_clamp 1
		.amdhsa_ieee_mode 1
		.amdhsa_fp16_overflow 0
		.amdhsa_workgroup_processor_mode 1
		.amdhsa_memory_ordered 1
		.amdhsa_forward_progress 0
		.amdhsa_shared_vgpr_count 0
		.amdhsa_exception_fp_ieee_invalid_op 0
		.amdhsa_exception_fp_denorm_src 0
		.amdhsa_exception_fp_ieee_div_zero 0
		.amdhsa_exception_fp_ieee_overflow 0
		.amdhsa_exception_fp_ieee_underflow 0
		.amdhsa_exception_fp_ieee_inexact 0
		.amdhsa_exception_int_div_zero 0
	.end_amdhsa_kernel
	.section	.text._ZN2at6native12_GLOBAL__N_140reflection_pad2d_backward_det_out_kernelIN3c107complexIdEEEEvPT_PKS6_lliiiiiii,"axG",@progbits,_ZN2at6native12_GLOBAL__N_140reflection_pad2d_backward_det_out_kernelIN3c107complexIdEEEEvPT_PKS6_lliiiiiii,comdat
.Lfunc_end15:
	.size	_ZN2at6native12_GLOBAL__N_140reflection_pad2d_backward_det_out_kernelIN3c107complexIdEEEEvPT_PKS6_lliiiiiii, .Lfunc_end15-_ZN2at6native12_GLOBAL__N_140reflection_pad2d_backward_det_out_kernelIN3c107complexIdEEEEvPT_PKS6_lliiiiiii
                                        ; -- End function
	.section	.AMDGPU.csdata,"",@progbits
; Kernel info:
; codeLenInByte = 7584
; NumSgprs: 65
; NumVgprs: 38
; ScratchSize: 0
; MemoryBound: 0
; FloatMode: 240
; IeeeMode: 1
; LDSByteSize: 0 bytes/workgroup (compile time only)
; SGPRBlocks: 8
; VGPRBlocks: 4
; NumSGPRsForWavesPerEU: 65
; NumVGPRsForWavesPerEU: 38
; Occupancy: 16
; WaveLimiterHint : 0
; COMPUTE_PGM_RSRC2:SCRATCH_EN: 0
; COMPUTE_PGM_RSRC2:USER_SGPR: 15
; COMPUTE_PGM_RSRC2:TRAP_HANDLER: 0
; COMPUTE_PGM_RSRC2:TGID_X_EN: 1
; COMPUTE_PGM_RSRC2:TGID_Y_EN: 0
; COMPUTE_PGM_RSRC2:TGID_Z_EN: 0
; COMPUTE_PGM_RSRC2:TIDIG_COMP_CNT: 0
	.section	.text._ZN2at6native12_GLOBAL__N_136reflection_pad2d_backward_out_kernelIN3c107complexIdEEEEvPT_PKS6_lliiiiiii,"axG",@progbits,_ZN2at6native12_GLOBAL__N_136reflection_pad2d_backward_out_kernelIN3c107complexIdEEEEvPT_PKS6_lliiiiiii,comdat
	.globl	_ZN2at6native12_GLOBAL__N_136reflection_pad2d_backward_out_kernelIN3c107complexIdEEEEvPT_PKS6_lliiiiiii ; -- Begin function _ZN2at6native12_GLOBAL__N_136reflection_pad2d_backward_out_kernelIN3c107complexIdEEEEvPT_PKS6_lliiiiiii
	.p2align	8
	.type	_ZN2at6native12_GLOBAL__N_136reflection_pad2d_backward_out_kernelIN3c107complexIdEEEEvPT_PKS6_lliiiiiii,@function
_ZN2at6native12_GLOBAL__N_136reflection_pad2d_backward_out_kernelIN3c107complexIdEEEEvPT_PKS6_lliiiiiii: ; @_ZN2at6native12_GLOBAL__N_136reflection_pad2d_backward_out_kernelIN3c107complexIdEEEEvPT_PKS6_lliiiiiii
; %bb.0:
	s_clause 0x2
	s_load_b32 s2, s[0:1], 0x4c
	s_load_b128 s[16:19], s[0:1], 0x20
	s_load_b256 s[4:11], s[0:1], 0x0
	s_waitcnt lgkmcnt(0)
	s_and_b32 s2, s2, 0xffff
	s_ashr_i32 s3, s18, 31
	s_add_u32 s27, s18, s8
	v_mad_u64_u32 v[1:2], null, s13, s2, v[0:1]
	s_addc_u32 s28, s3, s9
	s_ashr_i32 s2, s19, 31
	s_add_u32 s26, s27, s19
	s_addc_u32 s13, s28, s2
	s_ashr_i32 s21, s16, 31
	s_add_u32 s31, s16, s10
	;; [unrolled: 3-line block ×3, first 2 shown]
	s_addc_u32 s29, s33, s2
	s_mul_hi_u32 s2, s26, s30
	s_mul_i32 s12, s26, s29
	v_mov_b32_e32 v2, 0
	s_mul_i32 s17, s13, s30
	s_add_i32 s2, s2, s12
	s_mul_i32 s22, s26, s30
	s_add_i32 s23, s2, s17
	s_mov_b32 s12, exec_lo
	v_cmpx_gt_i64_e64 s[22:23], v[1:2]
	s_cbranch_execz .LBB16_8
; %bb.1:
	s_mov_b32 s2, s18
	s_mov_b32 s20, s16
	s_load_b128 s[16:19], s[0:1], 0x30
	s_mov_b32 s12, 0
	s_delay_alu instid0(SALU_CYCLE_1)
	s_cmp_lg_u64 s[12:13], 0
	s_cbranch_scc0 .LBB16_9
; %bb.2:
	s_ashr_i32 s22, s13, 31
	s_delay_alu instid0(SALU_CYCLE_1) | instskip(SKIP_2) | instid1(SALU_CYCLE_1)
	s_add_u32 s0, s26, s22
	s_mov_b32 s23, s22
	s_addc_u32 s1, s13, s22
	s_xor_b64 s[24:25], s[0:1], s[22:23]
	s_delay_alu instid0(SALU_CYCLE_1) | instskip(SKIP_3) | instid1(VALU_DEP_1)
	v_cvt_f32_u32_e32 v0, s24
	v_cvt_f32_u32_e32 v2, s25
	s_sub_u32 s0, 0, s24
	s_subb_u32 s1, 0, s25
	v_fmamk_f32 v0, v2, 0x4f800000, v0
	s_delay_alu instid0(VALU_DEP_1) | instskip(SKIP_2) | instid1(VALU_DEP_1)
	v_rcp_f32_e32 v0, v0
	s_waitcnt_depctr 0xfff
	v_mul_f32_e32 v0, 0x5f7ffffc, v0
	v_mul_f32_e32 v2, 0x2f800000, v0
	s_delay_alu instid0(VALU_DEP_1) | instskip(NEXT) | instid1(VALU_DEP_1)
	v_trunc_f32_e32 v2, v2
	v_fmamk_f32 v0, v2, 0xcf800000, v0
	v_cvt_u32_f32_e32 v2, v2
	s_delay_alu instid0(VALU_DEP_2) | instskip(NEXT) | instid1(VALU_DEP_2)
	v_cvt_u32_f32_e32 v0, v0
	v_mul_lo_u32 v3, s0, v2
	s_delay_alu instid0(VALU_DEP_2) | instskip(SKIP_1) | instid1(VALU_DEP_2)
	v_mul_hi_u32 v4, s0, v0
	v_mul_lo_u32 v5, s1, v0
	v_add_nc_u32_e32 v3, v4, v3
	v_mul_lo_u32 v4, s0, v0
	s_delay_alu instid0(VALU_DEP_2) | instskip(NEXT) | instid1(VALU_DEP_2)
	v_add_nc_u32_e32 v3, v3, v5
	v_mul_hi_u32 v5, v0, v4
	s_delay_alu instid0(VALU_DEP_2)
	v_mul_lo_u32 v6, v0, v3
	v_mul_hi_u32 v7, v0, v3
	v_mul_hi_u32 v8, v2, v4
	v_mul_lo_u32 v4, v2, v4
	v_mul_hi_u32 v9, v2, v3
	v_mul_lo_u32 v3, v2, v3
	v_add_co_u32 v5, vcc_lo, v5, v6
	v_add_co_ci_u32_e32 v6, vcc_lo, 0, v7, vcc_lo
	s_delay_alu instid0(VALU_DEP_2) | instskip(NEXT) | instid1(VALU_DEP_2)
	v_add_co_u32 v4, vcc_lo, v5, v4
	v_add_co_ci_u32_e32 v4, vcc_lo, v6, v8, vcc_lo
	v_add_co_ci_u32_e32 v5, vcc_lo, 0, v9, vcc_lo
	v_ashrrev_i32_e64 v8, 31, 0
	s_delay_alu instid0(VALU_DEP_3) | instskip(NEXT) | instid1(VALU_DEP_3)
	v_add_co_u32 v3, vcc_lo, v4, v3
	v_add_co_ci_u32_e32 v4, vcc_lo, 0, v5, vcc_lo
	s_delay_alu instid0(VALU_DEP_2) | instskip(NEXT) | instid1(VALU_DEP_2)
	v_add_co_u32 v0, vcc_lo, v0, v3
	v_add_co_ci_u32_e32 v2, vcc_lo, v2, v4, vcc_lo
	s_delay_alu instid0(VALU_DEP_2) | instskip(SKIP_1) | instid1(VALU_DEP_3)
	v_mul_hi_u32 v3, s0, v0
	v_mul_lo_u32 v5, s1, v0
	v_mul_lo_u32 v4, s0, v2
	s_delay_alu instid0(VALU_DEP_1) | instskip(SKIP_1) | instid1(VALU_DEP_2)
	v_add_nc_u32_e32 v3, v3, v4
	v_mul_lo_u32 v4, s0, v0
	v_add_nc_u32_e32 v3, v3, v5
	s_delay_alu instid0(VALU_DEP_2) | instskip(NEXT) | instid1(VALU_DEP_2)
	v_mul_hi_u32 v5, v0, v4
	v_mul_lo_u32 v6, v0, v3
	v_mul_hi_u32 v7, v0, v3
	v_mul_hi_u32 v9, v2, v4
	v_mul_lo_u32 v4, v2, v4
	v_mul_hi_u32 v10, v2, v3
	v_mul_lo_u32 v3, v2, v3
	v_add_co_u32 v5, vcc_lo, v5, v6
	v_add_co_ci_u32_e32 v6, vcc_lo, 0, v7, vcc_lo
	s_delay_alu instid0(VALU_DEP_2) | instskip(NEXT) | instid1(VALU_DEP_2)
	v_add_co_u32 v4, vcc_lo, v5, v4
	v_add_co_ci_u32_e32 v4, vcc_lo, v6, v9, vcc_lo
	v_add_co_ci_u32_e32 v5, vcc_lo, 0, v10, vcc_lo
	v_add_co_u32 v6, vcc_lo, v1, v8
	v_add_co_ci_u32_e32 v7, vcc_lo, 0, v8, vcc_lo
	s_delay_alu instid0(VALU_DEP_4) | instskip(NEXT) | instid1(VALU_DEP_4)
	v_add_co_u32 v3, vcc_lo, v4, v3
	v_add_co_ci_u32_e32 v4, vcc_lo, 0, v5, vcc_lo
	s_delay_alu instid0(VALU_DEP_4) | instskip(NEXT) | instid1(VALU_DEP_3)
	v_xor_b32_e32 v9, v6, v8
	v_add_co_u32 v0, vcc_lo, v0, v3
	s_delay_alu instid0(VALU_DEP_3) | instskip(SKIP_1) | instid1(VALU_DEP_3)
	v_add_co_ci_u32_e32 v10, vcc_lo, v2, v4, vcc_lo
	v_xor_b32_e32 v11, v7, v8
	v_mul_hi_u32 v12, v9, v0
	s_delay_alu instid0(VALU_DEP_3) | instskip(NEXT) | instid1(VALU_DEP_3)
	v_mad_u64_u32 v[2:3], null, v9, v10, 0
	v_mad_u64_u32 v[4:5], null, v11, v0, 0
	;; [unrolled: 1-line block ×3, first 2 shown]
	s_delay_alu instid0(VALU_DEP_3) | instskip(NEXT) | instid1(VALU_DEP_4)
	v_add_co_u32 v0, vcc_lo, v12, v2
	v_add_co_ci_u32_e32 v2, vcc_lo, 0, v3, vcc_lo
	s_delay_alu instid0(VALU_DEP_2) | instskip(NEXT) | instid1(VALU_DEP_2)
	v_add_co_u32 v0, vcc_lo, v0, v4
	v_add_co_ci_u32_e32 v0, vcc_lo, v2, v5, vcc_lo
	v_add_co_ci_u32_e32 v2, vcc_lo, 0, v7, vcc_lo
	s_delay_alu instid0(VALU_DEP_2) | instskip(NEXT) | instid1(VALU_DEP_2)
	v_add_co_u32 v0, vcc_lo, v0, v6
	v_add_co_ci_u32_e32 v4, vcc_lo, 0, v2, vcc_lo
	s_delay_alu instid0(VALU_DEP_2) | instskip(SKIP_1) | instid1(VALU_DEP_3)
	v_mul_lo_u32 v5, s25, v0
	v_mad_u64_u32 v[2:3], null, s24, v0, 0
	v_mul_lo_u32 v6, s24, v4
	s_delay_alu instid0(VALU_DEP_2) | instskip(NEXT) | instid1(VALU_DEP_2)
	v_sub_co_u32 v2, vcc_lo, v9, v2
	v_add3_u32 v3, v3, v6, v5
	s_delay_alu instid0(VALU_DEP_1) | instskip(NEXT) | instid1(VALU_DEP_1)
	v_sub_nc_u32_e32 v5, v11, v3
	v_subrev_co_ci_u32_e64 v5, s0, s25, v5, vcc_lo
	v_add_co_u32 v6, s0, v0, 2
	s_delay_alu instid0(VALU_DEP_1) | instskip(SKIP_3) | instid1(VALU_DEP_3)
	v_add_co_ci_u32_e64 v7, s0, 0, v4, s0
	v_sub_co_u32 v9, s0, v2, s24
	v_sub_co_ci_u32_e32 v3, vcc_lo, v11, v3, vcc_lo
	v_subrev_co_ci_u32_e64 v5, s0, 0, v5, s0
	v_cmp_le_u32_e32 vcc_lo, s24, v9
	s_delay_alu instid0(VALU_DEP_3) | instskip(SKIP_1) | instid1(VALU_DEP_4)
	v_cmp_eq_u32_e64 s0, s25, v3
	v_cndmask_b32_e64 v9, 0, -1, vcc_lo
	v_cmp_le_u32_e32 vcc_lo, s25, v5
	v_cndmask_b32_e64 v10, 0, -1, vcc_lo
	v_cmp_le_u32_e32 vcc_lo, s24, v2
	;; [unrolled: 2-line block ×3, first 2 shown]
	v_cndmask_b32_e64 v11, 0, -1, vcc_lo
	v_cmp_eq_u32_e32 vcc_lo, s25, v5
	s_delay_alu instid0(VALU_DEP_2) | instskip(SKIP_3) | instid1(VALU_DEP_3)
	v_cndmask_b32_e64 v2, v11, v2, s0
	v_cndmask_b32_e32 v5, v10, v9, vcc_lo
	v_add_co_u32 v9, vcc_lo, v0, 1
	v_add_co_ci_u32_e32 v10, vcc_lo, 0, v4, vcc_lo
	v_cmp_ne_u32_e32 vcc_lo, 0, v5
	s_delay_alu instid0(VALU_DEP_3) | instskip(NEXT) | instid1(VALU_DEP_3)
	v_cndmask_b32_e32 v5, v9, v6, vcc_lo
	v_cndmask_b32_e32 v3, v10, v7, vcc_lo
	v_cmp_ne_u32_e32 vcc_lo, 0, v2
	v_xor_b32_e32 v6, s22, v8
	s_delay_alu instid0(VALU_DEP_4) | instskip(NEXT) | instid1(VALU_DEP_4)
	v_cndmask_b32_e32 v0, v0, v5, vcc_lo
	v_cndmask_b32_e32 v2, v4, v3, vcc_lo
	s_delay_alu instid0(VALU_DEP_2) | instskip(NEXT) | instid1(VALU_DEP_2)
	v_xor_b32_e32 v0, v0, v6
	v_xor_b32_e32 v3, v2, v6
	s_delay_alu instid0(VALU_DEP_2) | instskip(NEXT) | instid1(VALU_DEP_2)
	v_sub_co_u32 v2, vcc_lo, v0, v6
	v_sub_co_ci_u32_e32 v3, vcc_lo, v3, v6, vcc_lo
	s_and_not1_b32 vcc_lo, exec_lo, s12
	s_cbranch_vccnz .LBB16_4
.LBB16_3:
	v_cvt_f32_u32_e32 v0, s26
	s_sub_i32 s0, 0, s26
	s_delay_alu instid0(VALU_DEP_1) | instskip(SKIP_2) | instid1(VALU_DEP_1)
	v_rcp_iflag_f32_e32 v0, v0
	s_waitcnt_depctr 0xfff
	v_mul_f32_e32 v0, 0x4f7ffffe, v0
	v_cvt_u32_f32_e32 v0, v0
	s_delay_alu instid0(VALU_DEP_1) | instskip(NEXT) | instid1(VALU_DEP_1)
	v_mul_lo_u32 v2, s0, v0
	v_mul_hi_u32 v2, v0, v2
	s_delay_alu instid0(VALU_DEP_1) | instskip(NEXT) | instid1(VALU_DEP_1)
	v_add_nc_u32_e32 v0, v0, v2
	v_mul_hi_u32 v0, v1, v0
	s_delay_alu instid0(VALU_DEP_1) | instskip(SKIP_1) | instid1(VALU_DEP_2)
	v_mul_lo_u32 v2, v0, s26
	v_add_nc_u32_e32 v3, 1, v0
	v_sub_nc_u32_e32 v2, v1, v2
	s_delay_alu instid0(VALU_DEP_1) | instskip(SKIP_1) | instid1(VALU_DEP_2)
	v_subrev_nc_u32_e32 v4, s26, v2
	v_cmp_le_u32_e32 vcc_lo, s26, v2
	v_cndmask_b32_e32 v2, v2, v4, vcc_lo
	v_cndmask_b32_e32 v0, v0, v3, vcc_lo
	s_delay_alu instid0(VALU_DEP_2) | instskip(NEXT) | instid1(VALU_DEP_2)
	v_cmp_le_u32_e32 vcc_lo, s26, v2
	v_add_nc_u32_e32 v3, 1, v0
	s_delay_alu instid0(VALU_DEP_1)
	v_dual_cndmask_b32 v2, v0, v3 :: v_dual_mov_b32 v3, 0
.LBB16_4:
	s_delay_alu instid0(VALU_DEP_1) | instskip(NEXT) | instid1(VALU_DEP_2)
	v_mul_lo_u32 v0, v3, s26
	v_mul_lo_u32 v6, v2, s13
	v_mad_u64_u32 v[4:5], null, v2, s26, 0
	s_sub_u32 s0, 0, s20
	s_subb_u32 s1, 0, s21
	s_sub_u32 s22, 0, s2
	s_subb_u32 s23, 0, s3
	s_waitcnt lgkmcnt(0)
	s_add_i32 s12, s15, s17
	s_add_i32 s14, s14, s16
	v_add3_u32 v5, v5, v6, v0
	v_sub_co_u32 v0, vcc_lo, v1, v4
	s_mul_i32 s12, s12, s18
	s_delay_alu instid0(VALU_DEP_2) | instskip(NEXT) | instid1(VALU_DEP_2)
	v_sub_co_ci_u32_e32 v1, vcc_lo, 0, v5, vcc_lo
	v_sub_co_u32 v4, vcc_lo, v0, s2
	s_add_i32 s12, s14, s12
	s_delay_alu instid0(VALU_DEP_2) | instskip(SKIP_2) | instid1(VALU_DEP_3)
	v_subrev_co_ci_u32_e32 v5, vcc_lo, s3, v1, vcc_lo
	v_sub_co_u32 v6, vcc_lo, v0, s27
	v_subrev_co_ci_u32_e32 v7, vcc_lo, s28, v1, vcc_lo
	v_ashrrev_i32_e32 v10, 31, v5
	s_delay_alu instid0(VALU_DEP_3) | instskip(NEXT) | instid1(VALU_DEP_3)
	v_add_co_u32 v6, vcc_lo, v6, 1
	v_add_co_ci_u32_e32 v7, vcc_lo, 0, v7, vcc_lo
	v_sub_co_u32 v8, vcc_lo, v2, s31
	v_subrev_co_ci_u32_e32 v9, vcc_lo, s33, v3, vcc_lo
	v_sub_co_u32 v11, vcc_lo, v2, s20
	v_subrev_co_ci_u32_e32 v12, vcc_lo, s21, v3, vcc_lo
	s_mul_i32 s11, s12, s11
	s_mul_hi_u32 s14, s12, s10
	v_add_co_u32 v8, vcc_lo, v8, 1
	s_mul_i32 s15, s12, s10
	v_cmp_gt_i64_e64 s10, s[22:23], 0
	s_add_i32 s14, s14, s11
	v_cmp_gt_i64_e64 s11, s[0:1], 0
	v_add_co_ci_u32_e32 v9, vcc_lo, 0, v9, vcc_lo
	v_xor_b32_e32 v14, v5, v10
	v_ashrrev_i32_e32 v5, 31, v12
	s_and_b32 s10, s10, exec_lo
	v_xor_b32_e32 v15, v4, v10
	v_ashrrev_i32_e32 v4, 31, v9
	s_cselect_b32 s16, s23, 0
	v_cmp_gt_i64_e64 s10, s[2:3], 0
	s_cselect_b32 s17, s22, 0
	s_and_b32 s11, s11, exec_lo
	v_cmp_gt_i64_e64 s11, s[20:21], 0
	v_xor_b32_e32 v11, v11, v5
	v_xor_b32_e32 v12, v12, v5
	;; [unrolled: 1-line block ×3, first 2 shown]
	s_cselect_b32 s18, s1, 0
	s_cselect_b32 s19, s0, 0
	s_and_b32 s0, s10, exec_lo
	v_xor_b32_e32 v9, v9, v4
	v_sub_co_u32 v11, vcc_lo, v11, v5
	s_cselect_b32 s1, s3, 0
	s_cselect_b32 s0, s2, 0
	s_and_b32 s10, s11, exec_lo
	s_cselect_b32 s11, s21, 0
	s_cselect_b32 s10, s20, 0
	v_sub_co_ci_u32_e32 v5, vcc_lo, v12, v5, vcc_lo
	v_sub_co_u32 v8, vcc_lo, v8, v4
	s_not_b64 s[0:1], s[0:1]
	s_not_b64 s[10:11], s[10:11]
	v_sub_co_ci_u32_e32 v4, vcc_lo, v9, v4, vcc_lo
	s_add_u32 s20, s31, s20
	s_addc_u32 s21, s33, s21
	s_add_u32 s10, s20, s10
	s_addc_u32 s11, s21, s11
	v_add_co_u32 v8, vcc_lo, v2, v8
	s_add_u32 s10, s10, s19
	s_addc_u32 s11, s11, s18
	v_add_co_ci_u32_e32 v4, vcc_lo, v3, v4, vcc_lo
	s_add_u32 s10, s10, s15
	s_addc_u32 s11, s11, s14
	v_sub_co_u32 v8, vcc_lo, s10, v8
	v_ashrrev_i32_e32 v13, 31, v7
	v_sub_co_ci_u32_e32 v4, vcc_lo, s11, v4, vcc_lo
	s_delay_alu instid0(VALU_DEP_3) | instskip(NEXT) | instid1(VALU_DEP_3)
	v_add_co_u32 v8, vcc_lo, v8, v11
	v_xor_b32_e32 v6, v6, v13
	s_delay_alu instid0(VALU_DEP_3) | instskip(SKIP_2) | instid1(VALU_DEP_4)
	v_add_co_ci_u32_e32 v9, vcc_lo, v4, v5, vcc_lo
	v_mad_u64_u32 v[4:5], null, s30, s12, v[2:3]
	v_xor_b32_e32 v7, v7, v13
	v_sub_co_u32 v11, vcc_lo, v6, v13
	s_add_u32 s2, s27, s2
	s_addc_u32 s3, s28, s3
	s_delay_alu instid0(VALU_DEP_2) | instskip(NEXT) | instid1(VALU_DEP_4)
	v_sub_co_ci_u32_e32 v12, vcc_lo, v7, v13, vcc_lo
	v_mad_u64_u32 v[6:7], null, s29, s12, v[5:6]
	v_add_co_u32 v5, vcc_lo, v0, v11
	s_add_u32 s0, s2, s0
	v_mul_lo_u32 v16, v8, s9
	v_mad_u64_u32 v[2:3], null, v8, s8, 0
	s_addc_u32 s1, s3, s1
	v_add_co_ci_u32_e32 v8, vcc_lo, v1, v12, vcc_lo
	s_add_u32 s0, s0, s17
	s_addc_u32 s1, s1, s16
	v_sub_co_u32 v7, vcc_lo, s0, v5
	s_delay_alu instid0(VALU_DEP_2)
	v_sub_co_ci_u32_e32 v8, vcc_lo, s1, v8, vcc_lo
	v_mul_lo_u32 v11, v6, s26
	v_mul_lo_u32 v12, v4, s13
	v_mad_u64_u32 v[5:6], null, v4, s26, 0
	v_mul_lo_u32 v13, v9, s8
	v_sub_co_u32 v9, vcc_lo, v15, v10
	v_sub_co_ci_u32_e32 v10, vcc_lo, v14, v10, vcc_lo
	v_lshlrev_b64 v[7:8], 4, v[7:8]
	v_add3_u32 v6, v6, v12, v11
	v_lshlrev_b64 v[0:1], 4, v[0:1]
	s_delay_alu instid0(VALU_DEP_4)
	v_lshlrev_b64 v[9:10], 4, v[9:10]
	v_add3_u32 v3, v3, v16, v13
	s_mov_b32 s0, 0
	v_add_co_u32 v7, vcc_lo, s4, v7
	v_add_co_ci_u32_e32 v8, vcc_lo, s5, v8, vcc_lo
	v_lshlrev_b64 v[4:5], 4, v[5:6]
	s_delay_alu instid0(VALU_DEP_3) | instskip(NEXT) | instid1(VALU_DEP_3)
	v_add_co_u32 v6, vcc_lo, v7, v9
	v_add_co_ci_u32_e32 v7, vcc_lo, v8, v10, vcc_lo
	v_lshlrev_b64 v[2:3], 4, v[2:3]
	s_delay_alu instid0(VALU_DEP_4) | instskip(SKIP_1) | instid1(VALU_DEP_2)
	v_add_co_u32 v4, vcc_lo, s6, v4
	v_add_co_ci_u32_e32 v5, vcc_lo, s7, v5, vcc_lo
	v_add_co_u32 v0, vcc_lo, v4, v0
	s_delay_alu instid0(VALU_DEP_2)
	v_add_co_ci_u32_e32 v1, vcc_lo, v5, v1, vcc_lo
	v_add_co_u32 v8, vcc_lo, v6, v2
	v_add_co_ci_u32_e32 v9, vcc_lo, v7, v3, vcc_lo
	global_load_b128 v[0:3], v[0:1], off
	global_load_b64 v[6:7], v[8:9], off
.LBB16_5:                               ; =>This Inner Loop Header: Depth=1
	s_waitcnt vmcnt(0)
	v_add_f64 v[4:5], v[6:7], v[0:1]
	global_atomic_cmpswap_b64 v[4:5], v[8:9], v[4:7], off glc
	s_waitcnt vmcnt(0)
	v_cmp_eq_u64_e32 vcc_lo, v[4:5], v[6:7]
	v_dual_mov_b32 v7, v5 :: v_dual_mov_b32 v6, v4
	s_or_b32 s0, vcc_lo, s0
	s_delay_alu instid0(SALU_CYCLE_1)
	s_and_not1_b32 exec_lo, exec_lo, s0
	s_cbranch_execnz .LBB16_5
; %bb.6:
	s_or_b32 exec_lo, exec_lo, s0
	global_load_b64 v[6:7], v[8:9], off offset:8
	s_mov_b32 s0, 0
.LBB16_7:                               ; =>This Inner Loop Header: Depth=1
	s_waitcnt vmcnt(0)
	v_add_f64 v[4:5], v[6:7], v[2:3]
	global_atomic_cmpswap_b64 v[0:1], v[8:9], v[4:7], off offset:8 glc
	s_waitcnt vmcnt(0)
	v_cmp_eq_u64_e32 vcc_lo, v[0:1], v[6:7]
	v_dual_mov_b32 v7, v1 :: v_dual_mov_b32 v6, v0
	s_or_b32 s0, vcc_lo, s0
	s_delay_alu instid0(SALU_CYCLE_1)
	s_and_not1_b32 exec_lo, exec_lo, s0
	s_cbranch_execnz .LBB16_7
.LBB16_8:
	s_endpgm
.LBB16_9:
                                        ; implicit-def: $vgpr2_vgpr3
	s_branch .LBB16_3
	.section	.rodata,"a",@progbits
	.p2align	6, 0x0
	.amdhsa_kernel _ZN2at6native12_GLOBAL__N_136reflection_pad2d_backward_out_kernelIN3c107complexIdEEEEvPT_PKS6_lliiiiiii
		.amdhsa_group_segment_fixed_size 0
		.amdhsa_private_segment_fixed_size 0
		.amdhsa_kernarg_size 320
		.amdhsa_user_sgpr_count 13
		.amdhsa_user_sgpr_dispatch_ptr 0
		.amdhsa_user_sgpr_queue_ptr 0
		.amdhsa_user_sgpr_kernarg_segment_ptr 1
		.amdhsa_user_sgpr_dispatch_id 0
		.amdhsa_user_sgpr_private_segment_size 0
		.amdhsa_wavefront_size32 1
		.amdhsa_uses_dynamic_stack 0
		.amdhsa_enable_private_segment 0
		.amdhsa_system_sgpr_workgroup_id_x 1
		.amdhsa_system_sgpr_workgroup_id_y 1
		.amdhsa_system_sgpr_workgroup_id_z 1
		.amdhsa_system_sgpr_workgroup_info 0
		.amdhsa_system_vgpr_workitem_id 0
		.amdhsa_next_free_vgpr 17
		.amdhsa_next_free_sgpr 34
		.amdhsa_reserve_vcc 1
		.amdhsa_float_round_mode_32 0
		.amdhsa_float_round_mode_16_64 0
		.amdhsa_float_denorm_mode_32 3
		.amdhsa_float_denorm_mode_16_64 3
		.amdhsa_dx10_clamp 1
		.amdhsa_ieee_mode 1
		.amdhsa_fp16_overflow 0
		.amdhsa_workgroup_processor_mode 1
		.amdhsa_memory_ordered 1
		.amdhsa_forward_progress 0
		.amdhsa_shared_vgpr_count 0
		.amdhsa_exception_fp_ieee_invalid_op 0
		.amdhsa_exception_fp_denorm_src 0
		.amdhsa_exception_fp_ieee_div_zero 0
		.amdhsa_exception_fp_ieee_overflow 0
		.amdhsa_exception_fp_ieee_underflow 0
		.amdhsa_exception_fp_ieee_inexact 0
		.amdhsa_exception_int_div_zero 0
	.end_amdhsa_kernel
	.section	.text._ZN2at6native12_GLOBAL__N_136reflection_pad2d_backward_out_kernelIN3c107complexIdEEEEvPT_PKS6_lliiiiiii,"axG",@progbits,_ZN2at6native12_GLOBAL__N_136reflection_pad2d_backward_out_kernelIN3c107complexIdEEEEvPT_PKS6_lliiiiiii,comdat
.Lfunc_end16:
	.size	_ZN2at6native12_GLOBAL__N_136reflection_pad2d_backward_out_kernelIN3c107complexIdEEEEvPT_PKS6_lliiiiiii, .Lfunc_end16-_ZN2at6native12_GLOBAL__N_136reflection_pad2d_backward_out_kernelIN3c107complexIdEEEEvPT_PKS6_lliiiiiii
                                        ; -- End function
	.section	.AMDGPU.csdata,"",@progbits
; Kernel info:
; codeLenInByte = 1988
; NumSgprs: 36
; NumVgprs: 17
; ScratchSize: 0
; MemoryBound: 0
; FloatMode: 240
; IeeeMode: 1
; LDSByteSize: 0 bytes/workgroup (compile time only)
; SGPRBlocks: 4
; VGPRBlocks: 2
; NumSGPRsForWavesPerEU: 36
; NumVGPRsForWavesPerEU: 17
; Occupancy: 16
; WaveLimiterHint : 0
; COMPUTE_PGM_RSRC2:SCRATCH_EN: 0
; COMPUTE_PGM_RSRC2:USER_SGPR: 13
; COMPUTE_PGM_RSRC2:TRAP_HANDLER: 0
; COMPUTE_PGM_RSRC2:TGID_X_EN: 1
; COMPUTE_PGM_RSRC2:TGID_Y_EN: 1
; COMPUTE_PGM_RSRC2:TGID_Z_EN: 1
; COMPUTE_PGM_RSRC2:TIDIG_COMP_CNT: 0
	.section	.text._ZN2at6native12_GLOBAL__N_140reflection_pad2d_backward_det_out_kernelIN3c107complexIfEEEEvPT_PKS6_lliiiiiii,"axG",@progbits,_ZN2at6native12_GLOBAL__N_140reflection_pad2d_backward_det_out_kernelIN3c107complexIfEEEEvPT_PKS6_lliiiiiii,comdat
	.globl	_ZN2at6native12_GLOBAL__N_140reflection_pad2d_backward_det_out_kernelIN3c107complexIfEEEEvPT_PKS6_lliiiiiii ; -- Begin function _ZN2at6native12_GLOBAL__N_140reflection_pad2d_backward_det_out_kernelIN3c107complexIfEEEEvPT_PKS6_lliiiiiii
	.p2align	8
	.type	_ZN2at6native12_GLOBAL__N_140reflection_pad2d_backward_det_out_kernelIN3c107complexIfEEEEvPT_PKS6_lliiiiiii,@function
_ZN2at6native12_GLOBAL__N_140reflection_pad2d_backward_det_out_kernelIN3c107complexIfEEEEvPT_PKS6_lliiiiiii: ; @_ZN2at6native12_GLOBAL__N_140reflection_pad2d_backward_det_out_kernelIN3c107complexIfEEEEvPT_PKS6_lliiiiiii
; %bb.0:
	s_clause 0x2
	s_load_b32 s6, s[0:1], 0x4c
	s_load_b64 s[2:3], s[0:1], 0x30
	s_load_b256 s[16:23], s[0:1], 0x0
	v_mov_b32_e32 v1, 0
	s_add_u32 s4, s0, 64
	s_addc_u32 s5, s1, 0
	s_waitcnt lgkmcnt(0)
	s_and_b32 s34, s6, 0xffff
	s_ashr_i32 s6, s2, 31
	s_mul_i32 s8, s22, s21
	s_mul_hi_u32 s9, s22, s20
	s_mul_i32 s10, s23, s20
	s_mul_i32 s33, s22, s20
	s_add_i32 s42, s9, s8
	s_mul_i32 s6, s33, s6
	s_mul_hi_u32 s8, s33, s2
	s_add_i32 s42, s42, s10
	s_ashr_i32 s7, s3, 31
	v_mad_u64_u32 v[3:4], null, s15, s34, v[0:1]
	s_mul_i32 s11, s33, s2
	s_add_i32 s6, s8, s6
	s_mul_i32 s2, s42, s2
	s_mul_i32 s8, s11, s7
	s_mul_hi_u32 s9, s11, s3
	s_add_i32 s2, s6, s2
	v_mov_b32_e32 v4, v1
	s_add_i32 s6, s9, s8
	s_mul_i32 s2, s2, s3
	s_mul_i32 s8, s11, s3
	s_add_i32 s9, s6, s2
	s_mov_b32 s2, exec_lo
	v_cmpx_gt_i64_e64 s[8:9], v[3:4]
	s_cbranch_execz .LBB17_53
; %bb.1:
	s_mov_b32 s6, s3
	s_load_b128 s[0:3], s[0:1], 0x20
	s_load_b32 s36, s[4:5], 0x0
	s_mul_i32 s14, s33, s7
	s_mul_hi_u32 s15, s33, s6
	s_mul_i32 s24, s42, s6
	s_mul_i32 s43, s33, s6
	v_lshlrev_b64 v[7:8], 3, v[3:4]
	v_cvt_f32_u32_e32 v0, s43
	s_mov_b32 s61, 0
	s_delay_alu instid0(VALU_DEP_1) | instskip(NEXT) | instid1(VALU_DEP_2)
	v_rcp_iflag_f32_e32 v0, v0
	v_or_b32_e32 v7, 4, v7
	s_waitcnt lgkmcnt(0)
	s_ashr_i32 s11, s2, 31
	s_add_u32 s37, s2, s20
	s_addc_u32 s38, s11, s21
	s_ashr_i32 s5, s3, 31
	s_add_u32 s44, s37, s3
	s_addc_u32 s45, s38, s5
	s_ashr_i32 s13, s0, 31
	s_mov_b32 s4, s3
	s_add_u32 s3, s0, s22
	s_addc_u32 s25, s13, s23
	s_ashr_i32 s27, s1, 31
	s_mov_b32 s26, s1
	s_add_u32 s1, s3, s1
	s_addc_u32 s3, s25, s27
	s_add_i32 s15, s15, s14
	s_mul_hi_u32 s25, s44, s1
	s_mul_i32 s28, s45, s1
	s_mul_i32 s14, s44, s1
	;; [unrolled: 1-line block ×3, first 2 shown]
	s_add_i32 s46, s15, s24
	s_add_i32 s1, s25, s1
	s_mul_i32 s3, s14, s7
	s_add_i32 s15, s1, s28
	s_add_u32 s24, s22, -1
	s_addc_u32 s25, s23, -1
	s_not_b64 s[26:27], s[26:27]
	s_mul_hi_u32 s1, s14, s6
	s_add_u32 s26, s26, s22
	s_addc_u32 s27, s27, s23
	s_add_u32 s28, s20, -1
	s_addc_u32 s29, s21, -1
	s_not_b64 s[4:5], s[4:5]
	s_mul_i32 s39, s15, s6
	s_add_u32 s30, s4, s20
	s_addc_u32 s31, s5, s21
	s_add_i32 s1, s1, s3
	s_mov_b32 s12, s0
	s_add_i32 s47, s1, s39
	s_add_u32 s1, s20, s37
	s_addc_u32 s3, s21, s38
	s_add_u32 s48, s1, -2
	s_addc_u32 s49, s3, -1
	s_lshl_b64 s[4:5], s[24:25], 1
	s_waitcnt_depctr 0xfff
	v_mul_f32_e32 v0, 0x4f7ffffe, v0
	s_add_u32 s50, s4, s0
	s_addc_u32 s51, s5, s13
	s_lshl_b64 s[0:1], s[28:29], 1
	s_mov_b32 s10, s2
	s_add_u32 s53, s0, s2
	s_addc_u32 s54, s1, s11
	v_sub_co_u32 v5, s0, 0, v3
	s_sub_u32 s55, 0, s22
	s_subb_u32 s56, 0, s23
	v_sub_co_ci_u32_e64 v6, null, 0, 0, s0
	s_lshl_b64 s[0:1], s[10:11], 3
	s_mul_hi_u32 s35, s34, s36
	s_mul_i32 s34, s34, s36
	s_lshl_b64 s[36:37], s[6:7], 3
	s_lshl_b64 s[38:39], s[20:21], 3
	s_add_u32 s57, s18, s0
	v_cvt_u32_f32_e32 v0, v0
	s_addc_u32 s58, s19, s1
	s_lshl_b64 s[40:41], s[34:35], 3
	s_sub_u32 s59, 0, s33
	s_mul_i32 s52, s14, s6
	s_subb_u32 s60, 0, s42
	s_branch .LBB17_4
.LBB17_2:                               ;   in Loop: Header=BB17_4 Depth=1
	s_or_b32 exec_lo, exec_lo, s0
.LBB17_3:                               ;   in Loop: Header=BB17_4 Depth=1
	s_delay_alu instid0(SALU_CYCLE_1)
	s_or_b32 exec_lo, exec_lo, s1
	v_lshlrev_b64 v[11:12], 3, v[13:14]
	v_mul_lo_u32 v10, s36, v10
	v_mul_lo_u32 v17, s37, v9
	;; [unrolled: 1-line block ×4, first 2 shown]
	v_mad_u64_u32 v[13:14], null, s38, v2, 0
	v_mad_u64_u32 v[15:16], null, s36, v9, v[11:12]
	v_lshlrev_b64 v[11:12], 3, v[19:20]
	s_delay_alu instid0(VALU_DEP_3) | instskip(NEXT) | instid1(VALU_DEP_3)
	v_add3_u32 v14, v14, v21, v18
	v_add3_u32 v2, v17, v16, v10
	s_delay_alu instid0(VALU_DEP_2) | instskip(SKIP_1) | instid1(VALU_DEP_3)
	v_mad_u64_u32 v[9:10], null, s14, v15, v[13:14]
	v_mul_lo_u32 v13, s15, v15
	v_mul_lo_u32 v2, s14, v2
	s_delay_alu instid0(VALU_DEP_3) | instskip(NEXT) | instid1(VALU_DEP_2)
	v_add_co_u32 v9, vcc_lo, v9, v11
	v_add3_u32 v2, v13, v10, v2
	s_delay_alu instid0(VALU_DEP_1) | instskip(NEXT) | instid1(VALU_DEP_3)
	v_add_co_ci_u32_e32 v2, vcc_lo, v2, v12, vcc_lo
	v_add_co_u32 v9, vcc_lo, v7, v9
	s_delay_alu instid0(VALU_DEP_2) | instskip(NEXT) | instid1(VALU_DEP_2)
	v_add_co_ci_u32_e32 v2, vcc_lo, v8, v2, vcc_lo
	v_add_co_u32 v9, vcc_lo, s57, v9
	s_delay_alu instid0(VALU_DEP_2)
	v_add_co_ci_u32_e32 v10, vcc_lo, s58, v2, vcc_lo
	v_add_co_u32 v11, vcc_lo, s16, v7
	v_add_co_ci_u32_e32 v12, vcc_lo, s17, v8, vcc_lo
	global_load_b64 v[9:10], v[9:10], off offset:-4
	v_add_co_u32 v3, vcc_lo, v3, s34
	global_load_b64 v[13:14], v[11:12], off offset:-4
	v_add_co_ci_u32_e32 v4, vcc_lo, s35, v4, vcc_lo
	v_sub_co_u32 v5, vcc_lo, v5, s34
	v_subrev_co_ci_u32_e32 v6, vcc_lo, s35, v6, vcc_lo
	s_delay_alu instid0(VALU_DEP_3) | instskip(SKIP_1) | instid1(VALU_DEP_1)
	v_cmp_le_i64_e32 vcc_lo, s[8:9], v[3:4]
	v_add_co_u32 v7, s0, v7, s40
	v_add_co_ci_u32_e64 v8, s0, s41, v8, s0
	s_or_b32 s61, vcc_lo, s61
	s_waitcnt vmcnt(1)
	v_add_f32_e32 v2, v25, v9
	s_waitcnt vmcnt(0)
	s_delay_alu instid0(VALU_DEP_1) | instskip(NEXT) | instid1(VALU_DEP_1)
	v_dual_add_f32 v10, v24, v10 :: v_dual_add_f32 v9, v2, v13
	v_add_f32_e32 v10, v10, v14
	global_store_b64 v[11:12], v[9:10], off offset:-4
	s_and_not1_b32 exec_lo, exec_lo, s61
	s_cbranch_execz .LBB17_53
.LBB17_4:                               ; =>This Inner Loop Header: Depth=1
	v_or_b32_e32 v2, s46, v4
	v_ashrrev_i32_e32 v13, 31, v4
                                        ; implicit-def: $vgpr9_vgpr10
	s_mov_b32 s0, exec_lo
	s_delay_alu instid0(VALU_DEP_2)
	v_cmpx_ne_u64_e32 0, v[1:2]
	s_xor_b32 s1, exec_lo, s0
	s_cbranch_execz .LBB17_6
; %bb.5:                                ;   in Loop: Header=BB17_4 Depth=1
	s_ashr_i32 s2, s46, 31
	s_delay_alu instid0(SALU_CYCLE_1) | instskip(SKIP_2) | instid1(SALU_CYCLE_1)
	s_add_u32 s4, s43, s2
	s_mov_b32 s3, s2
	s_addc_u32 s5, s46, s2
	s_xor_b64 s[4:5], s[4:5], s[2:3]
	s_delay_alu instid0(SALU_CYCLE_1) | instskip(SKIP_3) | instid1(VALU_DEP_1)
	v_cvt_f32_u32_e32 v2, s4
	v_cvt_f32_u32_e32 v9, s5
	s_sub_u32 s0, 0, s4
	s_subb_u32 s3, 0, s5
	v_fmac_f32_e32 v2, 0x4f800000, v9
	s_delay_alu instid0(VALU_DEP_1) | instskip(SKIP_2) | instid1(VALU_DEP_1)
	v_rcp_f32_e32 v2, v2
	s_waitcnt_depctr 0xfff
	v_mul_f32_e32 v2, 0x5f7ffffc, v2
	v_mul_f32_e32 v9, 0x2f800000, v2
	s_delay_alu instid0(VALU_DEP_1) | instskip(NEXT) | instid1(VALU_DEP_1)
	v_trunc_f32_e32 v9, v9
	v_fmac_f32_e32 v2, 0xcf800000, v9
	v_cvt_u32_f32_e32 v9, v9
	s_delay_alu instid0(VALU_DEP_2) | instskip(NEXT) | instid1(VALU_DEP_2)
	v_cvt_u32_f32_e32 v2, v2
	v_mul_lo_u32 v10, s0, v9
	s_delay_alu instid0(VALU_DEP_2) | instskip(SKIP_1) | instid1(VALU_DEP_2)
	v_mul_hi_u32 v11, s0, v2
	v_mul_lo_u32 v12, s3, v2
	v_add_nc_u32_e32 v10, v11, v10
	v_mul_lo_u32 v11, s0, v2
	s_delay_alu instid0(VALU_DEP_2) | instskip(NEXT) | instid1(VALU_DEP_2)
	v_add_nc_u32_e32 v10, v10, v12
	v_mul_hi_u32 v12, v2, v11
	s_delay_alu instid0(VALU_DEP_2)
	v_mul_lo_u32 v14, v2, v10
	v_mul_hi_u32 v15, v2, v10
	v_mul_hi_u32 v16, v9, v11
	v_mul_lo_u32 v11, v9, v11
	v_mul_hi_u32 v17, v9, v10
	v_mul_lo_u32 v10, v9, v10
	v_add_co_u32 v12, vcc_lo, v12, v14
	v_add_co_ci_u32_e32 v14, vcc_lo, 0, v15, vcc_lo
	s_delay_alu instid0(VALU_DEP_2) | instskip(NEXT) | instid1(VALU_DEP_2)
	v_add_co_u32 v11, vcc_lo, v12, v11
	v_add_co_ci_u32_e32 v11, vcc_lo, v14, v16, vcc_lo
	v_add_co_ci_u32_e32 v12, vcc_lo, 0, v17, vcc_lo
	s_delay_alu instid0(VALU_DEP_2) | instskip(NEXT) | instid1(VALU_DEP_2)
	v_add_co_u32 v10, vcc_lo, v11, v10
	v_add_co_ci_u32_e32 v11, vcc_lo, 0, v12, vcc_lo
	s_delay_alu instid0(VALU_DEP_2) | instskip(NEXT) | instid1(VALU_DEP_2)
	v_add_co_u32 v2, vcc_lo, v2, v10
	v_add_co_ci_u32_e32 v9, vcc_lo, v9, v11, vcc_lo
	s_delay_alu instid0(VALU_DEP_2) | instskip(SKIP_1) | instid1(VALU_DEP_3)
	v_mul_hi_u32 v10, s0, v2
	v_mul_lo_u32 v12, s3, v2
	v_mul_lo_u32 v11, s0, v9
	s_delay_alu instid0(VALU_DEP_1) | instskip(SKIP_1) | instid1(VALU_DEP_2)
	v_add_nc_u32_e32 v10, v10, v11
	v_mul_lo_u32 v11, s0, v2
	v_add_nc_u32_e32 v10, v10, v12
	s_delay_alu instid0(VALU_DEP_2) | instskip(NEXT) | instid1(VALU_DEP_2)
	v_mul_hi_u32 v12, v2, v11
	v_mul_lo_u32 v14, v2, v10
	v_mul_hi_u32 v15, v2, v10
	v_mul_hi_u32 v16, v9, v11
	v_mul_lo_u32 v11, v9, v11
	v_mul_hi_u32 v17, v9, v10
	v_mul_lo_u32 v10, v9, v10
	v_add_co_u32 v12, vcc_lo, v12, v14
	v_add_co_ci_u32_e32 v14, vcc_lo, 0, v15, vcc_lo
	s_delay_alu instid0(VALU_DEP_2) | instskip(NEXT) | instid1(VALU_DEP_2)
	v_add_co_u32 v11, vcc_lo, v12, v11
	v_add_co_ci_u32_e32 v11, vcc_lo, v14, v16, vcc_lo
	v_add_co_ci_u32_e32 v12, vcc_lo, 0, v17, vcc_lo
	v_add_co_u32 v14, vcc_lo, v3, v13
	v_add_co_ci_u32_e32 v15, vcc_lo, v4, v13, vcc_lo
	s_delay_alu instid0(VALU_DEP_4) | instskip(NEXT) | instid1(VALU_DEP_4)
	v_add_co_u32 v10, vcc_lo, v11, v10
	v_add_co_ci_u32_e32 v11, vcc_lo, 0, v12, vcc_lo
	s_delay_alu instid0(VALU_DEP_4) | instskip(NEXT) | instid1(VALU_DEP_3)
	v_xor_b32_e32 v16, v14, v13
	v_add_co_u32 v2, vcc_lo, v2, v10
	s_delay_alu instid0(VALU_DEP_3) | instskip(SKIP_1) | instid1(VALU_DEP_3)
	v_add_co_ci_u32_e32 v17, vcc_lo, v9, v11, vcc_lo
	v_xor_b32_e32 v18, v15, v13
	v_mul_hi_u32 v19, v16, v2
	s_delay_alu instid0(VALU_DEP_3) | instskip(NEXT) | instid1(VALU_DEP_3)
	v_mad_u64_u32 v[9:10], null, v16, v17, 0
	v_mad_u64_u32 v[11:12], null, v18, v2, 0
	;; [unrolled: 1-line block ×3, first 2 shown]
	s_delay_alu instid0(VALU_DEP_3) | instskip(NEXT) | instid1(VALU_DEP_4)
	v_add_co_u32 v2, vcc_lo, v19, v9
	v_add_co_ci_u32_e32 v9, vcc_lo, 0, v10, vcc_lo
	s_delay_alu instid0(VALU_DEP_2) | instskip(NEXT) | instid1(VALU_DEP_2)
	v_add_co_u32 v2, vcc_lo, v2, v11
	v_add_co_ci_u32_e32 v2, vcc_lo, v9, v12, vcc_lo
	v_add_co_ci_u32_e32 v9, vcc_lo, 0, v15, vcc_lo
	s_delay_alu instid0(VALU_DEP_2) | instskip(NEXT) | instid1(VALU_DEP_2)
	v_add_co_u32 v2, vcc_lo, v2, v14
	v_add_co_ci_u32_e32 v11, vcc_lo, 0, v9, vcc_lo
	s_delay_alu instid0(VALU_DEP_2) | instskip(SKIP_1) | instid1(VALU_DEP_3)
	v_mul_lo_u32 v12, s5, v2
	v_mad_u64_u32 v[9:10], null, s4, v2, 0
	v_mul_lo_u32 v14, s4, v11
	s_delay_alu instid0(VALU_DEP_2) | instskip(NEXT) | instid1(VALU_DEP_2)
	v_sub_co_u32 v9, vcc_lo, v16, v9
	v_add3_u32 v10, v10, v14, v12
	s_delay_alu instid0(VALU_DEP_1) | instskip(NEXT) | instid1(VALU_DEP_1)
	v_sub_nc_u32_e32 v12, v18, v10
	v_subrev_co_ci_u32_e64 v12, s0, s5, v12, vcc_lo
	v_add_co_u32 v14, s0, v2, 2
	s_delay_alu instid0(VALU_DEP_1) | instskip(SKIP_3) | instid1(VALU_DEP_3)
	v_add_co_ci_u32_e64 v15, s0, 0, v11, s0
	v_sub_co_u32 v16, s0, v9, s4
	v_sub_co_ci_u32_e32 v10, vcc_lo, v18, v10, vcc_lo
	v_subrev_co_ci_u32_e64 v12, s0, 0, v12, s0
	v_cmp_le_u32_e32 vcc_lo, s4, v16
	s_delay_alu instid0(VALU_DEP_3) | instskip(SKIP_1) | instid1(VALU_DEP_4)
	v_cmp_eq_u32_e64 s0, s5, v10
	v_cndmask_b32_e64 v16, 0, -1, vcc_lo
	v_cmp_le_u32_e32 vcc_lo, s5, v12
	v_cndmask_b32_e64 v17, 0, -1, vcc_lo
	v_cmp_le_u32_e32 vcc_lo, s4, v9
	;; [unrolled: 2-line block ×3, first 2 shown]
	v_cndmask_b32_e64 v18, 0, -1, vcc_lo
	v_cmp_eq_u32_e32 vcc_lo, s5, v12
	s_delay_alu instid0(VALU_DEP_2) | instskip(SKIP_3) | instid1(VALU_DEP_3)
	v_cndmask_b32_e64 v9, v18, v9, s0
	v_cndmask_b32_e32 v12, v17, v16, vcc_lo
	v_add_co_u32 v16, vcc_lo, v2, 1
	v_add_co_ci_u32_e32 v17, vcc_lo, 0, v11, vcc_lo
	v_cmp_ne_u32_e32 vcc_lo, 0, v12
	s_delay_alu instid0(VALU_DEP_2) | instskip(NEXT) | instid1(VALU_DEP_4)
	v_cndmask_b32_e32 v10, v17, v15, vcc_lo
	v_cndmask_b32_e32 v12, v16, v14, vcc_lo
	v_cmp_ne_u32_e32 vcc_lo, 0, v9
	v_xor_b32_e32 v14, s2, v13
	s_delay_alu instid0(VALU_DEP_3) | instskip(NEXT) | instid1(VALU_DEP_1)
	v_dual_cndmask_b32 v2, v2, v12 :: v_dual_cndmask_b32 v9, v11, v10
	v_xor_b32_e32 v2, v2, v14
	s_delay_alu instid0(VALU_DEP_2) | instskip(NEXT) | instid1(VALU_DEP_2)
	v_xor_b32_e32 v10, v9, v14
	v_sub_co_u32 v9, vcc_lo, v2, v14
	s_delay_alu instid0(VALU_DEP_2)
	v_sub_co_ci_u32_e32 v10, vcc_lo, v10, v14, vcc_lo
.LBB17_6:                               ;   in Loop: Header=BB17_4 Depth=1
	s_and_not1_saveexec_b32 s0, s1
	s_cbranch_execz .LBB17_8
; %bb.7:                                ;   in Loop: Header=BB17_4 Depth=1
	s_sub_i32 s1, 0, s43
	s_delay_alu instid0(SALU_CYCLE_1) | instskip(NEXT) | instid1(VALU_DEP_1)
	v_mul_lo_u32 v2, s1, v0
	v_mul_hi_u32 v2, v0, v2
	s_delay_alu instid0(VALU_DEP_1) | instskip(NEXT) | instid1(VALU_DEP_1)
	v_add_nc_u32_e32 v2, v0, v2
	v_mul_hi_u32 v2, v3, v2
	s_delay_alu instid0(VALU_DEP_1) | instskip(SKIP_1) | instid1(VALU_DEP_2)
	v_mul_lo_u32 v9, v2, s43
	v_add_nc_u32_e32 v10, 1, v2
	v_sub_nc_u32_e32 v9, v3, v9
	s_delay_alu instid0(VALU_DEP_1) | instskip(SKIP_1) | instid1(VALU_DEP_2)
	v_subrev_nc_u32_e32 v11, s43, v9
	v_cmp_le_u32_e32 vcc_lo, s43, v9
	v_dual_cndmask_b32 v9, v9, v11 :: v_dual_cndmask_b32 v2, v2, v10
	s_delay_alu instid0(VALU_DEP_1) | instskip(NEXT) | instid1(VALU_DEP_2)
	v_cmp_le_u32_e32 vcc_lo, s43, v9
	v_add_nc_u32_e32 v10, 1, v2
	s_delay_alu instid0(VALU_DEP_1)
	v_dual_cndmask_b32 v9, v2, v10 :: v_dual_mov_b32 v10, v1
.LBB17_8:                               ;   in Loop: Header=BB17_4 Depth=1
	s_or_b32 exec_lo, exec_lo, s0
	v_or_b32_e32 v2, s42, v4
                                        ; implicit-def: $vgpr11_vgpr12
	s_mov_b32 s0, exec_lo
	s_delay_alu instid0(VALU_DEP_1)
	v_cmpx_ne_u64_e32 0, v[1:2]
	s_xor_b32 s1, exec_lo, s0
	s_cbranch_execz .LBB17_10
; %bb.9:                                ;   in Loop: Header=BB17_4 Depth=1
	s_ashr_i32 s2, s42, 31
	s_delay_alu instid0(SALU_CYCLE_1) | instskip(SKIP_2) | instid1(SALU_CYCLE_1)
	s_add_u32 s4, s33, s2
	s_mov_b32 s3, s2
	s_addc_u32 s5, s42, s2
	s_xor_b64 s[4:5], s[4:5], s[2:3]
	s_delay_alu instid0(SALU_CYCLE_1) | instskip(SKIP_3) | instid1(VALU_DEP_1)
	v_cvt_f32_u32_e32 v2, s4
	v_cvt_f32_u32_e32 v11, s5
	s_sub_u32 s0, 0, s4
	s_subb_u32 s3, 0, s5
	v_fmac_f32_e32 v2, 0x4f800000, v11
	s_delay_alu instid0(VALU_DEP_1) | instskip(SKIP_2) | instid1(VALU_DEP_1)
	v_rcp_f32_e32 v2, v2
	s_waitcnt_depctr 0xfff
	v_mul_f32_e32 v2, 0x5f7ffffc, v2
	v_mul_f32_e32 v11, 0x2f800000, v2
	s_delay_alu instid0(VALU_DEP_1) | instskip(NEXT) | instid1(VALU_DEP_1)
	v_trunc_f32_e32 v11, v11
	v_fmac_f32_e32 v2, 0xcf800000, v11
	v_cvt_u32_f32_e32 v11, v11
	s_delay_alu instid0(VALU_DEP_2) | instskip(NEXT) | instid1(VALU_DEP_2)
	v_cvt_u32_f32_e32 v2, v2
	v_mul_lo_u32 v12, s0, v11
	s_delay_alu instid0(VALU_DEP_2) | instskip(SKIP_1) | instid1(VALU_DEP_2)
	v_mul_hi_u32 v14, s0, v2
	v_mul_lo_u32 v15, s3, v2
	v_add_nc_u32_e32 v12, v14, v12
	v_mul_lo_u32 v14, s0, v2
	s_delay_alu instid0(VALU_DEP_2) | instskip(NEXT) | instid1(VALU_DEP_2)
	v_add_nc_u32_e32 v12, v12, v15
	v_mul_hi_u32 v15, v2, v14
	s_delay_alu instid0(VALU_DEP_2)
	v_mul_lo_u32 v16, v2, v12
	v_mul_hi_u32 v17, v2, v12
	v_mul_hi_u32 v18, v11, v14
	v_mul_lo_u32 v14, v11, v14
	v_mul_hi_u32 v19, v11, v12
	v_mul_lo_u32 v12, v11, v12
	v_add_co_u32 v15, vcc_lo, v15, v16
	v_add_co_ci_u32_e32 v16, vcc_lo, 0, v17, vcc_lo
	s_delay_alu instid0(VALU_DEP_2) | instskip(NEXT) | instid1(VALU_DEP_2)
	v_add_co_u32 v14, vcc_lo, v15, v14
	v_add_co_ci_u32_e32 v14, vcc_lo, v16, v18, vcc_lo
	v_add_co_ci_u32_e32 v15, vcc_lo, 0, v19, vcc_lo
	s_delay_alu instid0(VALU_DEP_2) | instskip(NEXT) | instid1(VALU_DEP_2)
	v_add_co_u32 v12, vcc_lo, v14, v12
	v_add_co_ci_u32_e32 v14, vcc_lo, 0, v15, vcc_lo
	s_delay_alu instid0(VALU_DEP_2) | instskip(NEXT) | instid1(VALU_DEP_2)
	v_add_co_u32 v2, vcc_lo, v2, v12
	v_add_co_ci_u32_e32 v11, vcc_lo, v11, v14, vcc_lo
	s_delay_alu instid0(VALU_DEP_2) | instskip(SKIP_1) | instid1(VALU_DEP_3)
	v_mul_hi_u32 v12, s0, v2
	v_mul_lo_u32 v15, s3, v2
	v_mul_lo_u32 v14, s0, v11
	s_delay_alu instid0(VALU_DEP_1) | instskip(SKIP_1) | instid1(VALU_DEP_2)
	v_add_nc_u32_e32 v12, v12, v14
	v_mul_lo_u32 v14, s0, v2
	v_add_nc_u32_e32 v12, v12, v15
	s_delay_alu instid0(VALU_DEP_2) | instskip(NEXT) | instid1(VALU_DEP_2)
	v_mul_hi_u32 v15, v2, v14
	v_mul_lo_u32 v16, v2, v12
	v_mul_hi_u32 v17, v2, v12
	v_mul_hi_u32 v18, v11, v14
	v_mul_lo_u32 v14, v11, v14
	v_mul_hi_u32 v19, v11, v12
	v_mul_lo_u32 v12, v11, v12
	v_add_co_u32 v15, vcc_lo, v15, v16
	v_add_co_ci_u32_e32 v16, vcc_lo, 0, v17, vcc_lo
	s_delay_alu instid0(VALU_DEP_2) | instskip(NEXT) | instid1(VALU_DEP_2)
	v_add_co_u32 v14, vcc_lo, v15, v14
	v_add_co_ci_u32_e32 v14, vcc_lo, v16, v18, vcc_lo
	v_add_co_ci_u32_e32 v15, vcc_lo, 0, v19, vcc_lo
	v_add_co_u32 v16, vcc_lo, v3, v13
	v_add_co_ci_u32_e32 v17, vcc_lo, v4, v13, vcc_lo
	s_delay_alu instid0(VALU_DEP_4) | instskip(NEXT) | instid1(VALU_DEP_4)
	v_add_co_u32 v12, vcc_lo, v14, v12
	v_add_co_ci_u32_e32 v14, vcc_lo, 0, v15, vcc_lo
	s_delay_alu instid0(VALU_DEP_4) | instskip(NEXT) | instid1(VALU_DEP_3)
	v_xor_b32_e32 v18, v16, v13
	v_add_co_u32 v2, vcc_lo, v2, v12
	s_delay_alu instid0(VALU_DEP_3) | instskip(SKIP_1) | instid1(VALU_DEP_3)
	v_add_co_ci_u32_e32 v19, vcc_lo, v11, v14, vcc_lo
	v_xor_b32_e32 v20, v17, v13
	v_mul_hi_u32 v21, v18, v2
	v_xor_b32_e32 v13, s2, v13
	s_delay_alu instid0(VALU_DEP_4) | instskip(NEXT) | instid1(VALU_DEP_4)
	v_mad_u64_u32 v[11:12], null, v18, v19, 0
	v_mad_u64_u32 v[14:15], null, v20, v2, 0
	;; [unrolled: 1-line block ×3, first 2 shown]
	s_delay_alu instid0(VALU_DEP_3) | instskip(NEXT) | instid1(VALU_DEP_4)
	v_add_co_u32 v2, vcc_lo, v21, v11
	v_add_co_ci_u32_e32 v11, vcc_lo, 0, v12, vcc_lo
	s_delay_alu instid0(VALU_DEP_2) | instskip(NEXT) | instid1(VALU_DEP_2)
	v_add_co_u32 v2, vcc_lo, v2, v14
	v_add_co_ci_u32_e32 v2, vcc_lo, v11, v15, vcc_lo
	v_add_co_ci_u32_e32 v11, vcc_lo, 0, v17, vcc_lo
	s_delay_alu instid0(VALU_DEP_2) | instskip(NEXT) | instid1(VALU_DEP_2)
	v_add_co_u32 v2, vcc_lo, v2, v16
	v_add_co_ci_u32_e32 v14, vcc_lo, 0, v11, vcc_lo
	s_delay_alu instid0(VALU_DEP_2) | instskip(SKIP_1) | instid1(VALU_DEP_3)
	v_mul_lo_u32 v15, s5, v2
	v_mad_u64_u32 v[11:12], null, s4, v2, 0
	v_mul_lo_u32 v16, s4, v14
	s_delay_alu instid0(VALU_DEP_2) | instskip(NEXT) | instid1(VALU_DEP_2)
	v_sub_co_u32 v11, vcc_lo, v18, v11
	v_add3_u32 v12, v12, v16, v15
	s_delay_alu instid0(VALU_DEP_1) | instskip(NEXT) | instid1(VALU_DEP_1)
	v_sub_nc_u32_e32 v15, v20, v12
	v_subrev_co_ci_u32_e64 v15, s0, s5, v15, vcc_lo
	v_add_co_u32 v16, s0, v2, 2
	s_delay_alu instid0(VALU_DEP_1) | instskip(SKIP_3) | instid1(VALU_DEP_3)
	v_add_co_ci_u32_e64 v17, s0, 0, v14, s0
	v_sub_co_u32 v18, s0, v11, s4
	v_sub_co_ci_u32_e32 v12, vcc_lo, v20, v12, vcc_lo
	v_subrev_co_ci_u32_e64 v15, s0, 0, v15, s0
	v_cmp_le_u32_e32 vcc_lo, s4, v18
	s_delay_alu instid0(VALU_DEP_3) | instskip(SKIP_1) | instid1(VALU_DEP_4)
	v_cmp_eq_u32_e64 s0, s5, v12
	v_cndmask_b32_e64 v18, 0, -1, vcc_lo
	v_cmp_le_u32_e32 vcc_lo, s5, v15
	v_cndmask_b32_e64 v19, 0, -1, vcc_lo
	v_cmp_le_u32_e32 vcc_lo, s4, v11
	;; [unrolled: 2-line block ×3, first 2 shown]
	v_cndmask_b32_e64 v20, 0, -1, vcc_lo
	v_cmp_eq_u32_e32 vcc_lo, s5, v15
	s_delay_alu instid0(VALU_DEP_2) | instskip(SKIP_3) | instid1(VALU_DEP_3)
	v_cndmask_b32_e64 v11, v20, v11, s0
	v_cndmask_b32_e32 v15, v19, v18, vcc_lo
	v_add_co_u32 v18, vcc_lo, v2, 1
	v_add_co_ci_u32_e32 v19, vcc_lo, 0, v14, vcc_lo
	v_cmp_ne_u32_e32 vcc_lo, 0, v15
	s_delay_alu instid0(VALU_DEP_2) | instskip(SKIP_1) | instid1(VALU_DEP_2)
	v_dual_cndmask_b32 v12, v19, v17 :: v_dual_cndmask_b32 v15, v18, v16
	v_cmp_ne_u32_e32 vcc_lo, 0, v11
	v_cndmask_b32_e32 v11, v14, v12, vcc_lo
	s_delay_alu instid0(VALU_DEP_3) | instskip(NEXT) | instid1(VALU_DEP_2)
	v_cndmask_b32_e32 v2, v2, v15, vcc_lo
	v_xor_b32_e32 v12, v11, v13
	s_delay_alu instid0(VALU_DEP_2) | instskip(NEXT) | instid1(VALU_DEP_1)
	v_xor_b32_e32 v2, v2, v13
	v_sub_co_u32 v11, vcc_lo, v2, v13
	s_delay_alu instid0(VALU_DEP_3)
	v_sub_co_ci_u32_e32 v12, vcc_lo, v12, v13, vcc_lo
.LBB17_10:                              ;   in Loop: Header=BB17_4 Depth=1
	s_and_not1_saveexec_b32 s0, s1
	s_cbranch_execz .LBB17_12
; %bb.11:                               ;   in Loop: Header=BB17_4 Depth=1
	v_cvt_f32_u32_e32 v2, s33
	s_sub_i32 s1, 0, s33
	s_delay_alu instid0(VALU_DEP_1) | instskip(SKIP_2) | instid1(VALU_DEP_1)
	v_rcp_iflag_f32_e32 v2, v2
	s_waitcnt_depctr 0xfff
	v_mul_f32_e32 v2, 0x4f7ffffe, v2
	v_cvt_u32_f32_e32 v2, v2
	s_delay_alu instid0(VALU_DEP_1) | instskip(NEXT) | instid1(VALU_DEP_1)
	v_mul_lo_u32 v11, s1, v2
	v_mul_hi_u32 v11, v2, v11
	s_delay_alu instid0(VALU_DEP_1) | instskip(NEXT) | instid1(VALU_DEP_1)
	v_add_nc_u32_e32 v2, v2, v11
	v_mul_hi_u32 v2, v3, v2
	s_delay_alu instid0(VALU_DEP_1) | instskip(SKIP_1) | instid1(VALU_DEP_2)
	v_mul_lo_u32 v11, v2, s33
	v_add_nc_u32_e32 v12, 1, v2
	v_sub_nc_u32_e32 v11, v3, v11
	s_delay_alu instid0(VALU_DEP_1) | instskip(SKIP_1) | instid1(VALU_DEP_2)
	v_subrev_nc_u32_e32 v13, s33, v11
	v_cmp_le_u32_e32 vcc_lo, s33, v11
	v_dual_cndmask_b32 v11, v11, v13 :: v_dual_cndmask_b32 v2, v2, v12
	s_delay_alu instid0(VALU_DEP_1) | instskip(NEXT) | instid1(VALU_DEP_2)
	v_cmp_le_u32_e32 vcc_lo, s33, v11
	v_add_nc_u32_e32 v12, 1, v2
	s_delay_alu instid0(VALU_DEP_1)
	v_dual_cndmask_b32 v11, v2, v12 :: v_dual_mov_b32 v12, v1
.LBB17_12:                              ;   in Loop: Header=BB17_4 Depth=1
	s_or_b32 exec_lo, exec_lo, s0
	s_delay_alu instid0(VALU_DEP_1) | instskip(SKIP_1) | instid1(VALU_DEP_1)
	v_or_b32_e32 v2, s7, v12
                                        ; implicit-def: $vgpr13_vgpr14
	s_mov_b32 s0, exec_lo
	v_cmpx_ne_u64_e32 0, v[1:2]
	s_xor_b32 s1, exec_lo, s0
	s_cbranch_execz .LBB17_14
; %bb.13:                               ;   in Loop: Header=BB17_4 Depth=1
	s_add_u32 s4, s6, s7
	s_mov_b32 s2, s7
	s_mov_b32 s3, s7
	s_addc_u32 s5, s7, s7
	s_delay_alu instid0(SALU_CYCLE_1) | instskip(NEXT) | instid1(SALU_CYCLE_1)
	s_xor_b64 s[2:3], s[4:5], s[2:3]
	v_cvt_f32_u32_e32 v2, s2
	v_cvt_f32_u32_e32 v13, s3
	s_sub_u32 s0, 0, s2
	s_subb_u32 s4, 0, s3
	s_delay_alu instid0(VALU_DEP_1) | instskip(NEXT) | instid1(VALU_DEP_1)
	v_fmac_f32_e32 v2, 0x4f800000, v13
	v_rcp_f32_e32 v2, v2
	s_waitcnt_depctr 0xfff
	v_mul_f32_e32 v2, 0x5f7ffffc, v2
	s_delay_alu instid0(VALU_DEP_1) | instskip(NEXT) | instid1(VALU_DEP_1)
	v_mul_f32_e32 v13, 0x2f800000, v2
	v_trunc_f32_e32 v13, v13
	s_delay_alu instid0(VALU_DEP_1) | instskip(SKIP_1) | instid1(VALU_DEP_2)
	v_fmac_f32_e32 v2, 0xcf800000, v13
	v_cvt_u32_f32_e32 v13, v13
	v_cvt_u32_f32_e32 v2, v2
	s_delay_alu instid0(VALU_DEP_2) | instskip(NEXT) | instid1(VALU_DEP_2)
	v_mul_lo_u32 v14, s0, v13
	v_mul_hi_u32 v15, s0, v2
	v_mul_lo_u32 v16, s4, v2
	s_delay_alu instid0(VALU_DEP_2) | instskip(SKIP_1) | instid1(VALU_DEP_2)
	v_add_nc_u32_e32 v14, v15, v14
	v_mul_lo_u32 v15, s0, v2
	v_add_nc_u32_e32 v14, v14, v16
	s_delay_alu instid0(VALU_DEP_2) | instskip(NEXT) | instid1(VALU_DEP_2)
	v_mul_hi_u32 v16, v2, v15
	v_mul_lo_u32 v17, v2, v14
	v_mul_hi_u32 v18, v2, v14
	v_mul_hi_u32 v19, v13, v15
	v_mul_lo_u32 v15, v13, v15
	v_mul_hi_u32 v20, v13, v14
	v_mul_lo_u32 v14, v13, v14
	v_add_co_u32 v16, vcc_lo, v16, v17
	v_add_co_ci_u32_e32 v17, vcc_lo, 0, v18, vcc_lo
	s_delay_alu instid0(VALU_DEP_2) | instskip(NEXT) | instid1(VALU_DEP_2)
	v_add_co_u32 v15, vcc_lo, v16, v15
	v_add_co_ci_u32_e32 v15, vcc_lo, v17, v19, vcc_lo
	v_add_co_ci_u32_e32 v16, vcc_lo, 0, v20, vcc_lo
	v_ashrrev_i32_e32 v19, 31, v12
	s_delay_alu instid0(VALU_DEP_3) | instskip(NEXT) | instid1(VALU_DEP_3)
	v_add_co_u32 v14, vcc_lo, v15, v14
	v_add_co_ci_u32_e32 v15, vcc_lo, 0, v16, vcc_lo
	s_delay_alu instid0(VALU_DEP_2) | instskip(NEXT) | instid1(VALU_DEP_2)
	v_add_co_u32 v2, vcc_lo, v2, v14
	v_add_co_ci_u32_e32 v13, vcc_lo, v13, v15, vcc_lo
	s_delay_alu instid0(VALU_DEP_2) | instskip(SKIP_1) | instid1(VALU_DEP_3)
	v_mul_hi_u32 v14, s0, v2
	v_mul_lo_u32 v16, s4, v2
	v_mul_lo_u32 v15, s0, v13
	s_delay_alu instid0(VALU_DEP_1) | instskip(SKIP_1) | instid1(VALU_DEP_2)
	v_add_nc_u32_e32 v14, v14, v15
	v_mul_lo_u32 v15, s0, v2
	v_add_nc_u32_e32 v14, v14, v16
	s_delay_alu instid0(VALU_DEP_2) | instskip(NEXT) | instid1(VALU_DEP_2)
	v_mul_hi_u32 v16, v2, v15
	v_mul_lo_u32 v17, v2, v14
	v_mul_hi_u32 v18, v2, v14
	v_mul_hi_u32 v20, v13, v15
	v_mul_lo_u32 v15, v13, v15
	v_mul_hi_u32 v21, v13, v14
	v_mul_lo_u32 v14, v13, v14
	v_add_co_u32 v16, vcc_lo, v16, v17
	v_add_co_ci_u32_e32 v17, vcc_lo, 0, v18, vcc_lo
	s_delay_alu instid0(VALU_DEP_2) | instskip(NEXT) | instid1(VALU_DEP_2)
	v_add_co_u32 v15, vcc_lo, v16, v15
	v_add_co_ci_u32_e32 v15, vcc_lo, v17, v20, vcc_lo
	v_add_co_ci_u32_e32 v16, vcc_lo, 0, v21, vcc_lo
	v_add_co_u32 v17, vcc_lo, v11, v19
	v_add_co_ci_u32_e32 v18, vcc_lo, v12, v19, vcc_lo
	s_delay_alu instid0(VALU_DEP_4) | instskip(NEXT) | instid1(VALU_DEP_4)
	v_add_co_u32 v14, vcc_lo, v15, v14
	v_add_co_ci_u32_e32 v15, vcc_lo, 0, v16, vcc_lo
	s_delay_alu instid0(VALU_DEP_4) | instskip(NEXT) | instid1(VALU_DEP_3)
	v_xor_b32_e32 v20, v17, v19
	v_add_co_u32 v2, vcc_lo, v2, v14
	s_delay_alu instid0(VALU_DEP_3) | instskip(SKIP_1) | instid1(VALU_DEP_3)
	v_add_co_ci_u32_e32 v21, vcc_lo, v13, v15, vcc_lo
	v_xor_b32_e32 v22, v18, v19
	v_mul_hi_u32 v23, v20, v2
	s_delay_alu instid0(VALU_DEP_3) | instskip(NEXT) | instid1(VALU_DEP_3)
	v_mad_u64_u32 v[13:14], null, v20, v21, 0
	v_mad_u64_u32 v[15:16], null, v22, v2, 0
	;; [unrolled: 1-line block ×3, first 2 shown]
	s_delay_alu instid0(VALU_DEP_3) | instskip(NEXT) | instid1(VALU_DEP_4)
	v_add_co_u32 v2, vcc_lo, v23, v13
	v_add_co_ci_u32_e32 v13, vcc_lo, 0, v14, vcc_lo
	s_delay_alu instid0(VALU_DEP_2) | instskip(NEXT) | instid1(VALU_DEP_2)
	v_add_co_u32 v2, vcc_lo, v2, v15
	v_add_co_ci_u32_e32 v2, vcc_lo, v13, v16, vcc_lo
	v_add_co_ci_u32_e32 v13, vcc_lo, 0, v18, vcc_lo
	s_delay_alu instid0(VALU_DEP_2) | instskip(NEXT) | instid1(VALU_DEP_2)
	v_add_co_u32 v2, vcc_lo, v2, v17
	v_add_co_ci_u32_e32 v15, vcc_lo, 0, v13, vcc_lo
	s_delay_alu instid0(VALU_DEP_2) | instskip(SKIP_1) | instid1(VALU_DEP_3)
	v_mul_lo_u32 v16, s3, v2
	v_mad_u64_u32 v[13:14], null, s2, v2, 0
	v_mul_lo_u32 v2, s2, v15
	s_delay_alu instid0(VALU_DEP_2) | instskip(NEXT) | instid1(VALU_DEP_2)
	v_sub_co_u32 v13, vcc_lo, v20, v13
	v_add3_u32 v2, v14, v2, v16
	s_delay_alu instid0(VALU_DEP_1) | instskip(NEXT) | instid1(VALU_DEP_1)
	v_sub_nc_u32_e32 v14, v22, v2
	v_subrev_co_ci_u32_e64 v14, s0, s3, v14, vcc_lo
	v_sub_co_ci_u32_e32 v2, vcc_lo, v22, v2, vcc_lo
	v_sub_co_u32 v15, vcc_lo, v13, s2
	s_delay_alu instid0(VALU_DEP_1) | instskip(SKIP_3) | instid1(VALU_DEP_3)
	v_subrev_co_ci_u32_e64 v16, s0, 0, v14, vcc_lo
	v_cmp_le_u32_e64 s0, s2, v13
	v_subrev_co_ci_u32_e32 v14, vcc_lo, s3, v14, vcc_lo
	v_cmp_le_u32_e32 vcc_lo, s3, v2
	v_cndmask_b32_e64 v17, 0, -1, s0
	v_cmp_le_u32_e64 s0, s2, v15
	v_cndmask_b32_e64 v21, 0, -1, vcc_lo
	v_cmp_eq_u32_e32 vcc_lo, s3, v16
	s_delay_alu instid0(VALU_DEP_3) | instskip(SKIP_1) | instid1(VALU_DEP_1)
	v_cndmask_b32_e64 v18, 0, -1, s0
	v_cmp_le_u32_e64 s0, s3, v16
	v_cndmask_b32_e64 v20, 0, -1, s0
	v_cmp_eq_u32_e64 s0, s3, v2
	s_delay_alu instid0(VALU_DEP_2) | instskip(SKIP_2) | instid1(VALU_DEP_3)
	v_cndmask_b32_e32 v18, v20, v18, vcc_lo
	v_sub_co_u32 v20, vcc_lo, v15, s2
	v_subrev_co_ci_u32_e32 v14, vcc_lo, 0, v14, vcc_lo
	v_cmp_ne_u32_e32 vcc_lo, 0, v18
	v_cndmask_b32_e64 v17, v21, v17, s0
	s_delay_alu instid0(VALU_DEP_3) | instskip(NEXT) | instid1(VALU_DEP_2)
	v_dual_cndmask_b32 v14, v16, v14 :: v_dual_cndmask_b32 v15, v15, v20
	v_cmp_ne_u32_e32 vcc_lo, 0, v17
	s_delay_alu instid0(VALU_DEP_2) | instskip(NEXT) | instid1(VALU_DEP_1)
	v_dual_cndmask_b32 v13, v13, v15 :: v_dual_cndmask_b32 v2, v2, v14
	v_xor_b32_e32 v13, v13, v19
	s_delay_alu instid0(VALU_DEP_2) | instskip(NEXT) | instid1(VALU_DEP_2)
	v_xor_b32_e32 v2, v2, v19
	v_sub_co_u32 v13, vcc_lo, v13, v19
	s_delay_alu instid0(VALU_DEP_2)
	v_sub_co_ci_u32_e32 v14, vcc_lo, v2, v19, vcc_lo
.LBB17_14:                              ;   in Loop: Header=BB17_4 Depth=1
	s_and_not1_saveexec_b32 s0, s1
	s_cbranch_execz .LBB17_16
; %bb.15:                               ;   in Loop: Header=BB17_4 Depth=1
	v_cvt_f32_u32_e32 v2, s6
	s_sub_i32 s1, 0, s6
	v_mov_b32_e32 v14, v1
	s_delay_alu instid0(VALU_DEP_2) | instskip(SKIP_2) | instid1(VALU_DEP_1)
	v_rcp_iflag_f32_e32 v2, v2
	s_waitcnt_depctr 0xfff
	v_mul_f32_e32 v2, 0x4f7ffffe, v2
	v_cvt_u32_f32_e32 v2, v2
	s_delay_alu instid0(VALU_DEP_1) | instskip(NEXT) | instid1(VALU_DEP_1)
	v_mul_lo_u32 v13, s1, v2
	v_mul_hi_u32 v13, v2, v13
	s_delay_alu instid0(VALU_DEP_1) | instskip(NEXT) | instid1(VALU_DEP_1)
	v_add_nc_u32_e32 v2, v2, v13
	v_mul_hi_u32 v2, v11, v2
	s_delay_alu instid0(VALU_DEP_1) | instskip(NEXT) | instid1(VALU_DEP_1)
	v_mul_lo_u32 v2, v2, s6
	v_sub_nc_u32_e32 v2, v11, v2
	s_delay_alu instid0(VALU_DEP_1) | instskip(SKIP_1) | instid1(VALU_DEP_2)
	v_subrev_nc_u32_e32 v13, s6, v2
	v_cmp_le_u32_e32 vcc_lo, s6, v2
	v_cndmask_b32_e32 v2, v2, v13, vcc_lo
	s_delay_alu instid0(VALU_DEP_1) | instskip(SKIP_1) | instid1(VALU_DEP_2)
	v_subrev_nc_u32_e32 v13, s6, v2
	v_cmp_le_u32_e32 vcc_lo, s6, v2
	v_cndmask_b32_e32 v13, v2, v13, vcc_lo
.LBB17_16:                              ;   in Loop: Header=BB17_4 Depth=1
	s_or_b32 exec_lo, exec_lo, s0
	v_mad_u64_u32 v[17:18], null, s59, v11, v[3:4]
	v_mul_lo_u32 v2, s59, v12
	v_mul_lo_u32 v15, s60, v11
	s_mov_b32 s0, exec_lo
	s_delay_alu instid0(VALU_DEP_1) | instskip(NEXT) | instid1(VALU_DEP_1)
	v_add3_u32 v18, v15, v18, v2
                                        ; implicit-def: $vgpr15_vgpr16
	v_or_b32_e32 v2, s21, v18
	s_delay_alu instid0(VALU_DEP_1)
	v_cmpx_ne_u64_e32 0, v[1:2]
	s_xor_b32 s1, exec_lo, s0
	s_cbranch_execz .LBB17_18
; %bb.17:                               ;   in Loop: Header=BB17_4 Depth=1
	s_ashr_i32 s2, s21, 31
	s_delay_alu instid0(SALU_CYCLE_1) | instskip(SKIP_2) | instid1(SALU_CYCLE_1)
	s_add_u32 s4, s20, s2
	s_mov_b32 s3, s2
	s_addc_u32 s5, s21, s2
	s_xor_b64 s[4:5], s[4:5], s[2:3]
	s_delay_alu instid0(SALU_CYCLE_1) | instskip(SKIP_3) | instid1(VALU_DEP_1)
	v_cvt_f32_u32_e32 v2, s4
	v_cvt_f32_u32_e32 v15, s5
	s_sub_u32 s0, 0, s4
	s_subb_u32 s3, 0, s5
	v_fmac_f32_e32 v2, 0x4f800000, v15
	s_delay_alu instid0(VALU_DEP_1) | instskip(SKIP_2) | instid1(VALU_DEP_1)
	v_rcp_f32_e32 v2, v2
	s_waitcnt_depctr 0xfff
	v_mul_f32_e32 v2, 0x5f7ffffc, v2
	v_mul_f32_e32 v15, 0x2f800000, v2
	s_delay_alu instid0(VALU_DEP_1) | instskip(NEXT) | instid1(VALU_DEP_1)
	v_trunc_f32_e32 v15, v15
	v_fmac_f32_e32 v2, 0xcf800000, v15
	v_cvt_u32_f32_e32 v15, v15
	s_delay_alu instid0(VALU_DEP_2) | instskip(NEXT) | instid1(VALU_DEP_2)
	v_cvt_u32_f32_e32 v2, v2
	v_mul_lo_u32 v16, s0, v15
	s_delay_alu instid0(VALU_DEP_2) | instskip(SKIP_1) | instid1(VALU_DEP_2)
	v_mul_hi_u32 v19, s0, v2
	v_mul_lo_u32 v20, s3, v2
	v_add_nc_u32_e32 v16, v19, v16
	v_mul_lo_u32 v19, s0, v2
	s_delay_alu instid0(VALU_DEP_2) | instskip(NEXT) | instid1(VALU_DEP_2)
	v_add_nc_u32_e32 v16, v16, v20
	v_mul_hi_u32 v20, v2, v19
	s_delay_alu instid0(VALU_DEP_2)
	v_mul_lo_u32 v21, v2, v16
	v_mul_hi_u32 v22, v2, v16
	v_mul_hi_u32 v23, v15, v19
	v_mul_lo_u32 v19, v15, v19
	v_mul_hi_u32 v24, v15, v16
	v_mul_lo_u32 v16, v15, v16
	v_add_co_u32 v20, vcc_lo, v20, v21
	v_add_co_ci_u32_e32 v21, vcc_lo, 0, v22, vcc_lo
	s_delay_alu instid0(VALU_DEP_2) | instskip(NEXT) | instid1(VALU_DEP_2)
	v_add_co_u32 v19, vcc_lo, v20, v19
	v_add_co_ci_u32_e32 v19, vcc_lo, v21, v23, vcc_lo
	v_add_co_ci_u32_e32 v20, vcc_lo, 0, v24, vcc_lo
	v_ashrrev_i32_e32 v23, 31, v18
	s_delay_alu instid0(VALU_DEP_3) | instskip(NEXT) | instid1(VALU_DEP_3)
	v_add_co_u32 v16, vcc_lo, v19, v16
	v_add_co_ci_u32_e32 v19, vcc_lo, 0, v20, vcc_lo
	s_delay_alu instid0(VALU_DEP_2) | instskip(NEXT) | instid1(VALU_DEP_2)
	v_add_co_u32 v2, vcc_lo, v2, v16
	v_add_co_ci_u32_e32 v15, vcc_lo, v15, v19, vcc_lo
	s_delay_alu instid0(VALU_DEP_2) | instskip(SKIP_1) | instid1(VALU_DEP_3)
	v_mul_hi_u32 v16, s0, v2
	v_mul_lo_u32 v20, s3, v2
	v_mul_lo_u32 v19, s0, v15
	s_delay_alu instid0(VALU_DEP_1) | instskip(SKIP_1) | instid1(VALU_DEP_2)
	v_add_nc_u32_e32 v16, v16, v19
	v_mul_lo_u32 v19, s0, v2
	v_add_nc_u32_e32 v16, v16, v20
	s_delay_alu instid0(VALU_DEP_2) | instskip(NEXT) | instid1(VALU_DEP_2)
	v_mul_hi_u32 v20, v2, v19
	v_mul_lo_u32 v21, v2, v16
	v_mul_hi_u32 v22, v2, v16
	v_mul_hi_u32 v24, v15, v19
	v_mul_lo_u32 v19, v15, v19
	v_mul_hi_u32 v25, v15, v16
	v_mul_lo_u32 v16, v15, v16
	v_add_co_u32 v20, vcc_lo, v20, v21
	v_add_co_ci_u32_e32 v21, vcc_lo, 0, v22, vcc_lo
	s_delay_alu instid0(VALU_DEP_2) | instskip(NEXT) | instid1(VALU_DEP_2)
	v_add_co_u32 v19, vcc_lo, v20, v19
	v_add_co_ci_u32_e32 v19, vcc_lo, v21, v24, vcc_lo
	v_add_co_ci_u32_e32 v20, vcc_lo, 0, v25, vcc_lo
	v_add_co_u32 v17, vcc_lo, v17, v23
	v_add_co_ci_u32_e32 v18, vcc_lo, v18, v23, vcc_lo
	s_delay_alu instid0(VALU_DEP_4) | instskip(NEXT) | instid1(VALU_DEP_4)
	v_add_co_u32 v16, vcc_lo, v19, v16
	v_add_co_ci_u32_e32 v19, vcc_lo, 0, v20, vcc_lo
	s_delay_alu instid0(VALU_DEP_4) | instskip(NEXT) | instid1(VALU_DEP_3)
	v_xor_b32_e32 v21, v17, v23
	v_add_co_u32 v2, vcc_lo, v2, v16
	s_delay_alu instid0(VALU_DEP_3) | instskip(SKIP_1) | instid1(VALU_DEP_3)
	v_add_co_ci_u32_e32 v22, vcc_lo, v15, v19, vcc_lo
	v_xor_b32_e32 v24, v18, v23
	v_mul_hi_u32 v25, v21, v2
	s_delay_alu instid0(VALU_DEP_3) | instskip(NEXT) | instid1(VALU_DEP_3)
	v_mad_u64_u32 v[15:16], null, v21, v22, 0
	v_mad_u64_u32 v[17:18], null, v24, v2, 0
	;; [unrolled: 1-line block ×3, first 2 shown]
	s_delay_alu instid0(VALU_DEP_3) | instskip(NEXT) | instid1(VALU_DEP_4)
	v_add_co_u32 v2, vcc_lo, v25, v15
	v_add_co_ci_u32_e32 v15, vcc_lo, 0, v16, vcc_lo
	s_delay_alu instid0(VALU_DEP_2) | instskip(NEXT) | instid1(VALU_DEP_2)
	v_add_co_u32 v2, vcc_lo, v2, v17
	v_add_co_ci_u32_e32 v2, vcc_lo, v15, v18, vcc_lo
	v_add_co_ci_u32_e32 v15, vcc_lo, 0, v20, vcc_lo
	s_delay_alu instid0(VALU_DEP_2) | instskip(NEXT) | instid1(VALU_DEP_2)
	v_add_co_u32 v2, vcc_lo, v2, v19
	v_add_co_ci_u32_e32 v17, vcc_lo, 0, v15, vcc_lo
	s_delay_alu instid0(VALU_DEP_2) | instskip(SKIP_1) | instid1(VALU_DEP_3)
	v_mul_lo_u32 v18, s5, v2
	v_mad_u64_u32 v[15:16], null, s4, v2, 0
	v_mul_lo_u32 v19, s4, v17
	s_delay_alu instid0(VALU_DEP_2) | instskip(NEXT) | instid1(VALU_DEP_2)
	v_sub_co_u32 v15, vcc_lo, v21, v15
	v_add3_u32 v16, v16, v19, v18
	s_delay_alu instid0(VALU_DEP_1) | instskip(NEXT) | instid1(VALU_DEP_1)
	v_sub_nc_u32_e32 v18, v24, v16
	v_subrev_co_ci_u32_e64 v18, s0, s5, v18, vcc_lo
	v_add_co_u32 v19, s0, v2, 2
	s_delay_alu instid0(VALU_DEP_1) | instskip(SKIP_3) | instid1(VALU_DEP_3)
	v_add_co_ci_u32_e64 v20, s0, 0, v17, s0
	v_sub_co_u32 v21, s0, v15, s4
	v_sub_co_ci_u32_e32 v16, vcc_lo, v24, v16, vcc_lo
	v_subrev_co_ci_u32_e64 v18, s0, 0, v18, s0
	v_cmp_le_u32_e32 vcc_lo, s4, v21
	s_delay_alu instid0(VALU_DEP_3) | instskip(SKIP_1) | instid1(VALU_DEP_4)
	v_cmp_eq_u32_e64 s0, s5, v16
	v_cndmask_b32_e64 v21, 0, -1, vcc_lo
	v_cmp_le_u32_e32 vcc_lo, s5, v18
	v_cndmask_b32_e64 v22, 0, -1, vcc_lo
	v_cmp_le_u32_e32 vcc_lo, s4, v15
	;; [unrolled: 2-line block ×3, first 2 shown]
	v_cndmask_b32_e64 v24, 0, -1, vcc_lo
	v_cmp_eq_u32_e32 vcc_lo, s5, v18
	s_delay_alu instid0(VALU_DEP_2) | instskip(SKIP_3) | instid1(VALU_DEP_3)
	v_cndmask_b32_e64 v15, v24, v15, s0
	v_cndmask_b32_e32 v18, v22, v21, vcc_lo
	v_add_co_u32 v21, vcc_lo, v2, 1
	v_add_co_ci_u32_e32 v22, vcc_lo, 0, v17, vcc_lo
	v_cmp_ne_u32_e32 vcc_lo, 0, v18
	s_delay_alu instid0(VALU_DEP_2) | instskip(NEXT) | instid1(VALU_DEP_4)
	v_cndmask_b32_e32 v16, v22, v20, vcc_lo
	v_cndmask_b32_e32 v18, v21, v19, vcc_lo
	v_cmp_ne_u32_e32 vcc_lo, 0, v15
	v_xor_b32_e32 v19, s2, v23
	s_delay_alu instid0(VALU_DEP_3) | instskip(NEXT) | instid1(VALU_DEP_1)
	v_dual_cndmask_b32 v2, v2, v18 :: v_dual_cndmask_b32 v15, v17, v16
                                        ; implicit-def: $vgpr17_vgpr18
	v_xor_b32_e32 v2, v2, v19
	s_delay_alu instid0(VALU_DEP_2) | instskip(NEXT) | instid1(VALU_DEP_2)
	v_xor_b32_e32 v16, v15, v19
	v_sub_co_u32 v15, vcc_lo, v2, v19
	s_delay_alu instid0(VALU_DEP_2)
	v_sub_co_ci_u32_e32 v16, vcc_lo, v16, v19, vcc_lo
.LBB17_18:                              ;   in Loop: Header=BB17_4 Depth=1
	s_and_not1_saveexec_b32 s0, s1
	s_cbranch_execz .LBB17_20
; %bb.19:                               ;   in Loop: Header=BB17_4 Depth=1
	v_cvt_f32_u32_e32 v2, s20
	s_sub_i32 s1, 0, s20
	s_delay_alu instid0(VALU_DEP_1) | instskip(SKIP_2) | instid1(VALU_DEP_1)
	v_rcp_iflag_f32_e32 v2, v2
	s_waitcnt_depctr 0xfff
	v_mul_f32_e32 v2, 0x4f7ffffe, v2
	v_cvt_u32_f32_e32 v2, v2
	s_delay_alu instid0(VALU_DEP_1) | instskip(NEXT) | instid1(VALU_DEP_1)
	v_mul_lo_u32 v15, s1, v2
	v_mul_hi_u32 v15, v2, v15
	s_delay_alu instid0(VALU_DEP_1) | instskip(NEXT) | instid1(VALU_DEP_1)
	v_add_nc_u32_e32 v2, v2, v15
	v_mul_hi_u32 v2, v17, v2
	s_delay_alu instid0(VALU_DEP_1) | instskip(SKIP_1) | instid1(VALU_DEP_2)
	v_mul_lo_u32 v15, v2, s20
	v_add_nc_u32_e32 v16, 1, v2
	v_sub_nc_u32_e32 v15, v17, v15
	s_delay_alu instid0(VALU_DEP_1) | instskip(SKIP_1) | instid1(VALU_DEP_2)
	v_subrev_nc_u32_e32 v17, s20, v15
	v_cmp_le_u32_e32 vcc_lo, s20, v15
	v_dual_cndmask_b32 v15, v15, v17 :: v_dual_cndmask_b32 v2, v2, v16
	s_delay_alu instid0(VALU_DEP_1) | instskip(NEXT) | instid1(VALU_DEP_2)
	v_cmp_le_u32_e32 vcc_lo, s20, v15
	v_add_nc_u32_e32 v16, 1, v2
	s_delay_alu instid0(VALU_DEP_1)
	v_dual_cndmask_b32 v15, v2, v16 :: v_dual_mov_b32 v16, v1
.LBB17_20:                              ;   in Loop: Header=BB17_4 Depth=1
	s_or_b32 exec_lo, exec_lo, s0
	v_mul_lo_u32 v2, s56, v11
	v_mul_lo_u32 v21, s55, v12
	v_mad_u64_u32 v[17:18], null, s55, v11, 0
	v_mul_lo_u32 v24, v12, s33
	v_mul_lo_u32 v25, v11, s42
	v_mad_u64_u32 v[19:20], null, v11, s33, 0
	v_mul_lo_u32 v26, v16, s20
	v_mul_lo_u32 v27, v15, s21
	v_add3_u32 v18, v18, v21, v2
	v_sub_co_u32 v2, vcc_lo, v17, v15
	v_mad_u64_u32 v[21:22], null, v15, s20, 0
	s_delay_alu instid0(VALU_DEP_3) | instskip(NEXT) | instid1(VALU_DEP_3)
	v_sub_co_ci_u32_e32 v23, vcc_lo, v18, v16, vcc_lo
	v_mul_lo_u32 v28, s21, v2
	v_mad_u64_u32 v[17:18], null, s20, v2, 0
	s_delay_alu instid0(VALU_DEP_3)
	v_mul_lo_u32 v29, s20, v23
	v_add3_u32 v20, v20, v25, v24
	v_add3_u32 v22, v22, v27, v26
	v_cmp_lt_i64_e32 vcc_lo, 0, v[15:16]
	v_cmp_ge_i64_e64 s0, s[12:13], v[15:16]
	v_add_co_u32 v24, s1, v3, v17
	v_add3_u32 v18, v18, v29, v28
	s_delay_alu instid0(VALU_DEP_3) | instskip(NEXT) | instid1(VALU_DEP_1)
	s_and_b32 s0, vcc_lo, s0
	v_add_co_ci_u32_e64 v25, s1, v4, v18, s1
	v_sub_co_u32 v19, s1, v3, v19
	s_delay_alu instid0(VALU_DEP_1) | instskip(SKIP_1) | instid1(VALU_DEP_4)
	v_sub_co_ci_u32_e64 v20, s1, v4, v20, s1
	v_cmp_eq_u64_e64 s1, v[17:18], v[5:6]
	v_cmp_lt_i64_e64 s2, s[10:11], v[24:25]
	v_cmp_gt_i64_e64 s3, s[28:29], v[24:25]
	v_cmp_le_i64_e64 s4, s[30:31], v[24:25]
	v_sub_co_u32 v26, s5, v19, v21
	s_delay_alu instid0(VALU_DEP_1) | instskip(SKIP_2) | instid1(VALU_DEP_4)
	v_sub_co_ci_u32_e64 v27, s5, v20, v22, s5
	v_dual_mov_b32 v24, 0 :: v_dual_mov_b32 v25, 0
	s_or_b32 s5, s1, s2
	s_and_b32 s2, s3, s4
	s_and_saveexec_b32 s3, s0
	s_cbranch_execz .LBB17_30
; %bb.21:                               ;   in Loop: Header=BB17_4 Depth=1
	v_sub_co_u32 v21, vcc_lo, s12, v15
	v_sub_co_ci_u32_e32 v19, vcc_lo, s13, v16, vcc_lo
	s_mov_b32 s1, 0
	s_delay_alu instid0(VALU_DEP_2) | instskip(SKIP_1) | instid1(VALU_DEP_2)
	v_mul_lo_u32 v24, v21, s45
	s_mov_b32 s0, exec_lo
	v_mul_lo_u32 v22, v19, s44
	v_mad_u64_u32 v[19:20], null, v21, s44, 0
	v_add_co_u32 v21, vcc_lo, s10, v3
	s_delay_alu instid0(VALU_DEP_2) | instskip(SKIP_1) | instid1(VALU_DEP_4)
	v_add3_u32 v20, v20, v24, v22
	v_add_co_ci_u32_e32 v22, vcc_lo, s11, v4, vcc_lo
	v_add_co_u32 v24, vcc_lo, v17, v19
	s_delay_alu instid0(VALU_DEP_3) | instskip(NEXT) | instid1(VALU_DEP_2)
	v_add_co_ci_u32_e32 v25, vcc_lo, v18, v20, vcc_lo
	v_add_co_u32 v21, vcc_lo, v21, v24
	s_delay_alu instid0(VALU_DEP_2) | instskip(SKIP_1) | instid1(VALU_DEP_2)
	v_add_co_ci_u32_e32 v22, vcc_lo, v22, v25, vcc_lo
	v_dual_mov_b32 v25, 0 :: v_dual_mov_b32 v24, 0
	v_cmpx_gt_i64_e64 s[14:15], v[21:22]
	s_cbranch_execz .LBB17_23
; %bb.22:                               ;   in Loop: Header=BB17_4 Depth=1
	v_mul_lo_u32 v30, s47, v9
	v_mul_lo_u32 v31, s52, v10
	v_mad_u64_u32 v[24:25], null, s52, v9, 0
	v_mul_lo_u32 v32, v14, s14
	v_mul_lo_u32 v33, v13, s15
	v_mad_u64_u32 v[28:29], null, v13, s14, 0
	v_lshlrev_b64 v[21:22], 3, v[21:22]
	v_add3_u32 v25, v25, v31, v30
	s_delay_alu instid0(VALU_DEP_3) | instskip(NEXT) | instid1(VALU_DEP_2)
	v_add3_u32 v29, v29, v33, v32
	v_lshlrev_b64 v[24:25], 3, v[24:25]
	s_delay_alu instid0(VALU_DEP_2) | instskip(NEXT) | instid1(VALU_DEP_2)
	v_lshlrev_b64 v[28:29], 3, v[28:29]
	v_add_co_u32 v24, vcc_lo, s18, v24
	s_delay_alu instid0(VALU_DEP_3) | instskip(NEXT) | instid1(VALU_DEP_2)
	v_add_co_ci_u32_e32 v25, vcc_lo, s19, v25, vcc_lo
	v_add_co_u32 v24, vcc_lo, v24, v28
	s_delay_alu instid0(VALU_DEP_2) | instskip(NEXT) | instid1(VALU_DEP_2)
	v_add_co_ci_u32_e32 v25, vcc_lo, v25, v29, vcc_lo
	v_add_co_u32 v21, vcc_lo, v24, v21
	s_delay_alu instid0(VALU_DEP_2)
	v_add_co_ci_u32_e32 v22, vcc_lo, v25, v22, vcc_lo
	global_load_b64 v[21:22], v[21:22], off
	s_waitcnt vmcnt(0)
	v_dual_add_f32 v25, 0, v21 :: v_dual_add_f32 v24, 0, v22
.LBB17_23:                              ;   in Loop: Header=BB17_4 Depth=1
	s_or_b32 exec_lo, exec_lo, s0
                                        ; implicit-def: $vgpr21_vgpr22
	s_and_saveexec_b32 s0, s5
	s_delay_alu instid0(SALU_CYCLE_1)
	s_xor_b32 s4, exec_lo, s0
	s_cbranch_execz .LBB17_49
; %bb.24:                               ;   in Loop: Header=BB17_4 Depth=1
	s_mov_b32 s0, 0
                                        ; implicit-def: $vgpr21_vgpr22
	s_and_saveexec_b32 s1, s2
	s_delay_alu instid0(SALU_CYCLE_1)
	s_xor_b32 s62, exec_lo, s1
	s_cbranch_execz .LBB17_26
; %bb.25:                               ;   in Loop: Header=BB17_4 Depth=1
	v_mad_u64_u32 v[21:22], null, s22, v11, v[15:16]
	v_mul_lo_u32 v28, s22, v12
	v_mul_lo_u32 v29, s23, v11
	s_delay_alu instid0(VALU_DEP_1) | instskip(NEXT) | instid1(VALU_DEP_4)
	v_add3_u32 v22, v29, v22, v28
	v_add_co_u32 v28, vcc_lo, v21, 2
	s_delay_alu instid0(VALU_DEP_2) | instskip(NEXT) | instid1(VALU_DEP_2)
	v_add_co_ci_u32_e32 v29, vcc_lo, 0, v22, vcc_lo
	v_mul_lo_u32 v30, s21, v28
	v_mad_u64_u32 v[21:22], null, s20, v28, v[19:20]
	s_delay_alu instid0(VALU_DEP_3) | instskip(SKIP_2) | instid1(VALU_DEP_2)
	v_mul_lo_u32 v28, s20, v29
	v_add_co_u32 v29, vcc_lo, s10, v5
	v_add_co_ci_u32_e32 v31, vcc_lo, s11, v6, vcc_lo
	v_add_co_u32 v21, vcc_lo, v29, v21
	s_delay_alu instid0(VALU_DEP_4) | instskip(NEXT) | instid1(VALU_DEP_1)
	v_add3_u32 v22, v30, v22, v28
	v_add_co_ci_u32_e32 v22, vcc_lo, v31, v22, vcc_lo
	s_delay_alu instid0(VALU_DEP_3) | instskip(NEXT) | instid1(VALU_DEP_2)
	v_add_co_u32 v21, vcc_lo, v21, -2
	v_add_co_ci_u32_e32 v22, vcc_lo, -1, v22, vcc_lo
	v_sub_co_u32 v28, vcc_lo, s48, v26
	v_sub_co_ci_u32_e32 v29, vcc_lo, s49, v27, vcc_lo
	s_delay_alu instid0(VALU_DEP_3) | instskip(SKIP_1) | instid1(VALU_DEP_4)
	v_cmp_lt_i64_e32 vcc_lo, -1, v[21:22]
	v_cmp_gt_i64_e64 s0, s[14:15], v[21:22]
	v_add_co_u32 v21, s1, v28, v19
	s_delay_alu instid0(VALU_DEP_1) | instskip(NEXT) | instid1(VALU_DEP_3)
	v_add_co_ci_u32_e64 v22, s1, v29, v20, s1
	s_and_b32 s0, vcc_lo, s0
	s_delay_alu instid0(SALU_CYCLE_1)
	s_and_b32 s0, s0, exec_lo
.LBB17_26:                              ;   in Loop: Header=BB17_4 Depth=1
	s_or_b32 exec_lo, exec_lo, s62
	s_delay_alu instid0(SALU_CYCLE_1)
	s_and_b32 s1, s0, exec_lo
                                        ; implicit-def: $vgpr19_vgpr20
	s_and_not1_saveexec_b32 s4, s4
	s_cbranch_execnz .LBB17_50
.LBB17_27:                              ;   in Loop: Header=BB17_4 Depth=1
	s_or_b32 exec_lo, exec_lo, s4
	s_and_saveexec_b32 s0, s1
	s_cbranch_execz .LBB17_29
.LBB17_28:                              ;   in Loop: Header=BB17_4 Depth=1
	v_mul_lo_u32 v30, s47, v9
	v_mul_lo_u32 v31, s52, v10
	v_mad_u64_u32 v[19:20], null, s52, v9, 0
	v_mul_lo_u32 v32, v14, s14
	v_mul_lo_u32 v33, v13, s15
	v_mad_u64_u32 v[28:29], null, v13, s14, 0
	s_delay_alu instid0(VALU_DEP_4) | instskip(NEXT) | instid1(VALU_DEP_2)
	v_add3_u32 v20, v20, v31, v30
	v_add3_u32 v29, v29, v33, v32
	s_delay_alu instid0(VALU_DEP_2) | instskip(NEXT) | instid1(VALU_DEP_2)
	v_lshlrev_b64 v[19:20], 3, v[19:20]
	v_lshlrev_b64 v[28:29], 3, v[28:29]
	s_delay_alu instid0(VALU_DEP_2) | instskip(NEXT) | instid1(VALU_DEP_3)
	v_add_co_u32 v30, vcc_lo, s18, v19
	v_add_co_ci_u32_e32 v31, vcc_lo, s19, v20, vcc_lo
	v_lshlrev_b64 v[19:20], 3, v[21:22]
	s_delay_alu instid0(VALU_DEP_3) | instskip(NEXT) | instid1(VALU_DEP_3)
	v_add_co_u32 v21, vcc_lo, v30, v28
	v_add_co_ci_u32_e32 v22, vcc_lo, v31, v29, vcc_lo
	s_delay_alu instid0(VALU_DEP_2) | instskip(NEXT) | instid1(VALU_DEP_2)
	v_add_co_u32 v19, vcc_lo, v21, v19
	v_add_co_ci_u32_e32 v20, vcc_lo, v22, v20, vcc_lo
	global_load_b64 v[19:20], v[19:20], off
	s_waitcnt vmcnt(0)
	v_dual_add_f32 v25, v25, v19 :: v_dual_add_f32 v24, v24, v20
.LBB17_29:                              ;   in Loop: Header=BB17_4 Depth=1
	s_or_b32 exec_lo, exec_lo, s0
.LBB17_30:                              ;   in Loop: Header=BB17_4 Depth=1
	s_delay_alu instid0(SALU_CYCLE_1) | instskip(SKIP_2) | instid1(VALU_DEP_1)
	s_or_b32 exec_lo, exec_lo, s3
	v_cmp_gt_i64_e32 vcc_lo, s[24:25], v[15:16]
	v_cmp_le_i64_e64 s0, s[26:27], v[15:16]
	s_and_b32 s0, vcc_lo, s0
	s_delay_alu instid0(SALU_CYCLE_1)
	s_and_saveexec_b32 s3, s0
	s_cbranch_execz .LBB17_40
; %bb.31:                               ;   in Loop: Header=BB17_4 Depth=1
	v_sub_co_u32 v21, vcc_lo, s50, v15
	v_sub_co_ci_u32_e32 v19, vcc_lo, s51, v16, vcc_lo
	s_delay_alu instid0(VALU_DEP_2) | instskip(NEXT) | instid1(VALU_DEP_2)
	v_mul_lo_u32 v22, s45, v21
	v_mul_lo_u32 v28, s44, v19
	v_mad_u64_u32 v[19:20], null, s44, v21, 0
	v_add_co_u32 v21, vcc_lo, s10, v3
	s_delay_alu instid0(VALU_DEP_2) | instskip(SKIP_1) | instid1(VALU_DEP_4)
	v_add3_u32 v20, v20, v28, v22
	v_add_co_ci_u32_e32 v22, vcc_lo, s11, v4, vcc_lo
	v_add_co_u32 v28, vcc_lo, v19, v17
	s_delay_alu instid0(VALU_DEP_3) | instskip(NEXT) | instid1(VALU_DEP_2)
	v_add_co_ci_u32_e32 v29, vcc_lo, v20, v18, vcc_lo
	v_add_co_u32 v21, vcc_lo, v21, v28
	s_delay_alu instid0(VALU_DEP_2) | instskip(NEXT) | instid1(VALU_DEP_1)
	v_add_co_ci_u32_e32 v22, vcc_lo, v22, v29, vcc_lo
	v_cmp_lt_i64_e32 vcc_lo, -1, v[21:22]
	v_cmp_gt_i64_e64 s0, s[14:15], v[21:22]
	s_delay_alu instid0(VALU_DEP_1) | instskip(NEXT) | instid1(SALU_CYCLE_1)
	s_and_b32 s1, vcc_lo, s0
	s_and_saveexec_b32 s0, s1
	s_cbranch_execz .LBB17_33
; %bb.32:                               ;   in Loop: Header=BB17_4 Depth=1
	v_mul_lo_u32 v32, s47, v9
	v_mul_lo_u32 v33, s52, v10
	v_mad_u64_u32 v[28:29], null, s52, v9, 0
	v_mul_lo_u32 v34, v14, s14
	v_mul_lo_u32 v35, v13, s15
	v_mad_u64_u32 v[30:31], null, v13, s14, 0
	v_lshlrev_b64 v[21:22], 3, v[21:22]
	v_add3_u32 v29, v29, v33, v32
	s_delay_alu instid0(VALU_DEP_3) | instskip(NEXT) | instid1(VALU_DEP_2)
	v_add3_u32 v31, v31, v35, v34
	v_lshlrev_b64 v[28:29], 3, v[28:29]
	s_delay_alu instid0(VALU_DEP_2) | instskip(NEXT) | instid1(VALU_DEP_2)
	v_lshlrev_b64 v[30:31], 3, v[30:31]
	v_add_co_u32 v28, vcc_lo, s18, v28
	s_delay_alu instid0(VALU_DEP_3) | instskip(NEXT) | instid1(VALU_DEP_2)
	v_add_co_ci_u32_e32 v29, vcc_lo, s19, v29, vcc_lo
	v_add_co_u32 v28, vcc_lo, v28, v30
	s_delay_alu instid0(VALU_DEP_2) | instskip(NEXT) | instid1(VALU_DEP_2)
	v_add_co_ci_u32_e32 v29, vcc_lo, v29, v31, vcc_lo
	v_add_co_u32 v21, vcc_lo, v28, v21
	s_delay_alu instid0(VALU_DEP_2)
	v_add_co_ci_u32_e32 v22, vcc_lo, v29, v22, vcc_lo
	global_load_b64 v[21:22], v[21:22], off
	s_waitcnt vmcnt(0)
	v_dual_add_f32 v25, v25, v21 :: v_dual_add_f32 v24, v24, v22
.LBB17_33:                              ;   in Loop: Header=BB17_4 Depth=1
	s_or_b32 exec_lo, exec_lo, s0
	s_mov_b32 s1, 0
                                        ; implicit-def: $vgpr21_vgpr22
	s_and_saveexec_b32 s0, s5
	s_delay_alu instid0(SALU_CYCLE_1)
	s_xor_b32 s4, exec_lo, s0
	s_cbranch_execz .LBB17_51
; %bb.34:                               ;   in Loop: Header=BB17_4 Depth=1
	s_mov_b32 s0, 0
                                        ; implicit-def: $vgpr21_vgpr22
	s_and_saveexec_b32 s1, s2
	s_delay_alu instid0(SALU_CYCLE_1)
	s_xor_b32 s62, exec_lo, s1
	s_cbranch_execz .LBB17_36
; %bb.35:                               ;   in Loop: Header=BB17_4 Depth=1
	v_mad_u64_u32 v[21:22], null, s22, v11, v[15:16]
	v_mul_lo_u32 v28, s22, v12
	v_mul_lo_u32 v29, s23, v11
	s_delay_alu instid0(VALU_DEP_1) | instskip(NEXT) | instid1(VALU_DEP_4)
	v_add3_u32 v22, v29, v22, v28
	v_add_co_u32 v28, vcc_lo, v21, 2
	s_delay_alu instid0(VALU_DEP_2) | instskip(NEXT) | instid1(VALU_DEP_2)
	v_add_co_ci_u32_e32 v29, vcc_lo, 0, v22, vcc_lo
	v_mul_lo_u32 v30, s21, v28
	v_mad_u64_u32 v[21:22], null, s20, v28, v[19:20]
	s_delay_alu instid0(VALU_DEP_3) | instskip(SKIP_2) | instid1(VALU_DEP_2)
	v_mul_lo_u32 v28, s20, v29
	v_add_co_u32 v29, vcc_lo, s10, v5
	v_add_co_ci_u32_e32 v31, vcc_lo, s11, v6, vcc_lo
	v_add_co_u32 v21, vcc_lo, v29, v21
	s_delay_alu instid0(VALU_DEP_4) | instskip(NEXT) | instid1(VALU_DEP_1)
	v_add3_u32 v22, v30, v22, v28
	v_add_co_ci_u32_e32 v22, vcc_lo, v31, v22, vcc_lo
	s_delay_alu instid0(VALU_DEP_3) | instskip(NEXT) | instid1(VALU_DEP_2)
	v_add_co_u32 v21, vcc_lo, v21, -2
	v_add_co_ci_u32_e32 v22, vcc_lo, -1, v22, vcc_lo
	v_add_co_u32 v19, vcc_lo, s53, v19
	v_add_co_ci_u32_e32 v20, vcc_lo, s54, v20, vcc_lo
	s_delay_alu instid0(VALU_DEP_3) | instskip(SKIP_1) | instid1(VALU_DEP_4)
	v_cmp_lt_i64_e32 vcc_lo, -1, v[21:22]
	v_cmp_gt_i64_e64 s0, s[14:15], v[21:22]
	v_sub_co_u32 v21, s1, v19, v26
	s_delay_alu instid0(VALU_DEP_1) | instskip(NEXT) | instid1(VALU_DEP_3)
	v_sub_co_ci_u32_e64 v22, s1, v20, v27, s1
	s_and_b32 s0, vcc_lo, s0
	s_delay_alu instid0(SALU_CYCLE_1)
	s_and_b32 s0, s0, exec_lo
.LBB17_36:                              ;   in Loop: Header=BB17_4 Depth=1
	s_or_b32 exec_lo, exec_lo, s62
	s_delay_alu instid0(SALU_CYCLE_1)
	s_and_b32 s1, s0, exec_lo
                                        ; implicit-def: $vgpr19_vgpr20
	s_and_not1_saveexec_b32 s4, s4
	s_cbranch_execnz .LBB17_52
.LBB17_37:                              ;   in Loop: Header=BB17_4 Depth=1
	s_or_b32 exec_lo, exec_lo, s4
	s_and_saveexec_b32 s0, s1
	s_cbranch_execz .LBB17_39
.LBB17_38:                              ;   in Loop: Header=BB17_4 Depth=1
	v_mul_lo_u32 v28, s47, v9
	v_mul_lo_u32 v29, s52, v10
	v_mad_u64_u32 v[19:20], null, s52, v9, 0
	v_mul_lo_u32 v30, v14, s14
	v_mul_lo_u32 v31, v13, s15
	v_mad_u64_u32 v[26:27], null, v13, s14, 0
	s_delay_alu instid0(VALU_DEP_4) | instskip(NEXT) | instid1(VALU_DEP_2)
	v_add3_u32 v20, v20, v29, v28
	v_add3_u32 v27, v27, v31, v30
	s_delay_alu instid0(VALU_DEP_2) | instskip(NEXT) | instid1(VALU_DEP_2)
	v_lshlrev_b64 v[19:20], 3, v[19:20]
	v_lshlrev_b64 v[26:27], 3, v[26:27]
	s_delay_alu instid0(VALU_DEP_2) | instskip(NEXT) | instid1(VALU_DEP_3)
	v_add_co_u32 v28, vcc_lo, s18, v19
	v_add_co_ci_u32_e32 v29, vcc_lo, s19, v20, vcc_lo
	v_lshlrev_b64 v[19:20], 3, v[21:22]
	s_delay_alu instid0(VALU_DEP_3) | instskip(NEXT) | instid1(VALU_DEP_3)
	v_add_co_u32 v21, vcc_lo, v28, v26
	v_add_co_ci_u32_e32 v22, vcc_lo, v29, v27, vcc_lo
	s_delay_alu instid0(VALU_DEP_2) | instskip(NEXT) | instid1(VALU_DEP_2)
	v_add_co_u32 v19, vcc_lo, v21, v19
	v_add_co_ci_u32_e32 v20, vcc_lo, v22, v20, vcc_lo
	global_load_b64 v[19:20], v[19:20], off
	s_waitcnt vmcnt(0)
	v_dual_add_f32 v25, v25, v19 :: v_dual_add_f32 v24, v24, v20
.LBB17_39:                              ;   in Loop: Header=BB17_4 Depth=1
	s_or_b32 exec_lo, exec_lo, s0
.LBB17_40:                              ;   in Loop: Header=BB17_4 Depth=1
	s_delay_alu instid0(SALU_CYCLE_1) | instskip(SKIP_1) | instid1(SALU_CYCLE_1)
	s_or_b32 exec_lo, exec_lo, s3
                                        ; implicit-def: $vgpr19_vgpr20
	s_and_saveexec_b32 s0, s5
	s_xor_b32 s0, exec_lo, s0
	s_cbranch_execz .LBB17_43
; %bb.41:                               ;   in Loop: Header=BB17_4 Depth=1
	v_add_co_u32 v17, vcc_lo, v15, s12
	v_add_co_ci_u32_e32 v18, vcc_lo, s13, v16, vcc_lo
	s_delay_alu instid0(VALU_DEP_2) | instskip(SKIP_1) | instid1(VALU_DEP_3)
	v_mul_lo_u32 v21, v17, s45
	v_mad_u64_u32 v[19:20], null, v17, s44, 0
	v_mul_lo_u32 v18, v18, s44
	s_delay_alu instid0(VALU_DEP_1)
	v_add3_u32 v20, v20, v21, v18
                                        ; implicit-def: $vgpr17_vgpr18
	s_and_not1_saveexec_b32 s1, s0
	s_cbranch_execnz .LBB17_44
.LBB17_42:                              ;   in Loop: Header=BB17_4 Depth=1
	s_or_b32 exec_lo, exec_lo, s1
	s_and_saveexec_b32 s1, s2
	s_cbranch_execz .LBB17_3
	s_branch .LBB17_47
.LBB17_43:                              ;   in Loop: Header=BB17_4 Depth=1
	s_and_not1_saveexec_b32 s1, s0
	s_cbranch_execz .LBB17_42
.LBB17_44:                              ;   in Loop: Header=BB17_4 Depth=1
	v_add_co_u32 v21, vcc_lo, v15, s12
	v_add_co_ci_u32_e32 v19, vcc_lo, s13, v16, vcc_lo
	s_delay_alu instid0(VALU_DEP_2) | instskip(NEXT) | instid1(VALU_DEP_2)
	v_mul_lo_u32 v26, v21, s45
	v_mul_lo_u32 v22, v19, s44
	v_mad_u64_u32 v[19:20], null, v21, s44, 0
	v_add_co_u32 v21, vcc_lo, s10, v5
	s_delay_alu instid0(VALU_DEP_2) | instskip(SKIP_1) | instid1(VALU_DEP_4)
	v_add3_u32 v20, v20, v26, v22
	v_add_co_ci_u32_e32 v22, vcc_lo, s11, v6, vcc_lo
	v_sub_co_u32 v17, vcc_lo, v19, v17
	s_delay_alu instid0(VALU_DEP_3) | instskip(NEXT) | instid1(VALU_DEP_2)
	v_sub_co_ci_u32_e32 v18, vcc_lo, v20, v18, vcc_lo
	v_add_co_u32 v17, vcc_lo, v21, v17
	s_delay_alu instid0(VALU_DEP_2) | instskip(NEXT) | instid1(VALU_DEP_1)
	v_add_co_ci_u32_e32 v18, vcc_lo, v22, v18, vcc_lo
	v_cmp_lt_i64_e32 vcc_lo, -1, v[17:18]
	v_cmp_gt_i64_e64 s0, s[14:15], v[17:18]
	s_delay_alu instid0(VALU_DEP_1) | instskip(NEXT) | instid1(SALU_CYCLE_1)
	s_and_b32 s3, vcc_lo, s0
	s_and_saveexec_b32 s0, s3
	s_cbranch_execz .LBB17_46
; %bb.45:                               ;   in Loop: Header=BB17_4 Depth=1
	v_mul_lo_u32 v28, s47, v9
	v_mul_lo_u32 v29, s52, v10
	v_mad_u64_u32 v[21:22], null, s52, v9, 0
	v_mul_lo_u32 v30, v14, s14
	v_mul_lo_u32 v31, v13, s15
	v_mad_u64_u32 v[26:27], null, v13, s14, 0
	v_lshlrev_b64 v[17:18], 3, v[17:18]
	v_add3_u32 v22, v22, v29, v28
	s_delay_alu instid0(VALU_DEP_3) | instskip(NEXT) | instid1(VALU_DEP_2)
	v_add3_u32 v27, v27, v31, v30
	v_lshlrev_b64 v[21:22], 3, v[21:22]
	s_delay_alu instid0(VALU_DEP_2) | instskip(NEXT) | instid1(VALU_DEP_2)
	v_lshlrev_b64 v[26:27], 3, v[26:27]
	v_add_co_u32 v21, vcc_lo, s18, v21
	s_delay_alu instid0(VALU_DEP_3) | instskip(NEXT) | instid1(VALU_DEP_2)
	v_add_co_ci_u32_e32 v22, vcc_lo, s19, v22, vcc_lo
	v_add_co_u32 v21, vcc_lo, v21, v26
	s_delay_alu instid0(VALU_DEP_2) | instskip(NEXT) | instid1(VALU_DEP_2)
	v_add_co_ci_u32_e32 v22, vcc_lo, v22, v27, vcc_lo
	v_add_co_u32 v17, vcc_lo, v21, v17
	s_delay_alu instid0(VALU_DEP_2)
	v_add_co_ci_u32_e32 v18, vcc_lo, v22, v18, vcc_lo
	global_load_b64 v[17:18], v[17:18], off
	s_waitcnt vmcnt(0)
	v_dual_add_f32 v25, v25, v17 :: v_dual_add_f32 v24, v24, v18
.LBB17_46:                              ;   in Loop: Header=BB17_4 Depth=1
	s_or_b32 exec_lo, exec_lo, s0
	s_delay_alu instid0(SALU_CYCLE_1)
	s_or_b32 exec_lo, exec_lo, s1
	s_and_saveexec_b32 s1, s2
	s_cbranch_execz .LBB17_3
.LBB17_47:                              ;   in Loop: Header=BB17_4 Depth=1
	v_mad_u64_u32 v[17:18], null, s22, v11, v[15:16]
	v_mul_lo_u32 v12, s22, v12
	v_mul_lo_u32 v11, s23, v11
	s_delay_alu instid0(VALU_DEP_3) | instskip(NEXT) | instid1(VALU_DEP_2)
	v_add_co_u32 v15, vcc_lo, v17, 2
	v_add3_u32 v11, v11, v18, v12
	s_delay_alu instid0(VALU_DEP_2) | instskip(NEXT) | instid1(VALU_DEP_2)
	v_mul_lo_u32 v17, s21, v15
	v_add_co_ci_u32_e32 v16, vcc_lo, 0, v11, vcc_lo
	v_mad_u64_u32 v[11:12], null, s20, v15, v[19:20]
	s_delay_alu instid0(VALU_DEP_2) | instskip(SKIP_2) | instid1(VALU_DEP_2)
	v_mul_lo_u32 v15, s20, v16
	v_add_co_u32 v16, vcc_lo, s10, v5
	v_add_co_ci_u32_e32 v18, vcc_lo, s11, v6, vcc_lo
	v_add_co_u32 v11, vcc_lo, v16, v11
	s_delay_alu instid0(VALU_DEP_4) | instskip(NEXT) | instid1(VALU_DEP_1)
	v_add3_u32 v12, v17, v12, v15
	v_add_co_ci_u32_e32 v12, vcc_lo, v18, v12, vcc_lo
	s_delay_alu instid0(VALU_DEP_3) | instskip(NEXT) | instid1(VALU_DEP_2)
	v_add_co_u32 v11, vcc_lo, v11, -2
	v_add_co_ci_u32_e32 v12, vcc_lo, -1, v12, vcc_lo
	s_delay_alu instid0(VALU_DEP_1) | instskip(SKIP_1) | instid1(VALU_DEP_1)
	v_cmp_lt_i64_e32 vcc_lo, -1, v[11:12]
	v_cmp_gt_i64_e64 s0, s[14:15], v[11:12]
	s_and_b32 s2, vcc_lo, s0
	s_delay_alu instid0(SALU_CYCLE_1)
	s_and_saveexec_b32 s0, s2
	s_cbranch_execz .LBB17_2
; %bb.48:                               ;   in Loop: Header=BB17_4 Depth=1
	v_mul_lo_u32 v21, s47, v9
	v_mul_lo_u32 v22, s52, v10
	v_mad_u64_u32 v[15:16], null, s52, v9, 0
	v_mul_lo_u32 v26, v14, s14
	v_mul_lo_u32 v27, v13, s15
	v_mad_u64_u32 v[17:18], null, v13, s14, 0
	v_lshlrev_b64 v[11:12], 3, v[11:12]
	v_add3_u32 v16, v16, v22, v21
	s_delay_alu instid0(VALU_DEP_3) | instskip(NEXT) | instid1(VALU_DEP_2)
	v_add3_u32 v18, v18, v27, v26
	v_lshlrev_b64 v[15:16], 3, v[15:16]
	s_delay_alu instid0(VALU_DEP_2) | instskip(NEXT) | instid1(VALU_DEP_2)
	v_lshlrev_b64 v[17:18], 3, v[17:18]
	v_add_co_u32 v15, vcc_lo, s18, v15
	s_delay_alu instid0(VALU_DEP_3) | instskip(NEXT) | instid1(VALU_DEP_2)
	v_add_co_ci_u32_e32 v16, vcc_lo, s19, v16, vcc_lo
	v_add_co_u32 v15, vcc_lo, v15, v17
	s_delay_alu instid0(VALU_DEP_2) | instskip(NEXT) | instid1(VALU_DEP_2)
	v_add_co_ci_u32_e32 v16, vcc_lo, v16, v18, vcc_lo
	v_add_co_u32 v11, vcc_lo, v15, v11
	s_delay_alu instid0(VALU_DEP_2)
	v_add_co_ci_u32_e32 v12, vcc_lo, v16, v12, vcc_lo
	global_load_b64 v[11:12], v[11:12], off
	s_waitcnt vmcnt(0)
	v_dual_add_f32 v25, v25, v11 :: v_dual_add_f32 v24, v24, v12
	s_branch .LBB17_2
.LBB17_49:                              ;   in Loop: Header=BB17_4 Depth=1
	s_and_not1_saveexec_b32 s4, s4
	s_cbranch_execz .LBB17_27
.LBB17_50:                              ;   in Loop: Header=BB17_4 Depth=1
	v_sub_co_u32 v19, vcc_lo, v19, v17
	v_sub_co_ci_u32_e32 v20, vcc_lo, v20, v18, vcc_lo
	v_add_co_u32 v21, vcc_lo, s10, v5
	v_add_co_ci_u32_e32 v22, vcc_lo, s11, v6, vcc_lo
	s_and_not1_b32 s1, s1, exec_lo
	s_delay_alu instid0(VALU_DEP_2) | instskip(NEXT) | instid1(VALU_DEP_2)
	v_add_co_u32 v21, vcc_lo, v21, v19
	v_add_co_ci_u32_e32 v22, vcc_lo, v22, v20, vcc_lo
	s_delay_alu instid0(VALU_DEP_1) | instskip(SKIP_1) | instid1(VALU_DEP_1)
	v_cmp_lt_i64_e32 vcc_lo, -1, v[21:22]
	v_cmp_gt_i64_e64 s0, s[14:15], v[21:22]
	s_and_b32 s0, vcc_lo, s0
	s_delay_alu instid0(SALU_CYCLE_1) | instskip(NEXT) | instid1(SALU_CYCLE_1)
	s_and_b32 s0, s0, exec_lo
	s_or_b32 s1, s1, s0
	s_or_b32 exec_lo, exec_lo, s4
	s_and_saveexec_b32 s0, s1
	s_cbranch_execnz .LBB17_28
	s_branch .LBB17_29
.LBB17_51:                              ;   in Loop: Header=BB17_4 Depth=1
	s_and_not1_saveexec_b32 s4, s4
	s_cbranch_execz .LBB17_37
.LBB17_52:                              ;   in Loop: Header=BB17_4 Depth=1
	v_sub_co_u32 v19, vcc_lo, v19, v17
	v_sub_co_ci_u32_e32 v20, vcc_lo, v20, v18, vcc_lo
	v_add_co_u32 v21, vcc_lo, s10, v5
	v_add_co_ci_u32_e32 v22, vcc_lo, s11, v6, vcc_lo
	s_and_not1_b32 s1, s1, exec_lo
	s_delay_alu instid0(VALU_DEP_2) | instskip(NEXT) | instid1(VALU_DEP_2)
	v_add_co_u32 v21, vcc_lo, v21, v19
	v_add_co_ci_u32_e32 v22, vcc_lo, v22, v20, vcc_lo
	s_delay_alu instid0(VALU_DEP_1) | instskip(SKIP_1) | instid1(VALU_DEP_1)
	v_cmp_lt_i64_e32 vcc_lo, -1, v[21:22]
	v_cmp_gt_i64_e64 s0, s[14:15], v[21:22]
	s_and_b32 s0, vcc_lo, s0
	s_delay_alu instid0(SALU_CYCLE_1) | instskip(NEXT) | instid1(SALU_CYCLE_1)
	s_and_b32 s0, s0, exec_lo
	s_or_b32 s1, s1, s0
	s_or_b32 exec_lo, exec_lo, s4
	s_and_saveexec_b32 s0, s1
	s_cbranch_execnz .LBB17_38
	s_branch .LBB17_39
.LBB17_53:
	s_nop 0
	s_sendmsg sendmsg(MSG_DEALLOC_VGPRS)
	s_endpgm
	.section	.rodata,"a",@progbits
	.p2align	6, 0x0
	.amdhsa_kernel _ZN2at6native12_GLOBAL__N_140reflection_pad2d_backward_det_out_kernelIN3c107complexIfEEEEvPT_PKS6_lliiiiiii
		.amdhsa_group_segment_fixed_size 0
		.amdhsa_private_segment_fixed_size 0
		.amdhsa_kernarg_size 320
		.amdhsa_user_sgpr_count 15
		.amdhsa_user_sgpr_dispatch_ptr 0
		.amdhsa_user_sgpr_queue_ptr 0
		.amdhsa_user_sgpr_kernarg_segment_ptr 1
		.amdhsa_user_sgpr_dispatch_id 0
		.amdhsa_user_sgpr_private_segment_size 0
		.amdhsa_wavefront_size32 1
		.amdhsa_uses_dynamic_stack 0
		.amdhsa_enable_private_segment 0
		.amdhsa_system_sgpr_workgroup_id_x 1
		.amdhsa_system_sgpr_workgroup_id_y 0
		.amdhsa_system_sgpr_workgroup_id_z 0
		.amdhsa_system_sgpr_workgroup_info 0
		.amdhsa_system_vgpr_workitem_id 0
		.amdhsa_next_free_vgpr 36
		.amdhsa_next_free_sgpr 63
		.amdhsa_reserve_vcc 1
		.amdhsa_float_round_mode_32 0
		.amdhsa_float_round_mode_16_64 0
		.amdhsa_float_denorm_mode_32 3
		.amdhsa_float_denorm_mode_16_64 3
		.amdhsa_dx10_clamp 1
		.amdhsa_ieee_mode 1
		.amdhsa_fp16_overflow 0
		.amdhsa_workgroup_processor_mode 1
		.amdhsa_memory_ordered 1
		.amdhsa_forward_progress 0
		.amdhsa_shared_vgpr_count 0
		.amdhsa_exception_fp_ieee_invalid_op 0
		.amdhsa_exception_fp_denorm_src 0
		.amdhsa_exception_fp_ieee_div_zero 0
		.amdhsa_exception_fp_ieee_overflow 0
		.amdhsa_exception_fp_ieee_underflow 0
		.amdhsa_exception_fp_ieee_inexact 0
		.amdhsa_exception_int_div_zero 0
	.end_amdhsa_kernel
	.section	.text._ZN2at6native12_GLOBAL__N_140reflection_pad2d_backward_det_out_kernelIN3c107complexIfEEEEvPT_PKS6_lliiiiiii,"axG",@progbits,_ZN2at6native12_GLOBAL__N_140reflection_pad2d_backward_det_out_kernelIN3c107complexIfEEEEvPT_PKS6_lliiiiiii,comdat
.Lfunc_end17:
	.size	_ZN2at6native12_GLOBAL__N_140reflection_pad2d_backward_det_out_kernelIN3c107complexIfEEEEvPT_PKS6_lliiiiiii, .Lfunc_end17-_ZN2at6native12_GLOBAL__N_140reflection_pad2d_backward_det_out_kernelIN3c107complexIfEEEEvPT_PKS6_lliiiiiii
                                        ; -- End function
	.section	.AMDGPU.csdata,"",@progbits
; Kernel info:
; codeLenInByte = 7504
; NumSgprs: 65
; NumVgprs: 36
; ScratchSize: 0
; MemoryBound: 0
; FloatMode: 240
; IeeeMode: 1
; LDSByteSize: 0 bytes/workgroup (compile time only)
; SGPRBlocks: 8
; VGPRBlocks: 4
; NumSGPRsForWavesPerEU: 65
; NumVGPRsForWavesPerEU: 36
; Occupancy: 16
; WaveLimiterHint : 0
; COMPUTE_PGM_RSRC2:SCRATCH_EN: 0
; COMPUTE_PGM_RSRC2:USER_SGPR: 15
; COMPUTE_PGM_RSRC2:TRAP_HANDLER: 0
; COMPUTE_PGM_RSRC2:TGID_X_EN: 1
; COMPUTE_PGM_RSRC2:TGID_Y_EN: 0
; COMPUTE_PGM_RSRC2:TGID_Z_EN: 0
; COMPUTE_PGM_RSRC2:TIDIG_COMP_CNT: 0
	.section	.text._ZN2at6native12_GLOBAL__N_136reflection_pad2d_backward_out_kernelIN3c107complexIfEEEEvPT_PKS6_lliiiiiii,"axG",@progbits,_ZN2at6native12_GLOBAL__N_136reflection_pad2d_backward_out_kernelIN3c107complexIfEEEEvPT_PKS6_lliiiiiii,comdat
	.globl	_ZN2at6native12_GLOBAL__N_136reflection_pad2d_backward_out_kernelIN3c107complexIfEEEEvPT_PKS6_lliiiiiii ; -- Begin function _ZN2at6native12_GLOBAL__N_136reflection_pad2d_backward_out_kernelIN3c107complexIfEEEEvPT_PKS6_lliiiiiii
	.p2align	8
	.type	_ZN2at6native12_GLOBAL__N_136reflection_pad2d_backward_out_kernelIN3c107complexIfEEEEvPT_PKS6_lliiiiiii,@function
_ZN2at6native12_GLOBAL__N_136reflection_pad2d_backward_out_kernelIN3c107complexIfEEEEvPT_PKS6_lliiiiiii: ; @_ZN2at6native12_GLOBAL__N_136reflection_pad2d_backward_out_kernelIN3c107complexIfEEEEvPT_PKS6_lliiiiiii
; %bb.0:
	s_clause 0x2
	s_load_b32 s2, s[0:1], 0x4c
	s_load_b128 s[16:19], s[0:1], 0x20
	s_load_b256 s[4:11], s[0:1], 0x0
	s_waitcnt lgkmcnt(0)
	s_and_b32 s2, s2, 0xffff
	s_ashr_i32 s3, s18, 31
	s_add_u32 s27, s18, s8
	v_mad_u64_u32 v[1:2], null, s13, s2, v[0:1]
	s_addc_u32 s28, s3, s9
	s_ashr_i32 s2, s19, 31
	s_add_u32 s26, s27, s19
	s_addc_u32 s13, s28, s2
	s_ashr_i32 s21, s16, 31
	s_add_u32 s31, s16, s10
	;; [unrolled: 3-line block ×3, first 2 shown]
	s_addc_u32 s29, s33, s2
	s_mul_hi_u32 s2, s26, s30
	s_mul_i32 s12, s26, s29
	v_mov_b32_e32 v2, 0
	s_mul_i32 s17, s13, s30
	s_add_i32 s2, s2, s12
	s_mul_i32 s22, s26, s30
	s_add_i32 s23, s2, s17
	s_mov_b32 s12, exec_lo
	v_cmpx_gt_i64_e64 s[22:23], v[1:2]
	s_cbranch_execz .LBB18_8
; %bb.1:
	s_mov_b32 s2, s18
	s_mov_b32 s20, s16
	s_load_b128 s[16:19], s[0:1], 0x30
	s_mov_b32 s12, 0
	s_delay_alu instid0(SALU_CYCLE_1)
	s_cmp_lg_u64 s[12:13], 0
	s_cbranch_scc0 .LBB18_9
; %bb.2:
	s_ashr_i32 s22, s13, 31
	s_delay_alu instid0(SALU_CYCLE_1) | instskip(SKIP_2) | instid1(SALU_CYCLE_1)
	s_add_u32 s0, s26, s22
	s_mov_b32 s23, s22
	s_addc_u32 s1, s13, s22
	s_xor_b64 s[24:25], s[0:1], s[22:23]
	s_delay_alu instid0(SALU_CYCLE_1) | instskip(SKIP_3) | instid1(VALU_DEP_1)
	v_cvt_f32_u32_e32 v0, s24
	v_cvt_f32_u32_e32 v2, s25
	s_sub_u32 s0, 0, s24
	s_subb_u32 s1, 0, s25
	v_fmamk_f32 v0, v2, 0x4f800000, v0
	s_delay_alu instid0(VALU_DEP_1) | instskip(SKIP_2) | instid1(VALU_DEP_1)
	v_rcp_f32_e32 v0, v0
	s_waitcnt_depctr 0xfff
	v_mul_f32_e32 v0, 0x5f7ffffc, v0
	v_mul_f32_e32 v2, 0x2f800000, v0
	s_delay_alu instid0(VALU_DEP_1) | instskip(NEXT) | instid1(VALU_DEP_1)
	v_trunc_f32_e32 v2, v2
	v_fmamk_f32 v0, v2, 0xcf800000, v0
	v_cvt_u32_f32_e32 v2, v2
	s_delay_alu instid0(VALU_DEP_2) | instskip(NEXT) | instid1(VALU_DEP_2)
	v_cvt_u32_f32_e32 v0, v0
	v_mul_lo_u32 v3, s0, v2
	s_delay_alu instid0(VALU_DEP_2) | instskip(SKIP_1) | instid1(VALU_DEP_2)
	v_mul_hi_u32 v4, s0, v0
	v_mul_lo_u32 v5, s1, v0
	v_add_nc_u32_e32 v3, v4, v3
	v_mul_lo_u32 v4, s0, v0
	s_delay_alu instid0(VALU_DEP_2) | instskip(NEXT) | instid1(VALU_DEP_2)
	v_add_nc_u32_e32 v3, v3, v5
	v_mul_hi_u32 v5, v0, v4
	s_delay_alu instid0(VALU_DEP_2)
	v_mul_lo_u32 v6, v0, v3
	v_mul_hi_u32 v7, v0, v3
	v_mul_hi_u32 v8, v2, v4
	v_mul_lo_u32 v4, v2, v4
	v_mul_hi_u32 v9, v2, v3
	v_mul_lo_u32 v3, v2, v3
	v_add_co_u32 v5, vcc_lo, v5, v6
	v_add_co_ci_u32_e32 v6, vcc_lo, 0, v7, vcc_lo
	s_delay_alu instid0(VALU_DEP_2) | instskip(NEXT) | instid1(VALU_DEP_2)
	v_add_co_u32 v4, vcc_lo, v5, v4
	v_add_co_ci_u32_e32 v4, vcc_lo, v6, v8, vcc_lo
	v_add_co_ci_u32_e32 v5, vcc_lo, 0, v9, vcc_lo
	v_ashrrev_i32_e64 v8, 31, 0
	s_delay_alu instid0(VALU_DEP_3) | instskip(NEXT) | instid1(VALU_DEP_3)
	v_add_co_u32 v3, vcc_lo, v4, v3
	v_add_co_ci_u32_e32 v4, vcc_lo, 0, v5, vcc_lo
	s_delay_alu instid0(VALU_DEP_2) | instskip(NEXT) | instid1(VALU_DEP_2)
	v_add_co_u32 v0, vcc_lo, v0, v3
	v_add_co_ci_u32_e32 v2, vcc_lo, v2, v4, vcc_lo
	s_delay_alu instid0(VALU_DEP_2) | instskip(SKIP_1) | instid1(VALU_DEP_3)
	v_mul_hi_u32 v3, s0, v0
	v_mul_lo_u32 v5, s1, v0
	v_mul_lo_u32 v4, s0, v2
	s_delay_alu instid0(VALU_DEP_1) | instskip(SKIP_1) | instid1(VALU_DEP_2)
	v_add_nc_u32_e32 v3, v3, v4
	v_mul_lo_u32 v4, s0, v0
	v_add_nc_u32_e32 v3, v3, v5
	s_delay_alu instid0(VALU_DEP_2) | instskip(NEXT) | instid1(VALU_DEP_2)
	v_mul_hi_u32 v5, v0, v4
	v_mul_lo_u32 v6, v0, v3
	v_mul_hi_u32 v7, v0, v3
	v_mul_hi_u32 v9, v2, v4
	v_mul_lo_u32 v4, v2, v4
	v_mul_hi_u32 v10, v2, v3
	v_mul_lo_u32 v3, v2, v3
	v_add_co_u32 v5, vcc_lo, v5, v6
	v_add_co_ci_u32_e32 v6, vcc_lo, 0, v7, vcc_lo
	s_delay_alu instid0(VALU_DEP_2) | instskip(NEXT) | instid1(VALU_DEP_2)
	v_add_co_u32 v4, vcc_lo, v5, v4
	v_add_co_ci_u32_e32 v4, vcc_lo, v6, v9, vcc_lo
	v_add_co_ci_u32_e32 v5, vcc_lo, 0, v10, vcc_lo
	v_add_co_u32 v6, vcc_lo, v1, v8
	v_add_co_ci_u32_e32 v7, vcc_lo, 0, v8, vcc_lo
	s_delay_alu instid0(VALU_DEP_4) | instskip(NEXT) | instid1(VALU_DEP_4)
	v_add_co_u32 v3, vcc_lo, v4, v3
	v_add_co_ci_u32_e32 v4, vcc_lo, 0, v5, vcc_lo
	s_delay_alu instid0(VALU_DEP_4) | instskip(NEXT) | instid1(VALU_DEP_3)
	v_xor_b32_e32 v9, v6, v8
	v_add_co_u32 v0, vcc_lo, v0, v3
	s_delay_alu instid0(VALU_DEP_3) | instskip(SKIP_1) | instid1(VALU_DEP_3)
	v_add_co_ci_u32_e32 v10, vcc_lo, v2, v4, vcc_lo
	v_xor_b32_e32 v11, v7, v8
	v_mul_hi_u32 v12, v9, v0
	s_delay_alu instid0(VALU_DEP_3) | instskip(NEXT) | instid1(VALU_DEP_3)
	v_mad_u64_u32 v[2:3], null, v9, v10, 0
	v_mad_u64_u32 v[4:5], null, v11, v0, 0
	;; [unrolled: 1-line block ×3, first 2 shown]
	s_delay_alu instid0(VALU_DEP_3) | instskip(NEXT) | instid1(VALU_DEP_4)
	v_add_co_u32 v0, vcc_lo, v12, v2
	v_add_co_ci_u32_e32 v2, vcc_lo, 0, v3, vcc_lo
	s_delay_alu instid0(VALU_DEP_2) | instskip(NEXT) | instid1(VALU_DEP_2)
	v_add_co_u32 v0, vcc_lo, v0, v4
	v_add_co_ci_u32_e32 v0, vcc_lo, v2, v5, vcc_lo
	v_add_co_ci_u32_e32 v2, vcc_lo, 0, v7, vcc_lo
	s_delay_alu instid0(VALU_DEP_2) | instskip(NEXT) | instid1(VALU_DEP_2)
	v_add_co_u32 v0, vcc_lo, v0, v6
	v_add_co_ci_u32_e32 v4, vcc_lo, 0, v2, vcc_lo
	s_delay_alu instid0(VALU_DEP_2) | instskip(SKIP_1) | instid1(VALU_DEP_3)
	v_mul_lo_u32 v5, s25, v0
	v_mad_u64_u32 v[2:3], null, s24, v0, 0
	v_mul_lo_u32 v6, s24, v4
	s_delay_alu instid0(VALU_DEP_2) | instskip(NEXT) | instid1(VALU_DEP_2)
	v_sub_co_u32 v2, vcc_lo, v9, v2
	v_add3_u32 v3, v3, v6, v5
	s_delay_alu instid0(VALU_DEP_1) | instskip(NEXT) | instid1(VALU_DEP_1)
	v_sub_nc_u32_e32 v5, v11, v3
	v_subrev_co_ci_u32_e64 v5, s0, s25, v5, vcc_lo
	v_add_co_u32 v6, s0, v0, 2
	s_delay_alu instid0(VALU_DEP_1) | instskip(SKIP_3) | instid1(VALU_DEP_3)
	v_add_co_ci_u32_e64 v7, s0, 0, v4, s0
	v_sub_co_u32 v9, s0, v2, s24
	v_sub_co_ci_u32_e32 v3, vcc_lo, v11, v3, vcc_lo
	v_subrev_co_ci_u32_e64 v5, s0, 0, v5, s0
	v_cmp_le_u32_e32 vcc_lo, s24, v9
	s_delay_alu instid0(VALU_DEP_3) | instskip(SKIP_1) | instid1(VALU_DEP_4)
	v_cmp_eq_u32_e64 s0, s25, v3
	v_cndmask_b32_e64 v9, 0, -1, vcc_lo
	v_cmp_le_u32_e32 vcc_lo, s25, v5
	v_cndmask_b32_e64 v10, 0, -1, vcc_lo
	v_cmp_le_u32_e32 vcc_lo, s24, v2
	;; [unrolled: 2-line block ×3, first 2 shown]
	v_cndmask_b32_e64 v11, 0, -1, vcc_lo
	v_cmp_eq_u32_e32 vcc_lo, s25, v5
	s_delay_alu instid0(VALU_DEP_2) | instskip(SKIP_3) | instid1(VALU_DEP_3)
	v_cndmask_b32_e64 v2, v11, v2, s0
	v_cndmask_b32_e32 v5, v10, v9, vcc_lo
	v_add_co_u32 v9, vcc_lo, v0, 1
	v_add_co_ci_u32_e32 v10, vcc_lo, 0, v4, vcc_lo
	v_cmp_ne_u32_e32 vcc_lo, 0, v5
	s_delay_alu instid0(VALU_DEP_3) | instskip(NEXT) | instid1(VALU_DEP_3)
	v_cndmask_b32_e32 v5, v9, v6, vcc_lo
	v_cndmask_b32_e32 v3, v10, v7, vcc_lo
	v_cmp_ne_u32_e32 vcc_lo, 0, v2
	v_xor_b32_e32 v6, s22, v8
	s_delay_alu instid0(VALU_DEP_4) | instskip(NEXT) | instid1(VALU_DEP_4)
	v_cndmask_b32_e32 v0, v0, v5, vcc_lo
	v_cndmask_b32_e32 v2, v4, v3, vcc_lo
	s_delay_alu instid0(VALU_DEP_2) | instskip(NEXT) | instid1(VALU_DEP_2)
	v_xor_b32_e32 v0, v0, v6
	v_xor_b32_e32 v3, v2, v6
	s_delay_alu instid0(VALU_DEP_2) | instskip(NEXT) | instid1(VALU_DEP_2)
	v_sub_co_u32 v2, vcc_lo, v0, v6
	v_sub_co_ci_u32_e32 v3, vcc_lo, v3, v6, vcc_lo
	s_and_not1_b32 vcc_lo, exec_lo, s12
	s_cbranch_vccnz .LBB18_4
.LBB18_3:
	v_cvt_f32_u32_e32 v0, s26
	s_sub_i32 s0, 0, s26
	s_delay_alu instid0(VALU_DEP_1) | instskip(SKIP_2) | instid1(VALU_DEP_1)
	v_rcp_iflag_f32_e32 v0, v0
	s_waitcnt_depctr 0xfff
	v_mul_f32_e32 v0, 0x4f7ffffe, v0
	v_cvt_u32_f32_e32 v0, v0
	s_delay_alu instid0(VALU_DEP_1) | instskip(NEXT) | instid1(VALU_DEP_1)
	v_mul_lo_u32 v2, s0, v0
	v_mul_hi_u32 v2, v0, v2
	s_delay_alu instid0(VALU_DEP_1) | instskip(NEXT) | instid1(VALU_DEP_1)
	v_add_nc_u32_e32 v0, v0, v2
	v_mul_hi_u32 v0, v1, v0
	s_delay_alu instid0(VALU_DEP_1) | instskip(SKIP_1) | instid1(VALU_DEP_2)
	v_mul_lo_u32 v2, v0, s26
	v_add_nc_u32_e32 v3, 1, v0
	v_sub_nc_u32_e32 v2, v1, v2
	s_delay_alu instid0(VALU_DEP_1) | instskip(SKIP_1) | instid1(VALU_DEP_2)
	v_subrev_nc_u32_e32 v4, s26, v2
	v_cmp_le_u32_e32 vcc_lo, s26, v2
	v_cndmask_b32_e32 v2, v2, v4, vcc_lo
	v_cndmask_b32_e32 v0, v0, v3, vcc_lo
	s_delay_alu instid0(VALU_DEP_2) | instskip(NEXT) | instid1(VALU_DEP_2)
	v_cmp_le_u32_e32 vcc_lo, s26, v2
	v_add_nc_u32_e32 v3, 1, v0
	s_delay_alu instid0(VALU_DEP_1)
	v_dual_cndmask_b32 v2, v0, v3 :: v_dual_mov_b32 v3, 0
.LBB18_4:
	s_delay_alu instid0(VALU_DEP_1) | instskip(NEXT) | instid1(VALU_DEP_2)
	v_mul_lo_u32 v0, v3, s26
	v_mul_lo_u32 v6, v2, s13
	v_mad_u64_u32 v[4:5], null, v2, s26, 0
	s_sub_u32 s0, 0, s20
	s_subb_u32 s1, 0, s21
	s_sub_u32 s22, 0, s2
	s_subb_u32 s23, 0, s3
	s_waitcnt lgkmcnt(0)
	s_add_i32 s12, s15, s17
	s_add_i32 s14, s14, s16
	v_add3_u32 v5, v5, v6, v0
	v_sub_co_u32 v0, vcc_lo, v1, v4
	s_mul_i32 s12, s12, s18
	s_delay_alu instid0(VALU_DEP_2) | instskip(NEXT) | instid1(VALU_DEP_2)
	v_sub_co_ci_u32_e32 v1, vcc_lo, 0, v5, vcc_lo
	v_sub_co_u32 v4, vcc_lo, v0, s2
	s_add_i32 s12, s14, s12
	s_delay_alu instid0(VALU_DEP_2) | instskip(SKIP_2) | instid1(VALU_DEP_3)
	v_subrev_co_ci_u32_e32 v5, vcc_lo, s3, v1, vcc_lo
	v_sub_co_u32 v6, vcc_lo, v0, s27
	v_subrev_co_ci_u32_e32 v7, vcc_lo, s28, v1, vcc_lo
	v_ashrrev_i32_e32 v10, 31, v5
	s_delay_alu instid0(VALU_DEP_3) | instskip(NEXT) | instid1(VALU_DEP_3)
	v_add_co_u32 v6, vcc_lo, v6, 1
	v_add_co_ci_u32_e32 v7, vcc_lo, 0, v7, vcc_lo
	v_sub_co_u32 v8, vcc_lo, v2, s31
	v_subrev_co_ci_u32_e32 v9, vcc_lo, s33, v3, vcc_lo
	v_sub_co_u32 v11, vcc_lo, v2, s20
	v_subrev_co_ci_u32_e32 v12, vcc_lo, s21, v3, vcc_lo
	s_mul_i32 s11, s12, s11
	s_mul_hi_u32 s14, s12, s10
	v_add_co_u32 v8, vcc_lo, v8, 1
	s_mul_i32 s15, s12, s10
	v_cmp_gt_i64_e64 s10, s[22:23], 0
	s_add_i32 s14, s14, s11
	v_cmp_gt_i64_e64 s11, s[0:1], 0
	v_add_co_ci_u32_e32 v9, vcc_lo, 0, v9, vcc_lo
	v_xor_b32_e32 v14, v5, v10
	v_ashrrev_i32_e32 v5, 31, v12
	s_and_b32 s10, s10, exec_lo
	v_xor_b32_e32 v15, v4, v10
	v_ashrrev_i32_e32 v4, 31, v9
	s_cselect_b32 s16, s23, 0
	v_cmp_gt_i64_e64 s10, s[2:3], 0
	s_cselect_b32 s17, s22, 0
	s_and_b32 s11, s11, exec_lo
	v_cmp_gt_i64_e64 s11, s[20:21], 0
	v_xor_b32_e32 v11, v11, v5
	v_xor_b32_e32 v12, v12, v5
	;; [unrolled: 1-line block ×3, first 2 shown]
	s_cselect_b32 s18, s1, 0
	s_cselect_b32 s19, s0, 0
	s_and_b32 s0, s10, exec_lo
	v_xor_b32_e32 v9, v9, v4
	v_sub_co_u32 v11, vcc_lo, v11, v5
	s_cselect_b32 s1, s3, 0
	s_cselect_b32 s0, s2, 0
	s_and_b32 s10, s11, exec_lo
	s_cselect_b32 s11, s21, 0
	s_cselect_b32 s10, s20, 0
	v_sub_co_ci_u32_e32 v5, vcc_lo, v12, v5, vcc_lo
	v_sub_co_u32 v8, vcc_lo, v8, v4
	s_not_b64 s[0:1], s[0:1]
	s_not_b64 s[10:11], s[10:11]
	v_sub_co_ci_u32_e32 v4, vcc_lo, v9, v4, vcc_lo
	s_add_u32 s20, s31, s20
	s_addc_u32 s21, s33, s21
	s_add_u32 s10, s20, s10
	s_addc_u32 s11, s21, s11
	v_add_co_u32 v8, vcc_lo, v2, v8
	s_add_u32 s10, s10, s19
	s_addc_u32 s11, s11, s18
	v_add_co_ci_u32_e32 v4, vcc_lo, v3, v4, vcc_lo
	s_add_u32 s10, s10, s15
	s_addc_u32 s11, s11, s14
	v_sub_co_u32 v8, vcc_lo, s10, v8
	v_ashrrev_i32_e32 v13, 31, v7
	v_sub_co_ci_u32_e32 v4, vcc_lo, s11, v4, vcc_lo
	s_delay_alu instid0(VALU_DEP_3) | instskip(NEXT) | instid1(VALU_DEP_3)
	v_add_co_u32 v8, vcc_lo, v8, v11
	v_xor_b32_e32 v6, v6, v13
	s_delay_alu instid0(VALU_DEP_3) | instskip(SKIP_2) | instid1(VALU_DEP_4)
	v_add_co_ci_u32_e32 v9, vcc_lo, v4, v5, vcc_lo
	v_mad_u64_u32 v[4:5], null, s30, s12, v[2:3]
	v_xor_b32_e32 v7, v7, v13
	v_sub_co_u32 v11, vcc_lo, v6, v13
	s_add_u32 s2, s27, s2
	s_addc_u32 s3, s28, s3
	s_delay_alu instid0(VALU_DEP_2) | instskip(NEXT) | instid1(VALU_DEP_4)
	v_sub_co_ci_u32_e32 v12, vcc_lo, v7, v13, vcc_lo
	v_mad_u64_u32 v[6:7], null, s29, s12, v[5:6]
	v_add_co_u32 v5, vcc_lo, v0, v11
	s_add_u32 s0, s2, s0
	v_mul_lo_u32 v16, v8, s9
	v_mad_u64_u32 v[2:3], null, v8, s8, 0
	s_addc_u32 s1, s3, s1
	v_add_co_ci_u32_e32 v8, vcc_lo, v1, v12, vcc_lo
	s_add_u32 s0, s0, s17
	s_addc_u32 s1, s1, s16
	v_sub_co_u32 v7, vcc_lo, s0, v5
	s_delay_alu instid0(VALU_DEP_2)
	v_sub_co_ci_u32_e32 v8, vcc_lo, s1, v8, vcc_lo
	v_mul_lo_u32 v11, v6, s26
	v_mul_lo_u32 v12, v4, s13
	v_mad_u64_u32 v[5:6], null, v4, s26, 0
	v_mul_lo_u32 v13, v9, s8
	v_sub_co_u32 v9, vcc_lo, v15, v10
	v_sub_co_ci_u32_e32 v10, vcc_lo, v14, v10, vcc_lo
	v_lshlrev_b64 v[7:8], 3, v[7:8]
	v_add3_u32 v6, v6, v12, v11
	v_lshlrev_b64 v[0:1], 3, v[0:1]
	s_delay_alu instid0(VALU_DEP_4)
	v_lshlrev_b64 v[9:10], 3, v[9:10]
	v_add3_u32 v3, v3, v16, v13
	s_mov_b32 s0, 0
	v_add_co_u32 v7, vcc_lo, s4, v7
	v_add_co_ci_u32_e32 v8, vcc_lo, s5, v8, vcc_lo
	v_lshlrev_b64 v[4:5], 3, v[5:6]
	s_delay_alu instid0(VALU_DEP_3) | instskip(NEXT) | instid1(VALU_DEP_3)
	v_add_co_u32 v6, vcc_lo, v7, v9
	v_add_co_ci_u32_e32 v7, vcc_lo, v8, v10, vcc_lo
	v_lshlrev_b64 v[2:3], 3, v[2:3]
	s_delay_alu instid0(VALU_DEP_4) | instskip(SKIP_1) | instid1(VALU_DEP_2)
	v_add_co_u32 v4, vcc_lo, s6, v4
	v_add_co_ci_u32_e32 v5, vcc_lo, s7, v5, vcc_lo
	v_add_co_u32 v4, vcc_lo, v4, v0
	s_delay_alu instid0(VALU_DEP_2)
	v_add_co_ci_u32_e32 v5, vcc_lo, v5, v1, vcc_lo
	v_add_co_u32 v0, vcc_lo, v6, v2
	v_add_co_ci_u32_e32 v1, vcc_lo, v7, v3, vcc_lo
	global_load_b64 v[2:3], v[4:5], off
	global_load_b32 v5, v[0:1], off
.LBB18_5:                               ; =>This Inner Loop Header: Depth=1
	s_waitcnt vmcnt(0)
	v_add_f32_e32 v4, v5, v2
	global_atomic_cmpswap_b32 v4, v[0:1], v[4:5], off glc
	s_waitcnt vmcnt(0)
	v_cmp_eq_u32_e32 vcc_lo, v4, v5
	v_mov_b32_e32 v5, v4
	s_or_b32 s0, vcc_lo, s0
	s_delay_alu instid0(SALU_CYCLE_1)
	s_and_not1_b32 exec_lo, exec_lo, s0
	s_cbranch_execnz .LBB18_5
; %bb.6:
	s_or_b32 exec_lo, exec_lo, s0
	global_load_b32 v5, v[0:1], off offset:4
	s_mov_b32 s0, 0
.LBB18_7:                               ; =>This Inner Loop Header: Depth=1
	s_waitcnt vmcnt(0)
	v_add_f32_e32 v4, v5, v3
	global_atomic_cmpswap_b32 v2, v[0:1], v[4:5], off offset:4 glc
	s_waitcnt vmcnt(0)
	v_cmp_eq_u32_e32 vcc_lo, v2, v5
	v_mov_b32_e32 v5, v2
	s_or_b32 s0, vcc_lo, s0
	s_delay_alu instid0(SALU_CYCLE_1)
	s_and_not1_b32 exec_lo, exec_lo, s0
	s_cbranch_execnz .LBB18_7
.LBB18_8:
	s_endpgm
.LBB18_9:
                                        ; implicit-def: $vgpr2_vgpr3
	s_branch .LBB18_3
	.section	.rodata,"a",@progbits
	.p2align	6, 0x0
	.amdhsa_kernel _ZN2at6native12_GLOBAL__N_136reflection_pad2d_backward_out_kernelIN3c107complexIfEEEEvPT_PKS6_lliiiiiii
		.amdhsa_group_segment_fixed_size 0
		.amdhsa_private_segment_fixed_size 0
		.amdhsa_kernarg_size 320
		.amdhsa_user_sgpr_count 13
		.amdhsa_user_sgpr_dispatch_ptr 0
		.amdhsa_user_sgpr_queue_ptr 0
		.amdhsa_user_sgpr_kernarg_segment_ptr 1
		.amdhsa_user_sgpr_dispatch_id 0
		.amdhsa_user_sgpr_private_segment_size 0
		.amdhsa_wavefront_size32 1
		.amdhsa_uses_dynamic_stack 0
		.amdhsa_enable_private_segment 0
		.amdhsa_system_sgpr_workgroup_id_x 1
		.amdhsa_system_sgpr_workgroup_id_y 1
		.amdhsa_system_sgpr_workgroup_id_z 1
		.amdhsa_system_sgpr_workgroup_info 0
		.amdhsa_system_vgpr_workitem_id 0
		.amdhsa_next_free_vgpr 17
		.amdhsa_next_free_sgpr 34
		.amdhsa_reserve_vcc 1
		.amdhsa_float_round_mode_32 0
		.amdhsa_float_round_mode_16_64 0
		.amdhsa_float_denorm_mode_32 3
		.amdhsa_float_denorm_mode_16_64 3
		.amdhsa_dx10_clamp 1
		.amdhsa_ieee_mode 1
		.amdhsa_fp16_overflow 0
		.amdhsa_workgroup_processor_mode 1
		.amdhsa_memory_ordered 1
		.amdhsa_forward_progress 0
		.amdhsa_shared_vgpr_count 0
		.amdhsa_exception_fp_ieee_invalid_op 0
		.amdhsa_exception_fp_denorm_src 0
		.amdhsa_exception_fp_ieee_div_zero 0
		.amdhsa_exception_fp_ieee_overflow 0
		.amdhsa_exception_fp_ieee_underflow 0
		.amdhsa_exception_fp_ieee_inexact 0
		.amdhsa_exception_int_div_zero 0
	.end_amdhsa_kernel
	.section	.text._ZN2at6native12_GLOBAL__N_136reflection_pad2d_backward_out_kernelIN3c107complexIfEEEEvPT_PKS6_lliiiiiii,"axG",@progbits,_ZN2at6native12_GLOBAL__N_136reflection_pad2d_backward_out_kernelIN3c107complexIfEEEEvPT_PKS6_lliiiiiii,comdat
.Lfunc_end18:
	.size	_ZN2at6native12_GLOBAL__N_136reflection_pad2d_backward_out_kernelIN3c107complexIfEEEEvPT_PKS6_lliiiiiii, .Lfunc_end18-_ZN2at6native12_GLOBAL__N_136reflection_pad2d_backward_out_kernelIN3c107complexIfEEEEvPT_PKS6_lliiiiiii
                                        ; -- End function
	.section	.AMDGPU.csdata,"",@progbits
; Kernel info:
; codeLenInByte = 1972
; NumSgprs: 36
; NumVgprs: 17
; ScratchSize: 0
; MemoryBound: 0
; FloatMode: 240
; IeeeMode: 1
; LDSByteSize: 0 bytes/workgroup (compile time only)
; SGPRBlocks: 4
; VGPRBlocks: 2
; NumSGPRsForWavesPerEU: 36
; NumVGPRsForWavesPerEU: 17
; Occupancy: 16
; WaveLimiterHint : 0
; COMPUTE_PGM_RSRC2:SCRATCH_EN: 0
; COMPUTE_PGM_RSRC2:USER_SGPR: 13
; COMPUTE_PGM_RSRC2:TRAP_HANDLER: 0
; COMPUTE_PGM_RSRC2:TGID_X_EN: 1
; COMPUTE_PGM_RSRC2:TGID_Y_EN: 1
; COMPUTE_PGM_RSRC2:TGID_Z_EN: 1
; COMPUTE_PGM_RSRC2:TIDIG_COMP_CNT: 0
	.section	.text._ZN2at6native12_GLOBAL__N_140reflection_pad2d_backward_det_out_kernelIN3c104HalfEEEvPT_PKS5_lliiiiiii,"axG",@progbits,_ZN2at6native12_GLOBAL__N_140reflection_pad2d_backward_det_out_kernelIN3c104HalfEEEvPT_PKS5_lliiiiiii,comdat
	.globl	_ZN2at6native12_GLOBAL__N_140reflection_pad2d_backward_det_out_kernelIN3c104HalfEEEvPT_PKS5_lliiiiiii ; -- Begin function _ZN2at6native12_GLOBAL__N_140reflection_pad2d_backward_det_out_kernelIN3c104HalfEEEvPT_PKS5_lliiiiiii
	.p2align	8
	.type	_ZN2at6native12_GLOBAL__N_140reflection_pad2d_backward_det_out_kernelIN3c104HalfEEEvPT_PKS5_lliiiiiii,@function
_ZN2at6native12_GLOBAL__N_140reflection_pad2d_backward_det_out_kernelIN3c104HalfEEEvPT_PKS5_lliiiiiii: ; @_ZN2at6native12_GLOBAL__N_140reflection_pad2d_backward_det_out_kernelIN3c104HalfEEEvPT_PKS5_lliiiiiii
; %bb.0:
	s_clause 0x2
	s_load_b32 s6, s[0:1], 0x4c
	s_load_b64 s[2:3], s[0:1], 0x30
	s_load_b256 s[16:23], s[0:1], 0x0
	v_mov_b32_e32 v1, 0
	s_add_u32 s4, s0, 64
	s_addc_u32 s5, s1, 0
	s_waitcnt lgkmcnt(0)
	s_and_b32 s34, s6, 0xffff
	s_ashr_i32 s6, s2, 31
	s_mul_i32 s8, s22, s21
	s_mul_hi_u32 s9, s22, s20
	s_mul_i32 s10, s23, s20
	s_mul_i32 s33, s22, s20
	s_add_i32 s42, s9, s8
	s_mul_i32 s6, s33, s6
	s_mul_hi_u32 s8, s33, s2
	s_add_i32 s42, s42, s10
	s_ashr_i32 s7, s3, 31
	v_mad_u64_u32 v[3:4], null, s15, s34, v[0:1]
	s_mul_i32 s11, s33, s2
	s_add_i32 s6, s8, s6
	s_mul_i32 s2, s42, s2
	s_mul_i32 s8, s11, s7
	s_mul_hi_u32 s9, s11, s3
	s_add_i32 s2, s6, s2
	v_mov_b32_e32 v4, v1
	s_add_i32 s6, s9, s8
	s_mul_i32 s2, s2, s3
	s_mul_i32 s8, s11, s3
	s_add_i32 s9, s6, s2
	s_mov_b32 s2, exec_lo
	v_cmpx_gt_i64_e64 s[8:9], v[3:4]
	s_cbranch_execz .LBB19_53
; %bb.1:
	s_mov_b32 s6, s3
	s_load_b128 s[0:3], s[0:1], 0x20
	s_load_b32 s36, s[4:5], 0x0
	s_mul_i32 s14, s33, s7
	s_mul_hi_u32 s15, s33, s6
	s_mul_i32 s24, s42, s6
	s_mul_i32 s43, s33, s6
	v_lshlrev_b64 v[7:8], 1, v[3:4]
	v_cvt_f32_u32_e32 v0, s43
	s_mov_b32 s61, 0
	s_delay_alu instid0(VALU_DEP_1)
	v_rcp_iflag_f32_e32 v0, v0
	s_waitcnt lgkmcnt(0)
	s_ashr_i32 s11, s2, 31
	s_add_u32 s37, s2, s20
	s_addc_u32 s38, s11, s21
	s_ashr_i32 s5, s3, 31
	s_add_u32 s44, s37, s3
	s_addc_u32 s45, s38, s5
	s_ashr_i32 s13, s0, 31
	s_mov_b32 s4, s3
	s_add_u32 s3, s0, s22
	s_addc_u32 s25, s13, s23
	s_ashr_i32 s27, s1, 31
	s_mov_b32 s26, s1
	s_add_u32 s1, s3, s1
	s_addc_u32 s3, s25, s27
	s_add_i32 s15, s15, s14
	s_mul_hi_u32 s25, s44, s1
	s_mul_i32 s28, s45, s1
	s_mul_i32 s14, s44, s1
	s_mul_i32 s1, s44, s3
	s_add_i32 s46, s15, s24
	s_add_i32 s1, s25, s1
	s_mul_i32 s3, s14, s7
	s_add_i32 s15, s1, s28
	s_add_u32 s24, s22, -1
	s_addc_u32 s25, s23, -1
	s_not_b64 s[26:27], s[26:27]
	s_mul_hi_u32 s1, s14, s6
	s_add_u32 s26, s26, s22
	s_addc_u32 s27, s27, s23
	s_add_u32 s28, s20, -1
	s_addc_u32 s29, s21, -1
	s_not_b64 s[4:5], s[4:5]
	s_mul_i32 s39, s15, s6
	s_add_u32 s30, s4, s20
	s_addc_u32 s31, s5, s21
	s_add_i32 s1, s1, s3
	s_mov_b32 s12, s0
	s_add_i32 s47, s1, s39
	s_add_u32 s1, s20, s37
	s_addc_u32 s3, s21, s38
	s_add_u32 s48, s1, -2
	s_addc_u32 s49, s3, -1
	s_lshl_b64 s[4:5], s[24:25], 1
	s_waitcnt_depctr 0xfff
	v_mul_f32_e32 v0, 0x4f7ffffe, v0
	s_add_u32 s50, s4, s0
	s_addc_u32 s51, s5, s13
	s_lshl_b64 s[0:1], s[28:29], 1
	s_mov_b32 s10, s2
	s_add_u32 s53, s0, s2
	s_addc_u32 s54, s1, s11
	v_sub_co_u32 v5, s0, 0, v3
	s_sub_u32 s55, 0, s22
	s_subb_u32 s56, 0, s23
	v_sub_co_ci_u32_e64 v6, null, 0, 0, s0
	s_lshl_b64 s[0:1], s[10:11], 1
	s_mul_hi_u32 s35, s34, s36
	s_mul_i32 s34, s34, s36
	s_lshl_b64 s[36:37], s[6:7], 1
	s_lshl_b64 s[38:39], s[20:21], 1
	s_add_u32 s57, s18, s0
	v_cvt_u32_f32_e32 v0, v0
	s_addc_u32 s58, s19, s1
	s_lshl_b64 s[40:41], s[34:35], 1
	s_sub_u32 s59, 0, s33
	s_mul_i32 s52, s14, s6
	s_subb_u32 s60, 0, s42
	s_branch .LBB19_4
.LBB19_2:                               ;   in Loop: Header=BB19_4 Depth=1
	s_or_b32 exec_lo, exec_lo, s0
.LBB19_3:                               ;   in Loop: Header=BB19_4 Depth=1
	s_delay_alu instid0(SALU_CYCLE_1)
	s_or_b32 exec_lo, exec_lo, s1
	v_lshlrev_b64 v[11:12], 1, v[13:14]
	v_mul_lo_u32 v10, s36, v10
	v_mul_lo_u32 v17, s37, v9
	;; [unrolled: 1-line block ×4, first 2 shown]
	v_mad_u64_u32 v[13:14], null, s38, v2, 0
	v_mad_u64_u32 v[15:16], null, s36, v9, v[11:12]
	v_lshlrev_b64 v[11:12], 1, v[19:20]
	s_delay_alu instid0(VALU_DEP_3) | instskip(NEXT) | instid1(VALU_DEP_3)
	v_add3_u32 v14, v14, v21, v18
	v_add3_u32 v2, v17, v16, v10
	s_delay_alu instid0(VALU_DEP_2) | instskip(SKIP_1) | instid1(VALU_DEP_3)
	v_mad_u64_u32 v[9:10], null, s14, v15, v[13:14]
	v_mul_lo_u32 v13, s15, v15
	v_mul_lo_u32 v2, s14, v2
	s_delay_alu instid0(VALU_DEP_3) | instskip(NEXT) | instid1(VALU_DEP_2)
	v_add_co_u32 v9, vcc_lo, v9, v11
	v_add3_u32 v2, v13, v10, v2
	s_delay_alu instid0(VALU_DEP_1) | instskip(NEXT) | instid1(VALU_DEP_3)
	v_add_co_ci_u32_e32 v2, vcc_lo, v2, v12, vcc_lo
	v_add_co_u32 v9, vcc_lo, v7, v9
	s_delay_alu instid0(VALU_DEP_2) | instskip(NEXT) | instid1(VALU_DEP_2)
	v_add_co_ci_u32_e32 v2, vcc_lo, v8, v2, vcc_lo
	v_add_co_u32 v9, vcc_lo, s57, v9
	s_delay_alu instid0(VALU_DEP_2)
	v_add_co_ci_u32_e32 v10, vcc_lo, s58, v2, vcc_lo
	global_load_u16 v2, v[9:10], off
	v_add_co_u32 v9, vcc_lo, s16, v7
	v_add_co_ci_u32_e32 v10, vcc_lo, s17, v8, vcc_lo
	v_add_co_u32 v3, vcc_lo, v3, s34
	v_add_co_ci_u32_e32 v4, vcc_lo, s35, v4, vcc_lo
	global_load_u16 v11, v[9:10], off
	v_sub_co_u32 v5, vcc_lo, v5, s34
	v_subrev_co_ci_u32_e32 v6, vcc_lo, s35, v6, vcc_lo
	v_cmp_le_i64_e32 vcc_lo, s[8:9], v[3:4]
	v_add_co_u32 v7, s0, v7, s40
	s_delay_alu instid0(VALU_DEP_1) | instskip(SKIP_4) | instid1(VALU_DEP_1)
	v_add_co_ci_u32_e64 v8, s0, s41, v8, s0
	s_or_b32 s61, vcc_lo, s61
	s_waitcnt vmcnt(1)
	v_add_f16_e32 v2, v24, v2
	s_waitcnt vmcnt(0)
	v_add_f16_e32 v2, v11, v2
	global_store_b16 v[9:10], v2, off
	s_and_not1_b32 exec_lo, exec_lo, s61
	s_cbranch_execz .LBB19_53
.LBB19_4:                               ; =>This Inner Loop Header: Depth=1
	v_or_b32_e32 v2, s46, v4
	v_ashrrev_i32_e32 v13, 31, v4
                                        ; implicit-def: $vgpr9_vgpr10
	s_mov_b32 s0, exec_lo
	s_delay_alu instid0(VALU_DEP_2)
	v_cmpx_ne_u64_e32 0, v[1:2]
	s_xor_b32 s1, exec_lo, s0
	s_cbranch_execz .LBB19_6
; %bb.5:                                ;   in Loop: Header=BB19_4 Depth=1
	s_ashr_i32 s2, s46, 31
	s_delay_alu instid0(SALU_CYCLE_1) | instskip(SKIP_2) | instid1(SALU_CYCLE_1)
	s_add_u32 s4, s43, s2
	s_mov_b32 s3, s2
	s_addc_u32 s5, s46, s2
	s_xor_b64 s[4:5], s[4:5], s[2:3]
	s_delay_alu instid0(SALU_CYCLE_1) | instskip(SKIP_3) | instid1(VALU_DEP_1)
	v_cvt_f32_u32_e32 v2, s4
	v_cvt_f32_u32_e32 v9, s5
	s_sub_u32 s0, 0, s4
	s_subb_u32 s3, 0, s5
	v_fmac_f32_e32 v2, 0x4f800000, v9
	s_delay_alu instid0(VALU_DEP_1) | instskip(SKIP_2) | instid1(VALU_DEP_1)
	v_rcp_f32_e32 v2, v2
	s_waitcnt_depctr 0xfff
	v_mul_f32_e32 v2, 0x5f7ffffc, v2
	v_mul_f32_e32 v9, 0x2f800000, v2
	s_delay_alu instid0(VALU_DEP_1) | instskip(NEXT) | instid1(VALU_DEP_1)
	v_trunc_f32_e32 v9, v9
	v_fmac_f32_e32 v2, 0xcf800000, v9
	v_cvt_u32_f32_e32 v9, v9
	s_delay_alu instid0(VALU_DEP_2) | instskip(NEXT) | instid1(VALU_DEP_2)
	v_cvt_u32_f32_e32 v2, v2
	v_mul_lo_u32 v10, s0, v9
	s_delay_alu instid0(VALU_DEP_2) | instskip(SKIP_1) | instid1(VALU_DEP_2)
	v_mul_hi_u32 v11, s0, v2
	v_mul_lo_u32 v12, s3, v2
	v_add_nc_u32_e32 v10, v11, v10
	v_mul_lo_u32 v11, s0, v2
	s_delay_alu instid0(VALU_DEP_2) | instskip(NEXT) | instid1(VALU_DEP_2)
	v_add_nc_u32_e32 v10, v10, v12
	v_mul_hi_u32 v12, v2, v11
	s_delay_alu instid0(VALU_DEP_2)
	v_mul_lo_u32 v14, v2, v10
	v_mul_hi_u32 v15, v2, v10
	v_mul_hi_u32 v16, v9, v11
	v_mul_lo_u32 v11, v9, v11
	v_mul_hi_u32 v17, v9, v10
	v_mul_lo_u32 v10, v9, v10
	v_add_co_u32 v12, vcc_lo, v12, v14
	v_add_co_ci_u32_e32 v14, vcc_lo, 0, v15, vcc_lo
	s_delay_alu instid0(VALU_DEP_2) | instskip(NEXT) | instid1(VALU_DEP_2)
	v_add_co_u32 v11, vcc_lo, v12, v11
	v_add_co_ci_u32_e32 v11, vcc_lo, v14, v16, vcc_lo
	v_add_co_ci_u32_e32 v12, vcc_lo, 0, v17, vcc_lo
	s_delay_alu instid0(VALU_DEP_2) | instskip(NEXT) | instid1(VALU_DEP_2)
	v_add_co_u32 v10, vcc_lo, v11, v10
	v_add_co_ci_u32_e32 v11, vcc_lo, 0, v12, vcc_lo
	s_delay_alu instid0(VALU_DEP_2) | instskip(NEXT) | instid1(VALU_DEP_2)
	v_add_co_u32 v2, vcc_lo, v2, v10
	v_add_co_ci_u32_e32 v9, vcc_lo, v9, v11, vcc_lo
	s_delay_alu instid0(VALU_DEP_2) | instskip(SKIP_1) | instid1(VALU_DEP_3)
	v_mul_hi_u32 v10, s0, v2
	v_mul_lo_u32 v12, s3, v2
	v_mul_lo_u32 v11, s0, v9
	s_delay_alu instid0(VALU_DEP_1) | instskip(SKIP_1) | instid1(VALU_DEP_2)
	v_add_nc_u32_e32 v10, v10, v11
	v_mul_lo_u32 v11, s0, v2
	v_add_nc_u32_e32 v10, v10, v12
	s_delay_alu instid0(VALU_DEP_2) | instskip(NEXT) | instid1(VALU_DEP_2)
	v_mul_hi_u32 v12, v2, v11
	v_mul_lo_u32 v14, v2, v10
	v_mul_hi_u32 v15, v2, v10
	v_mul_hi_u32 v16, v9, v11
	v_mul_lo_u32 v11, v9, v11
	v_mul_hi_u32 v17, v9, v10
	v_mul_lo_u32 v10, v9, v10
	v_add_co_u32 v12, vcc_lo, v12, v14
	v_add_co_ci_u32_e32 v14, vcc_lo, 0, v15, vcc_lo
	s_delay_alu instid0(VALU_DEP_2) | instskip(NEXT) | instid1(VALU_DEP_2)
	v_add_co_u32 v11, vcc_lo, v12, v11
	v_add_co_ci_u32_e32 v11, vcc_lo, v14, v16, vcc_lo
	v_add_co_ci_u32_e32 v12, vcc_lo, 0, v17, vcc_lo
	v_add_co_u32 v14, vcc_lo, v3, v13
	v_add_co_ci_u32_e32 v15, vcc_lo, v4, v13, vcc_lo
	s_delay_alu instid0(VALU_DEP_4) | instskip(NEXT) | instid1(VALU_DEP_4)
	v_add_co_u32 v10, vcc_lo, v11, v10
	v_add_co_ci_u32_e32 v11, vcc_lo, 0, v12, vcc_lo
	s_delay_alu instid0(VALU_DEP_4) | instskip(NEXT) | instid1(VALU_DEP_3)
	v_xor_b32_e32 v16, v14, v13
	v_add_co_u32 v2, vcc_lo, v2, v10
	s_delay_alu instid0(VALU_DEP_3) | instskip(SKIP_1) | instid1(VALU_DEP_3)
	v_add_co_ci_u32_e32 v17, vcc_lo, v9, v11, vcc_lo
	v_xor_b32_e32 v18, v15, v13
	v_mul_hi_u32 v19, v16, v2
	s_delay_alu instid0(VALU_DEP_3) | instskip(NEXT) | instid1(VALU_DEP_3)
	v_mad_u64_u32 v[9:10], null, v16, v17, 0
	v_mad_u64_u32 v[11:12], null, v18, v2, 0
	;; [unrolled: 1-line block ×3, first 2 shown]
	s_delay_alu instid0(VALU_DEP_3) | instskip(NEXT) | instid1(VALU_DEP_4)
	v_add_co_u32 v2, vcc_lo, v19, v9
	v_add_co_ci_u32_e32 v9, vcc_lo, 0, v10, vcc_lo
	s_delay_alu instid0(VALU_DEP_2) | instskip(NEXT) | instid1(VALU_DEP_2)
	v_add_co_u32 v2, vcc_lo, v2, v11
	v_add_co_ci_u32_e32 v2, vcc_lo, v9, v12, vcc_lo
	v_add_co_ci_u32_e32 v9, vcc_lo, 0, v15, vcc_lo
	s_delay_alu instid0(VALU_DEP_2) | instskip(NEXT) | instid1(VALU_DEP_2)
	v_add_co_u32 v2, vcc_lo, v2, v14
	v_add_co_ci_u32_e32 v11, vcc_lo, 0, v9, vcc_lo
	s_delay_alu instid0(VALU_DEP_2) | instskip(SKIP_1) | instid1(VALU_DEP_3)
	v_mul_lo_u32 v12, s5, v2
	v_mad_u64_u32 v[9:10], null, s4, v2, 0
	v_mul_lo_u32 v14, s4, v11
	s_delay_alu instid0(VALU_DEP_2) | instskip(NEXT) | instid1(VALU_DEP_2)
	v_sub_co_u32 v9, vcc_lo, v16, v9
	v_add3_u32 v10, v10, v14, v12
	s_delay_alu instid0(VALU_DEP_1) | instskip(NEXT) | instid1(VALU_DEP_1)
	v_sub_nc_u32_e32 v12, v18, v10
	v_subrev_co_ci_u32_e64 v12, s0, s5, v12, vcc_lo
	v_add_co_u32 v14, s0, v2, 2
	s_delay_alu instid0(VALU_DEP_1) | instskip(SKIP_3) | instid1(VALU_DEP_3)
	v_add_co_ci_u32_e64 v15, s0, 0, v11, s0
	v_sub_co_u32 v16, s0, v9, s4
	v_sub_co_ci_u32_e32 v10, vcc_lo, v18, v10, vcc_lo
	v_subrev_co_ci_u32_e64 v12, s0, 0, v12, s0
	v_cmp_le_u32_e32 vcc_lo, s4, v16
	s_delay_alu instid0(VALU_DEP_3) | instskip(SKIP_1) | instid1(VALU_DEP_4)
	v_cmp_eq_u32_e64 s0, s5, v10
	v_cndmask_b32_e64 v16, 0, -1, vcc_lo
	v_cmp_le_u32_e32 vcc_lo, s5, v12
	v_cndmask_b32_e64 v17, 0, -1, vcc_lo
	v_cmp_le_u32_e32 vcc_lo, s4, v9
	;; [unrolled: 2-line block ×3, first 2 shown]
	v_cndmask_b32_e64 v18, 0, -1, vcc_lo
	v_cmp_eq_u32_e32 vcc_lo, s5, v12
	s_delay_alu instid0(VALU_DEP_2) | instskip(SKIP_3) | instid1(VALU_DEP_3)
	v_cndmask_b32_e64 v9, v18, v9, s0
	v_cndmask_b32_e32 v12, v17, v16, vcc_lo
	v_add_co_u32 v16, vcc_lo, v2, 1
	v_add_co_ci_u32_e32 v17, vcc_lo, 0, v11, vcc_lo
	v_cmp_ne_u32_e32 vcc_lo, 0, v12
	s_delay_alu instid0(VALU_DEP_2) | instskip(NEXT) | instid1(VALU_DEP_4)
	v_cndmask_b32_e32 v10, v17, v15, vcc_lo
	v_cndmask_b32_e32 v12, v16, v14, vcc_lo
	v_cmp_ne_u32_e32 vcc_lo, 0, v9
	v_xor_b32_e32 v14, s2, v13
	s_delay_alu instid0(VALU_DEP_3) | instskip(NEXT) | instid1(VALU_DEP_1)
	v_dual_cndmask_b32 v2, v2, v12 :: v_dual_cndmask_b32 v9, v11, v10
	v_xor_b32_e32 v2, v2, v14
	s_delay_alu instid0(VALU_DEP_2) | instskip(NEXT) | instid1(VALU_DEP_2)
	v_xor_b32_e32 v10, v9, v14
	v_sub_co_u32 v9, vcc_lo, v2, v14
	s_delay_alu instid0(VALU_DEP_2)
	v_sub_co_ci_u32_e32 v10, vcc_lo, v10, v14, vcc_lo
.LBB19_6:                               ;   in Loop: Header=BB19_4 Depth=1
	s_and_not1_saveexec_b32 s0, s1
	s_cbranch_execz .LBB19_8
; %bb.7:                                ;   in Loop: Header=BB19_4 Depth=1
	s_sub_i32 s1, 0, s43
	s_delay_alu instid0(SALU_CYCLE_1) | instskip(NEXT) | instid1(VALU_DEP_1)
	v_mul_lo_u32 v2, s1, v0
	v_mul_hi_u32 v2, v0, v2
	s_delay_alu instid0(VALU_DEP_1) | instskip(NEXT) | instid1(VALU_DEP_1)
	v_add_nc_u32_e32 v2, v0, v2
	v_mul_hi_u32 v2, v3, v2
	s_delay_alu instid0(VALU_DEP_1) | instskip(SKIP_1) | instid1(VALU_DEP_2)
	v_mul_lo_u32 v9, v2, s43
	v_add_nc_u32_e32 v10, 1, v2
	v_sub_nc_u32_e32 v9, v3, v9
	s_delay_alu instid0(VALU_DEP_1) | instskip(SKIP_1) | instid1(VALU_DEP_2)
	v_subrev_nc_u32_e32 v11, s43, v9
	v_cmp_le_u32_e32 vcc_lo, s43, v9
	v_dual_cndmask_b32 v9, v9, v11 :: v_dual_cndmask_b32 v2, v2, v10
	s_delay_alu instid0(VALU_DEP_1) | instskip(NEXT) | instid1(VALU_DEP_2)
	v_cmp_le_u32_e32 vcc_lo, s43, v9
	v_add_nc_u32_e32 v10, 1, v2
	s_delay_alu instid0(VALU_DEP_1)
	v_dual_cndmask_b32 v9, v2, v10 :: v_dual_mov_b32 v10, v1
.LBB19_8:                               ;   in Loop: Header=BB19_4 Depth=1
	s_or_b32 exec_lo, exec_lo, s0
	v_or_b32_e32 v2, s42, v4
                                        ; implicit-def: $vgpr11_vgpr12
	s_mov_b32 s0, exec_lo
	s_delay_alu instid0(VALU_DEP_1)
	v_cmpx_ne_u64_e32 0, v[1:2]
	s_xor_b32 s1, exec_lo, s0
	s_cbranch_execz .LBB19_10
; %bb.9:                                ;   in Loop: Header=BB19_4 Depth=1
	s_ashr_i32 s2, s42, 31
	s_delay_alu instid0(SALU_CYCLE_1) | instskip(SKIP_2) | instid1(SALU_CYCLE_1)
	s_add_u32 s4, s33, s2
	s_mov_b32 s3, s2
	s_addc_u32 s5, s42, s2
	s_xor_b64 s[4:5], s[4:5], s[2:3]
	s_delay_alu instid0(SALU_CYCLE_1) | instskip(SKIP_3) | instid1(VALU_DEP_1)
	v_cvt_f32_u32_e32 v2, s4
	v_cvt_f32_u32_e32 v11, s5
	s_sub_u32 s0, 0, s4
	s_subb_u32 s3, 0, s5
	v_fmac_f32_e32 v2, 0x4f800000, v11
	s_delay_alu instid0(VALU_DEP_1) | instskip(SKIP_2) | instid1(VALU_DEP_1)
	v_rcp_f32_e32 v2, v2
	s_waitcnt_depctr 0xfff
	v_mul_f32_e32 v2, 0x5f7ffffc, v2
	v_mul_f32_e32 v11, 0x2f800000, v2
	s_delay_alu instid0(VALU_DEP_1) | instskip(NEXT) | instid1(VALU_DEP_1)
	v_trunc_f32_e32 v11, v11
	v_fmac_f32_e32 v2, 0xcf800000, v11
	v_cvt_u32_f32_e32 v11, v11
	s_delay_alu instid0(VALU_DEP_2) | instskip(NEXT) | instid1(VALU_DEP_2)
	v_cvt_u32_f32_e32 v2, v2
	v_mul_lo_u32 v12, s0, v11
	s_delay_alu instid0(VALU_DEP_2) | instskip(SKIP_1) | instid1(VALU_DEP_2)
	v_mul_hi_u32 v14, s0, v2
	v_mul_lo_u32 v15, s3, v2
	v_add_nc_u32_e32 v12, v14, v12
	v_mul_lo_u32 v14, s0, v2
	s_delay_alu instid0(VALU_DEP_2) | instskip(NEXT) | instid1(VALU_DEP_2)
	v_add_nc_u32_e32 v12, v12, v15
	v_mul_hi_u32 v15, v2, v14
	s_delay_alu instid0(VALU_DEP_2)
	v_mul_lo_u32 v16, v2, v12
	v_mul_hi_u32 v17, v2, v12
	v_mul_hi_u32 v18, v11, v14
	v_mul_lo_u32 v14, v11, v14
	v_mul_hi_u32 v19, v11, v12
	v_mul_lo_u32 v12, v11, v12
	v_add_co_u32 v15, vcc_lo, v15, v16
	v_add_co_ci_u32_e32 v16, vcc_lo, 0, v17, vcc_lo
	s_delay_alu instid0(VALU_DEP_2) | instskip(NEXT) | instid1(VALU_DEP_2)
	v_add_co_u32 v14, vcc_lo, v15, v14
	v_add_co_ci_u32_e32 v14, vcc_lo, v16, v18, vcc_lo
	v_add_co_ci_u32_e32 v15, vcc_lo, 0, v19, vcc_lo
	s_delay_alu instid0(VALU_DEP_2) | instskip(NEXT) | instid1(VALU_DEP_2)
	v_add_co_u32 v12, vcc_lo, v14, v12
	v_add_co_ci_u32_e32 v14, vcc_lo, 0, v15, vcc_lo
	s_delay_alu instid0(VALU_DEP_2) | instskip(NEXT) | instid1(VALU_DEP_2)
	v_add_co_u32 v2, vcc_lo, v2, v12
	v_add_co_ci_u32_e32 v11, vcc_lo, v11, v14, vcc_lo
	s_delay_alu instid0(VALU_DEP_2) | instskip(SKIP_1) | instid1(VALU_DEP_3)
	v_mul_hi_u32 v12, s0, v2
	v_mul_lo_u32 v15, s3, v2
	v_mul_lo_u32 v14, s0, v11
	s_delay_alu instid0(VALU_DEP_1) | instskip(SKIP_1) | instid1(VALU_DEP_2)
	v_add_nc_u32_e32 v12, v12, v14
	v_mul_lo_u32 v14, s0, v2
	v_add_nc_u32_e32 v12, v12, v15
	s_delay_alu instid0(VALU_DEP_2) | instskip(NEXT) | instid1(VALU_DEP_2)
	v_mul_hi_u32 v15, v2, v14
	v_mul_lo_u32 v16, v2, v12
	v_mul_hi_u32 v17, v2, v12
	v_mul_hi_u32 v18, v11, v14
	v_mul_lo_u32 v14, v11, v14
	v_mul_hi_u32 v19, v11, v12
	v_mul_lo_u32 v12, v11, v12
	v_add_co_u32 v15, vcc_lo, v15, v16
	v_add_co_ci_u32_e32 v16, vcc_lo, 0, v17, vcc_lo
	s_delay_alu instid0(VALU_DEP_2) | instskip(NEXT) | instid1(VALU_DEP_2)
	v_add_co_u32 v14, vcc_lo, v15, v14
	v_add_co_ci_u32_e32 v14, vcc_lo, v16, v18, vcc_lo
	v_add_co_ci_u32_e32 v15, vcc_lo, 0, v19, vcc_lo
	v_add_co_u32 v16, vcc_lo, v3, v13
	v_add_co_ci_u32_e32 v17, vcc_lo, v4, v13, vcc_lo
	s_delay_alu instid0(VALU_DEP_4) | instskip(NEXT) | instid1(VALU_DEP_4)
	v_add_co_u32 v12, vcc_lo, v14, v12
	v_add_co_ci_u32_e32 v14, vcc_lo, 0, v15, vcc_lo
	s_delay_alu instid0(VALU_DEP_4) | instskip(NEXT) | instid1(VALU_DEP_3)
	v_xor_b32_e32 v18, v16, v13
	v_add_co_u32 v2, vcc_lo, v2, v12
	s_delay_alu instid0(VALU_DEP_3) | instskip(SKIP_1) | instid1(VALU_DEP_3)
	v_add_co_ci_u32_e32 v19, vcc_lo, v11, v14, vcc_lo
	v_xor_b32_e32 v20, v17, v13
	v_mul_hi_u32 v21, v18, v2
	v_xor_b32_e32 v13, s2, v13
	s_delay_alu instid0(VALU_DEP_4) | instskip(NEXT) | instid1(VALU_DEP_4)
	v_mad_u64_u32 v[11:12], null, v18, v19, 0
	v_mad_u64_u32 v[14:15], null, v20, v2, 0
	;; [unrolled: 1-line block ×3, first 2 shown]
	s_delay_alu instid0(VALU_DEP_3) | instskip(NEXT) | instid1(VALU_DEP_4)
	v_add_co_u32 v2, vcc_lo, v21, v11
	v_add_co_ci_u32_e32 v11, vcc_lo, 0, v12, vcc_lo
	s_delay_alu instid0(VALU_DEP_2) | instskip(NEXT) | instid1(VALU_DEP_2)
	v_add_co_u32 v2, vcc_lo, v2, v14
	v_add_co_ci_u32_e32 v2, vcc_lo, v11, v15, vcc_lo
	v_add_co_ci_u32_e32 v11, vcc_lo, 0, v17, vcc_lo
	s_delay_alu instid0(VALU_DEP_2) | instskip(NEXT) | instid1(VALU_DEP_2)
	v_add_co_u32 v2, vcc_lo, v2, v16
	v_add_co_ci_u32_e32 v14, vcc_lo, 0, v11, vcc_lo
	s_delay_alu instid0(VALU_DEP_2) | instskip(SKIP_1) | instid1(VALU_DEP_3)
	v_mul_lo_u32 v15, s5, v2
	v_mad_u64_u32 v[11:12], null, s4, v2, 0
	v_mul_lo_u32 v16, s4, v14
	s_delay_alu instid0(VALU_DEP_2) | instskip(NEXT) | instid1(VALU_DEP_2)
	v_sub_co_u32 v11, vcc_lo, v18, v11
	v_add3_u32 v12, v12, v16, v15
	s_delay_alu instid0(VALU_DEP_1) | instskip(NEXT) | instid1(VALU_DEP_1)
	v_sub_nc_u32_e32 v15, v20, v12
	v_subrev_co_ci_u32_e64 v15, s0, s5, v15, vcc_lo
	v_add_co_u32 v16, s0, v2, 2
	s_delay_alu instid0(VALU_DEP_1) | instskip(SKIP_3) | instid1(VALU_DEP_3)
	v_add_co_ci_u32_e64 v17, s0, 0, v14, s0
	v_sub_co_u32 v18, s0, v11, s4
	v_sub_co_ci_u32_e32 v12, vcc_lo, v20, v12, vcc_lo
	v_subrev_co_ci_u32_e64 v15, s0, 0, v15, s0
	v_cmp_le_u32_e32 vcc_lo, s4, v18
	s_delay_alu instid0(VALU_DEP_3) | instskip(SKIP_1) | instid1(VALU_DEP_4)
	v_cmp_eq_u32_e64 s0, s5, v12
	v_cndmask_b32_e64 v18, 0, -1, vcc_lo
	v_cmp_le_u32_e32 vcc_lo, s5, v15
	v_cndmask_b32_e64 v19, 0, -1, vcc_lo
	v_cmp_le_u32_e32 vcc_lo, s4, v11
	;; [unrolled: 2-line block ×3, first 2 shown]
	v_cndmask_b32_e64 v20, 0, -1, vcc_lo
	v_cmp_eq_u32_e32 vcc_lo, s5, v15
	s_delay_alu instid0(VALU_DEP_2) | instskip(SKIP_3) | instid1(VALU_DEP_3)
	v_cndmask_b32_e64 v11, v20, v11, s0
	v_cndmask_b32_e32 v15, v19, v18, vcc_lo
	v_add_co_u32 v18, vcc_lo, v2, 1
	v_add_co_ci_u32_e32 v19, vcc_lo, 0, v14, vcc_lo
	v_cmp_ne_u32_e32 vcc_lo, 0, v15
	s_delay_alu instid0(VALU_DEP_2) | instskip(SKIP_1) | instid1(VALU_DEP_2)
	v_dual_cndmask_b32 v12, v19, v17 :: v_dual_cndmask_b32 v15, v18, v16
	v_cmp_ne_u32_e32 vcc_lo, 0, v11
	v_cndmask_b32_e32 v11, v14, v12, vcc_lo
	s_delay_alu instid0(VALU_DEP_3) | instskip(NEXT) | instid1(VALU_DEP_2)
	v_cndmask_b32_e32 v2, v2, v15, vcc_lo
	v_xor_b32_e32 v12, v11, v13
	s_delay_alu instid0(VALU_DEP_2) | instskip(NEXT) | instid1(VALU_DEP_1)
	v_xor_b32_e32 v2, v2, v13
	v_sub_co_u32 v11, vcc_lo, v2, v13
	s_delay_alu instid0(VALU_DEP_3)
	v_sub_co_ci_u32_e32 v12, vcc_lo, v12, v13, vcc_lo
.LBB19_10:                              ;   in Loop: Header=BB19_4 Depth=1
	s_and_not1_saveexec_b32 s0, s1
	s_cbranch_execz .LBB19_12
; %bb.11:                               ;   in Loop: Header=BB19_4 Depth=1
	v_cvt_f32_u32_e32 v2, s33
	s_sub_i32 s1, 0, s33
	s_delay_alu instid0(VALU_DEP_1) | instskip(SKIP_2) | instid1(VALU_DEP_1)
	v_rcp_iflag_f32_e32 v2, v2
	s_waitcnt_depctr 0xfff
	v_mul_f32_e32 v2, 0x4f7ffffe, v2
	v_cvt_u32_f32_e32 v2, v2
	s_delay_alu instid0(VALU_DEP_1) | instskip(NEXT) | instid1(VALU_DEP_1)
	v_mul_lo_u32 v11, s1, v2
	v_mul_hi_u32 v11, v2, v11
	s_delay_alu instid0(VALU_DEP_1) | instskip(NEXT) | instid1(VALU_DEP_1)
	v_add_nc_u32_e32 v2, v2, v11
	v_mul_hi_u32 v2, v3, v2
	s_delay_alu instid0(VALU_DEP_1) | instskip(SKIP_1) | instid1(VALU_DEP_2)
	v_mul_lo_u32 v11, v2, s33
	v_add_nc_u32_e32 v12, 1, v2
	v_sub_nc_u32_e32 v11, v3, v11
	s_delay_alu instid0(VALU_DEP_1) | instskip(SKIP_1) | instid1(VALU_DEP_2)
	v_subrev_nc_u32_e32 v13, s33, v11
	v_cmp_le_u32_e32 vcc_lo, s33, v11
	v_dual_cndmask_b32 v11, v11, v13 :: v_dual_cndmask_b32 v2, v2, v12
	s_delay_alu instid0(VALU_DEP_1) | instskip(NEXT) | instid1(VALU_DEP_2)
	v_cmp_le_u32_e32 vcc_lo, s33, v11
	v_add_nc_u32_e32 v12, 1, v2
	s_delay_alu instid0(VALU_DEP_1)
	v_dual_cndmask_b32 v11, v2, v12 :: v_dual_mov_b32 v12, v1
.LBB19_12:                              ;   in Loop: Header=BB19_4 Depth=1
	s_or_b32 exec_lo, exec_lo, s0
	s_delay_alu instid0(VALU_DEP_1) | instskip(SKIP_1) | instid1(VALU_DEP_1)
	v_or_b32_e32 v2, s7, v12
                                        ; implicit-def: $vgpr13_vgpr14
	s_mov_b32 s0, exec_lo
	v_cmpx_ne_u64_e32 0, v[1:2]
	s_xor_b32 s1, exec_lo, s0
	s_cbranch_execz .LBB19_14
; %bb.13:                               ;   in Loop: Header=BB19_4 Depth=1
	s_add_u32 s4, s6, s7
	s_mov_b32 s2, s7
	s_mov_b32 s3, s7
	s_addc_u32 s5, s7, s7
	s_delay_alu instid0(SALU_CYCLE_1) | instskip(NEXT) | instid1(SALU_CYCLE_1)
	s_xor_b64 s[2:3], s[4:5], s[2:3]
	v_cvt_f32_u32_e32 v2, s2
	v_cvt_f32_u32_e32 v13, s3
	s_sub_u32 s0, 0, s2
	s_subb_u32 s4, 0, s3
	s_delay_alu instid0(VALU_DEP_1) | instskip(NEXT) | instid1(VALU_DEP_1)
	v_fmac_f32_e32 v2, 0x4f800000, v13
	v_rcp_f32_e32 v2, v2
	s_waitcnt_depctr 0xfff
	v_mul_f32_e32 v2, 0x5f7ffffc, v2
	s_delay_alu instid0(VALU_DEP_1) | instskip(NEXT) | instid1(VALU_DEP_1)
	v_mul_f32_e32 v13, 0x2f800000, v2
	v_trunc_f32_e32 v13, v13
	s_delay_alu instid0(VALU_DEP_1) | instskip(SKIP_1) | instid1(VALU_DEP_2)
	v_fmac_f32_e32 v2, 0xcf800000, v13
	v_cvt_u32_f32_e32 v13, v13
	v_cvt_u32_f32_e32 v2, v2
	s_delay_alu instid0(VALU_DEP_2) | instskip(NEXT) | instid1(VALU_DEP_2)
	v_mul_lo_u32 v14, s0, v13
	v_mul_hi_u32 v15, s0, v2
	v_mul_lo_u32 v16, s4, v2
	s_delay_alu instid0(VALU_DEP_2) | instskip(SKIP_1) | instid1(VALU_DEP_2)
	v_add_nc_u32_e32 v14, v15, v14
	v_mul_lo_u32 v15, s0, v2
	v_add_nc_u32_e32 v14, v14, v16
	s_delay_alu instid0(VALU_DEP_2) | instskip(NEXT) | instid1(VALU_DEP_2)
	v_mul_hi_u32 v16, v2, v15
	v_mul_lo_u32 v17, v2, v14
	v_mul_hi_u32 v18, v2, v14
	v_mul_hi_u32 v19, v13, v15
	v_mul_lo_u32 v15, v13, v15
	v_mul_hi_u32 v20, v13, v14
	v_mul_lo_u32 v14, v13, v14
	v_add_co_u32 v16, vcc_lo, v16, v17
	v_add_co_ci_u32_e32 v17, vcc_lo, 0, v18, vcc_lo
	s_delay_alu instid0(VALU_DEP_2) | instskip(NEXT) | instid1(VALU_DEP_2)
	v_add_co_u32 v15, vcc_lo, v16, v15
	v_add_co_ci_u32_e32 v15, vcc_lo, v17, v19, vcc_lo
	v_add_co_ci_u32_e32 v16, vcc_lo, 0, v20, vcc_lo
	v_ashrrev_i32_e32 v19, 31, v12
	s_delay_alu instid0(VALU_DEP_3) | instskip(NEXT) | instid1(VALU_DEP_3)
	v_add_co_u32 v14, vcc_lo, v15, v14
	v_add_co_ci_u32_e32 v15, vcc_lo, 0, v16, vcc_lo
	s_delay_alu instid0(VALU_DEP_2) | instskip(NEXT) | instid1(VALU_DEP_2)
	v_add_co_u32 v2, vcc_lo, v2, v14
	v_add_co_ci_u32_e32 v13, vcc_lo, v13, v15, vcc_lo
	s_delay_alu instid0(VALU_DEP_2) | instskip(SKIP_1) | instid1(VALU_DEP_3)
	v_mul_hi_u32 v14, s0, v2
	v_mul_lo_u32 v16, s4, v2
	v_mul_lo_u32 v15, s0, v13
	s_delay_alu instid0(VALU_DEP_1) | instskip(SKIP_1) | instid1(VALU_DEP_2)
	v_add_nc_u32_e32 v14, v14, v15
	v_mul_lo_u32 v15, s0, v2
	v_add_nc_u32_e32 v14, v14, v16
	s_delay_alu instid0(VALU_DEP_2) | instskip(NEXT) | instid1(VALU_DEP_2)
	v_mul_hi_u32 v16, v2, v15
	v_mul_lo_u32 v17, v2, v14
	v_mul_hi_u32 v18, v2, v14
	v_mul_hi_u32 v20, v13, v15
	v_mul_lo_u32 v15, v13, v15
	v_mul_hi_u32 v21, v13, v14
	v_mul_lo_u32 v14, v13, v14
	v_add_co_u32 v16, vcc_lo, v16, v17
	v_add_co_ci_u32_e32 v17, vcc_lo, 0, v18, vcc_lo
	s_delay_alu instid0(VALU_DEP_2) | instskip(NEXT) | instid1(VALU_DEP_2)
	v_add_co_u32 v15, vcc_lo, v16, v15
	v_add_co_ci_u32_e32 v15, vcc_lo, v17, v20, vcc_lo
	v_add_co_ci_u32_e32 v16, vcc_lo, 0, v21, vcc_lo
	v_add_co_u32 v17, vcc_lo, v11, v19
	v_add_co_ci_u32_e32 v18, vcc_lo, v12, v19, vcc_lo
	s_delay_alu instid0(VALU_DEP_4) | instskip(NEXT) | instid1(VALU_DEP_4)
	v_add_co_u32 v14, vcc_lo, v15, v14
	v_add_co_ci_u32_e32 v15, vcc_lo, 0, v16, vcc_lo
	s_delay_alu instid0(VALU_DEP_4) | instskip(NEXT) | instid1(VALU_DEP_3)
	v_xor_b32_e32 v20, v17, v19
	v_add_co_u32 v2, vcc_lo, v2, v14
	s_delay_alu instid0(VALU_DEP_3) | instskip(SKIP_1) | instid1(VALU_DEP_3)
	v_add_co_ci_u32_e32 v21, vcc_lo, v13, v15, vcc_lo
	v_xor_b32_e32 v22, v18, v19
	v_mul_hi_u32 v23, v20, v2
	s_delay_alu instid0(VALU_DEP_3) | instskip(NEXT) | instid1(VALU_DEP_3)
	v_mad_u64_u32 v[13:14], null, v20, v21, 0
	v_mad_u64_u32 v[15:16], null, v22, v2, 0
	;; [unrolled: 1-line block ×3, first 2 shown]
	s_delay_alu instid0(VALU_DEP_3) | instskip(NEXT) | instid1(VALU_DEP_4)
	v_add_co_u32 v2, vcc_lo, v23, v13
	v_add_co_ci_u32_e32 v13, vcc_lo, 0, v14, vcc_lo
	s_delay_alu instid0(VALU_DEP_2) | instskip(NEXT) | instid1(VALU_DEP_2)
	v_add_co_u32 v2, vcc_lo, v2, v15
	v_add_co_ci_u32_e32 v2, vcc_lo, v13, v16, vcc_lo
	v_add_co_ci_u32_e32 v13, vcc_lo, 0, v18, vcc_lo
	s_delay_alu instid0(VALU_DEP_2) | instskip(NEXT) | instid1(VALU_DEP_2)
	v_add_co_u32 v2, vcc_lo, v2, v17
	v_add_co_ci_u32_e32 v15, vcc_lo, 0, v13, vcc_lo
	s_delay_alu instid0(VALU_DEP_2) | instskip(SKIP_1) | instid1(VALU_DEP_3)
	v_mul_lo_u32 v16, s3, v2
	v_mad_u64_u32 v[13:14], null, s2, v2, 0
	v_mul_lo_u32 v2, s2, v15
	s_delay_alu instid0(VALU_DEP_2) | instskip(NEXT) | instid1(VALU_DEP_2)
	v_sub_co_u32 v13, vcc_lo, v20, v13
	v_add3_u32 v2, v14, v2, v16
	s_delay_alu instid0(VALU_DEP_1) | instskip(NEXT) | instid1(VALU_DEP_1)
	v_sub_nc_u32_e32 v14, v22, v2
	v_subrev_co_ci_u32_e64 v14, s0, s3, v14, vcc_lo
	v_sub_co_ci_u32_e32 v2, vcc_lo, v22, v2, vcc_lo
	v_sub_co_u32 v15, vcc_lo, v13, s2
	s_delay_alu instid0(VALU_DEP_1) | instskip(SKIP_3) | instid1(VALU_DEP_3)
	v_subrev_co_ci_u32_e64 v16, s0, 0, v14, vcc_lo
	v_cmp_le_u32_e64 s0, s2, v13
	v_subrev_co_ci_u32_e32 v14, vcc_lo, s3, v14, vcc_lo
	v_cmp_le_u32_e32 vcc_lo, s3, v2
	v_cndmask_b32_e64 v17, 0, -1, s0
	v_cmp_le_u32_e64 s0, s2, v15
	v_cndmask_b32_e64 v21, 0, -1, vcc_lo
	v_cmp_eq_u32_e32 vcc_lo, s3, v16
	s_delay_alu instid0(VALU_DEP_3) | instskip(SKIP_1) | instid1(VALU_DEP_1)
	v_cndmask_b32_e64 v18, 0, -1, s0
	v_cmp_le_u32_e64 s0, s3, v16
	v_cndmask_b32_e64 v20, 0, -1, s0
	v_cmp_eq_u32_e64 s0, s3, v2
	s_delay_alu instid0(VALU_DEP_2) | instskip(SKIP_2) | instid1(VALU_DEP_3)
	v_cndmask_b32_e32 v18, v20, v18, vcc_lo
	v_sub_co_u32 v20, vcc_lo, v15, s2
	v_subrev_co_ci_u32_e32 v14, vcc_lo, 0, v14, vcc_lo
	v_cmp_ne_u32_e32 vcc_lo, 0, v18
	v_cndmask_b32_e64 v17, v21, v17, s0
	s_delay_alu instid0(VALU_DEP_3) | instskip(NEXT) | instid1(VALU_DEP_2)
	v_dual_cndmask_b32 v14, v16, v14 :: v_dual_cndmask_b32 v15, v15, v20
	v_cmp_ne_u32_e32 vcc_lo, 0, v17
	s_delay_alu instid0(VALU_DEP_2) | instskip(NEXT) | instid1(VALU_DEP_1)
	v_dual_cndmask_b32 v13, v13, v15 :: v_dual_cndmask_b32 v2, v2, v14
	v_xor_b32_e32 v13, v13, v19
	s_delay_alu instid0(VALU_DEP_2) | instskip(NEXT) | instid1(VALU_DEP_2)
	v_xor_b32_e32 v2, v2, v19
	v_sub_co_u32 v13, vcc_lo, v13, v19
	s_delay_alu instid0(VALU_DEP_2)
	v_sub_co_ci_u32_e32 v14, vcc_lo, v2, v19, vcc_lo
.LBB19_14:                              ;   in Loop: Header=BB19_4 Depth=1
	s_and_not1_saveexec_b32 s0, s1
	s_cbranch_execz .LBB19_16
; %bb.15:                               ;   in Loop: Header=BB19_4 Depth=1
	v_cvt_f32_u32_e32 v2, s6
	s_sub_i32 s1, 0, s6
	v_mov_b32_e32 v14, v1
	s_delay_alu instid0(VALU_DEP_2) | instskip(SKIP_2) | instid1(VALU_DEP_1)
	v_rcp_iflag_f32_e32 v2, v2
	s_waitcnt_depctr 0xfff
	v_mul_f32_e32 v2, 0x4f7ffffe, v2
	v_cvt_u32_f32_e32 v2, v2
	s_delay_alu instid0(VALU_DEP_1) | instskip(NEXT) | instid1(VALU_DEP_1)
	v_mul_lo_u32 v13, s1, v2
	v_mul_hi_u32 v13, v2, v13
	s_delay_alu instid0(VALU_DEP_1) | instskip(NEXT) | instid1(VALU_DEP_1)
	v_add_nc_u32_e32 v2, v2, v13
	v_mul_hi_u32 v2, v11, v2
	s_delay_alu instid0(VALU_DEP_1) | instskip(NEXT) | instid1(VALU_DEP_1)
	v_mul_lo_u32 v2, v2, s6
	v_sub_nc_u32_e32 v2, v11, v2
	s_delay_alu instid0(VALU_DEP_1) | instskip(SKIP_1) | instid1(VALU_DEP_2)
	v_subrev_nc_u32_e32 v13, s6, v2
	v_cmp_le_u32_e32 vcc_lo, s6, v2
	v_cndmask_b32_e32 v2, v2, v13, vcc_lo
	s_delay_alu instid0(VALU_DEP_1) | instskip(SKIP_1) | instid1(VALU_DEP_2)
	v_subrev_nc_u32_e32 v13, s6, v2
	v_cmp_le_u32_e32 vcc_lo, s6, v2
	v_cndmask_b32_e32 v13, v2, v13, vcc_lo
.LBB19_16:                              ;   in Loop: Header=BB19_4 Depth=1
	s_or_b32 exec_lo, exec_lo, s0
	v_mad_u64_u32 v[17:18], null, s59, v11, v[3:4]
	v_mul_lo_u32 v2, s59, v12
	v_mul_lo_u32 v15, s60, v11
	s_mov_b32 s0, exec_lo
	s_delay_alu instid0(VALU_DEP_1) | instskip(NEXT) | instid1(VALU_DEP_1)
	v_add3_u32 v18, v15, v18, v2
                                        ; implicit-def: $vgpr15_vgpr16
	v_or_b32_e32 v2, s21, v18
	s_delay_alu instid0(VALU_DEP_1)
	v_cmpx_ne_u64_e32 0, v[1:2]
	s_xor_b32 s1, exec_lo, s0
	s_cbranch_execz .LBB19_18
; %bb.17:                               ;   in Loop: Header=BB19_4 Depth=1
	s_ashr_i32 s2, s21, 31
	s_delay_alu instid0(SALU_CYCLE_1) | instskip(SKIP_2) | instid1(SALU_CYCLE_1)
	s_add_u32 s4, s20, s2
	s_mov_b32 s3, s2
	s_addc_u32 s5, s21, s2
	s_xor_b64 s[4:5], s[4:5], s[2:3]
	s_delay_alu instid0(SALU_CYCLE_1) | instskip(SKIP_3) | instid1(VALU_DEP_1)
	v_cvt_f32_u32_e32 v2, s4
	v_cvt_f32_u32_e32 v15, s5
	s_sub_u32 s0, 0, s4
	s_subb_u32 s3, 0, s5
	v_fmac_f32_e32 v2, 0x4f800000, v15
	s_delay_alu instid0(VALU_DEP_1) | instskip(SKIP_2) | instid1(VALU_DEP_1)
	v_rcp_f32_e32 v2, v2
	s_waitcnt_depctr 0xfff
	v_mul_f32_e32 v2, 0x5f7ffffc, v2
	v_mul_f32_e32 v15, 0x2f800000, v2
	s_delay_alu instid0(VALU_DEP_1) | instskip(NEXT) | instid1(VALU_DEP_1)
	v_trunc_f32_e32 v15, v15
	v_fmac_f32_e32 v2, 0xcf800000, v15
	v_cvt_u32_f32_e32 v15, v15
	s_delay_alu instid0(VALU_DEP_2) | instskip(NEXT) | instid1(VALU_DEP_2)
	v_cvt_u32_f32_e32 v2, v2
	v_mul_lo_u32 v16, s0, v15
	s_delay_alu instid0(VALU_DEP_2) | instskip(SKIP_1) | instid1(VALU_DEP_2)
	v_mul_hi_u32 v19, s0, v2
	v_mul_lo_u32 v20, s3, v2
	v_add_nc_u32_e32 v16, v19, v16
	v_mul_lo_u32 v19, s0, v2
	s_delay_alu instid0(VALU_DEP_2) | instskip(NEXT) | instid1(VALU_DEP_2)
	v_add_nc_u32_e32 v16, v16, v20
	v_mul_hi_u32 v20, v2, v19
	s_delay_alu instid0(VALU_DEP_2)
	v_mul_lo_u32 v21, v2, v16
	v_mul_hi_u32 v22, v2, v16
	v_mul_hi_u32 v23, v15, v19
	v_mul_lo_u32 v19, v15, v19
	v_mul_hi_u32 v24, v15, v16
	v_mul_lo_u32 v16, v15, v16
	v_add_co_u32 v20, vcc_lo, v20, v21
	v_add_co_ci_u32_e32 v21, vcc_lo, 0, v22, vcc_lo
	s_delay_alu instid0(VALU_DEP_2) | instskip(NEXT) | instid1(VALU_DEP_2)
	v_add_co_u32 v19, vcc_lo, v20, v19
	v_add_co_ci_u32_e32 v19, vcc_lo, v21, v23, vcc_lo
	v_add_co_ci_u32_e32 v20, vcc_lo, 0, v24, vcc_lo
	v_ashrrev_i32_e32 v23, 31, v18
	s_delay_alu instid0(VALU_DEP_3) | instskip(NEXT) | instid1(VALU_DEP_3)
	v_add_co_u32 v16, vcc_lo, v19, v16
	v_add_co_ci_u32_e32 v19, vcc_lo, 0, v20, vcc_lo
	s_delay_alu instid0(VALU_DEP_2) | instskip(NEXT) | instid1(VALU_DEP_2)
	v_add_co_u32 v2, vcc_lo, v2, v16
	v_add_co_ci_u32_e32 v15, vcc_lo, v15, v19, vcc_lo
	s_delay_alu instid0(VALU_DEP_2) | instskip(SKIP_1) | instid1(VALU_DEP_3)
	v_mul_hi_u32 v16, s0, v2
	v_mul_lo_u32 v20, s3, v2
	v_mul_lo_u32 v19, s0, v15
	s_delay_alu instid0(VALU_DEP_1) | instskip(SKIP_1) | instid1(VALU_DEP_2)
	v_add_nc_u32_e32 v16, v16, v19
	v_mul_lo_u32 v19, s0, v2
	v_add_nc_u32_e32 v16, v16, v20
	s_delay_alu instid0(VALU_DEP_2) | instskip(NEXT) | instid1(VALU_DEP_2)
	v_mul_hi_u32 v20, v2, v19
	v_mul_lo_u32 v21, v2, v16
	v_mul_hi_u32 v22, v2, v16
	v_mul_hi_u32 v24, v15, v19
	v_mul_lo_u32 v19, v15, v19
	v_mul_hi_u32 v25, v15, v16
	v_mul_lo_u32 v16, v15, v16
	v_add_co_u32 v20, vcc_lo, v20, v21
	v_add_co_ci_u32_e32 v21, vcc_lo, 0, v22, vcc_lo
	s_delay_alu instid0(VALU_DEP_2) | instskip(NEXT) | instid1(VALU_DEP_2)
	v_add_co_u32 v19, vcc_lo, v20, v19
	v_add_co_ci_u32_e32 v19, vcc_lo, v21, v24, vcc_lo
	v_add_co_ci_u32_e32 v20, vcc_lo, 0, v25, vcc_lo
	v_add_co_u32 v17, vcc_lo, v17, v23
	v_add_co_ci_u32_e32 v18, vcc_lo, v18, v23, vcc_lo
	s_delay_alu instid0(VALU_DEP_4) | instskip(NEXT) | instid1(VALU_DEP_4)
	v_add_co_u32 v16, vcc_lo, v19, v16
	v_add_co_ci_u32_e32 v19, vcc_lo, 0, v20, vcc_lo
	s_delay_alu instid0(VALU_DEP_4) | instskip(NEXT) | instid1(VALU_DEP_3)
	v_xor_b32_e32 v21, v17, v23
	v_add_co_u32 v2, vcc_lo, v2, v16
	s_delay_alu instid0(VALU_DEP_3) | instskip(SKIP_1) | instid1(VALU_DEP_3)
	v_add_co_ci_u32_e32 v22, vcc_lo, v15, v19, vcc_lo
	v_xor_b32_e32 v24, v18, v23
	v_mul_hi_u32 v25, v21, v2
	s_delay_alu instid0(VALU_DEP_3) | instskip(NEXT) | instid1(VALU_DEP_3)
	v_mad_u64_u32 v[15:16], null, v21, v22, 0
	v_mad_u64_u32 v[17:18], null, v24, v2, 0
	;; [unrolled: 1-line block ×3, first 2 shown]
	s_delay_alu instid0(VALU_DEP_3) | instskip(NEXT) | instid1(VALU_DEP_4)
	v_add_co_u32 v2, vcc_lo, v25, v15
	v_add_co_ci_u32_e32 v15, vcc_lo, 0, v16, vcc_lo
	s_delay_alu instid0(VALU_DEP_2) | instskip(NEXT) | instid1(VALU_DEP_2)
	v_add_co_u32 v2, vcc_lo, v2, v17
	v_add_co_ci_u32_e32 v2, vcc_lo, v15, v18, vcc_lo
	v_add_co_ci_u32_e32 v15, vcc_lo, 0, v20, vcc_lo
	s_delay_alu instid0(VALU_DEP_2) | instskip(NEXT) | instid1(VALU_DEP_2)
	v_add_co_u32 v2, vcc_lo, v2, v19
	v_add_co_ci_u32_e32 v17, vcc_lo, 0, v15, vcc_lo
	s_delay_alu instid0(VALU_DEP_2) | instskip(SKIP_1) | instid1(VALU_DEP_3)
	v_mul_lo_u32 v18, s5, v2
	v_mad_u64_u32 v[15:16], null, s4, v2, 0
	v_mul_lo_u32 v19, s4, v17
	s_delay_alu instid0(VALU_DEP_2) | instskip(NEXT) | instid1(VALU_DEP_2)
	v_sub_co_u32 v15, vcc_lo, v21, v15
	v_add3_u32 v16, v16, v19, v18
	s_delay_alu instid0(VALU_DEP_1) | instskip(NEXT) | instid1(VALU_DEP_1)
	v_sub_nc_u32_e32 v18, v24, v16
	v_subrev_co_ci_u32_e64 v18, s0, s5, v18, vcc_lo
	v_add_co_u32 v19, s0, v2, 2
	s_delay_alu instid0(VALU_DEP_1) | instskip(SKIP_3) | instid1(VALU_DEP_3)
	v_add_co_ci_u32_e64 v20, s0, 0, v17, s0
	v_sub_co_u32 v21, s0, v15, s4
	v_sub_co_ci_u32_e32 v16, vcc_lo, v24, v16, vcc_lo
	v_subrev_co_ci_u32_e64 v18, s0, 0, v18, s0
	v_cmp_le_u32_e32 vcc_lo, s4, v21
	s_delay_alu instid0(VALU_DEP_3) | instskip(SKIP_1) | instid1(VALU_DEP_4)
	v_cmp_eq_u32_e64 s0, s5, v16
	v_cndmask_b32_e64 v21, 0, -1, vcc_lo
	v_cmp_le_u32_e32 vcc_lo, s5, v18
	v_cndmask_b32_e64 v22, 0, -1, vcc_lo
	v_cmp_le_u32_e32 vcc_lo, s4, v15
	;; [unrolled: 2-line block ×3, first 2 shown]
	v_cndmask_b32_e64 v24, 0, -1, vcc_lo
	v_cmp_eq_u32_e32 vcc_lo, s5, v18
	s_delay_alu instid0(VALU_DEP_2) | instskip(SKIP_3) | instid1(VALU_DEP_3)
	v_cndmask_b32_e64 v15, v24, v15, s0
	v_cndmask_b32_e32 v18, v22, v21, vcc_lo
	v_add_co_u32 v21, vcc_lo, v2, 1
	v_add_co_ci_u32_e32 v22, vcc_lo, 0, v17, vcc_lo
	v_cmp_ne_u32_e32 vcc_lo, 0, v18
	s_delay_alu instid0(VALU_DEP_2) | instskip(NEXT) | instid1(VALU_DEP_4)
	v_cndmask_b32_e32 v16, v22, v20, vcc_lo
	v_cndmask_b32_e32 v18, v21, v19, vcc_lo
	v_cmp_ne_u32_e32 vcc_lo, 0, v15
	v_xor_b32_e32 v19, s2, v23
	s_delay_alu instid0(VALU_DEP_3) | instskip(NEXT) | instid1(VALU_DEP_1)
	v_dual_cndmask_b32 v2, v2, v18 :: v_dual_cndmask_b32 v15, v17, v16
                                        ; implicit-def: $vgpr17_vgpr18
	v_xor_b32_e32 v2, v2, v19
	s_delay_alu instid0(VALU_DEP_2) | instskip(NEXT) | instid1(VALU_DEP_2)
	v_xor_b32_e32 v16, v15, v19
	v_sub_co_u32 v15, vcc_lo, v2, v19
	s_delay_alu instid0(VALU_DEP_2)
	v_sub_co_ci_u32_e32 v16, vcc_lo, v16, v19, vcc_lo
.LBB19_18:                              ;   in Loop: Header=BB19_4 Depth=1
	s_and_not1_saveexec_b32 s0, s1
	s_cbranch_execz .LBB19_20
; %bb.19:                               ;   in Loop: Header=BB19_4 Depth=1
	v_cvt_f32_u32_e32 v2, s20
	s_sub_i32 s1, 0, s20
	s_delay_alu instid0(VALU_DEP_1) | instskip(SKIP_2) | instid1(VALU_DEP_1)
	v_rcp_iflag_f32_e32 v2, v2
	s_waitcnt_depctr 0xfff
	v_mul_f32_e32 v2, 0x4f7ffffe, v2
	v_cvt_u32_f32_e32 v2, v2
	s_delay_alu instid0(VALU_DEP_1) | instskip(NEXT) | instid1(VALU_DEP_1)
	v_mul_lo_u32 v15, s1, v2
	v_mul_hi_u32 v15, v2, v15
	s_delay_alu instid0(VALU_DEP_1) | instskip(NEXT) | instid1(VALU_DEP_1)
	v_add_nc_u32_e32 v2, v2, v15
	v_mul_hi_u32 v2, v17, v2
	s_delay_alu instid0(VALU_DEP_1) | instskip(SKIP_1) | instid1(VALU_DEP_2)
	v_mul_lo_u32 v15, v2, s20
	v_add_nc_u32_e32 v16, 1, v2
	v_sub_nc_u32_e32 v15, v17, v15
	s_delay_alu instid0(VALU_DEP_1) | instskip(SKIP_1) | instid1(VALU_DEP_2)
	v_subrev_nc_u32_e32 v17, s20, v15
	v_cmp_le_u32_e32 vcc_lo, s20, v15
	v_dual_cndmask_b32 v15, v15, v17 :: v_dual_cndmask_b32 v2, v2, v16
	s_delay_alu instid0(VALU_DEP_1) | instskip(NEXT) | instid1(VALU_DEP_2)
	v_cmp_le_u32_e32 vcc_lo, s20, v15
	v_add_nc_u32_e32 v16, 1, v2
	s_delay_alu instid0(VALU_DEP_1)
	v_dual_cndmask_b32 v15, v2, v16 :: v_dual_mov_b32 v16, v1
.LBB19_20:                              ;   in Loop: Header=BB19_4 Depth=1
	s_or_b32 exec_lo, exec_lo, s0
	v_mul_lo_u32 v2, s56, v11
	v_mul_lo_u32 v21, s55, v12
	v_mad_u64_u32 v[17:18], null, s55, v11, 0
	v_mul_lo_u32 v24, v12, s33
	v_mul_lo_u32 v25, v11, s42
	v_mad_u64_u32 v[19:20], null, v11, s33, 0
	v_mul_lo_u32 v26, v16, s20
	v_mul_lo_u32 v27, v15, s21
	v_add3_u32 v18, v18, v21, v2
	v_sub_co_u32 v2, vcc_lo, v17, v15
	v_mad_u64_u32 v[21:22], null, v15, s20, 0
	s_delay_alu instid0(VALU_DEP_3) | instskip(NEXT) | instid1(VALU_DEP_3)
	v_sub_co_ci_u32_e32 v23, vcc_lo, v18, v16, vcc_lo
	v_mul_lo_u32 v28, s21, v2
	v_mad_u64_u32 v[17:18], null, s20, v2, 0
	s_delay_alu instid0(VALU_DEP_3)
	v_mul_lo_u32 v29, s20, v23
	v_add3_u32 v20, v20, v25, v24
	v_add3_u32 v22, v22, v27, v26
	v_cmp_lt_i64_e32 vcc_lo, 0, v[15:16]
	v_cmp_ge_i64_e64 s0, s[12:13], v[15:16]
	v_add_co_u32 v24, s1, v3, v17
	v_add3_u32 v18, v18, v29, v28
	s_delay_alu instid0(VALU_DEP_3) | instskip(NEXT) | instid1(VALU_DEP_1)
	s_and_b32 s0, vcc_lo, s0
	v_add_co_ci_u32_e64 v25, s1, v4, v18, s1
	v_sub_co_u32 v19, s1, v3, v19
	s_delay_alu instid0(VALU_DEP_1) | instskip(SKIP_1) | instid1(VALU_DEP_4)
	v_sub_co_ci_u32_e64 v20, s1, v4, v20, s1
	v_cmp_eq_u64_e64 s1, v[17:18], v[5:6]
	v_cmp_lt_i64_e64 s2, s[10:11], v[24:25]
	v_cmp_gt_i64_e64 s3, s[28:29], v[24:25]
	v_cmp_le_i64_e64 s4, s[30:31], v[24:25]
	v_sub_co_u32 v25, s5, v19, v21
	s_delay_alu instid0(VALU_DEP_1) | instskip(SKIP_2) | instid1(VALU_DEP_4)
	v_sub_co_ci_u32_e64 v26, s5, v20, v22, s5
	v_mov_b32_e32 v24, 0
	s_or_b32 s5, s1, s2
	s_and_b32 s2, s3, s4
	s_and_saveexec_b32 s3, s0
	s_cbranch_execz .LBB19_30
; %bb.21:                               ;   in Loop: Header=BB19_4 Depth=1
	v_sub_co_u32 v21, vcc_lo, s12, v15
	v_sub_co_ci_u32_e32 v19, vcc_lo, s13, v16, vcc_lo
	s_mov_b32 s0, exec_lo
	s_delay_alu instid0(VALU_DEP_2) | instskip(NEXT) | instid1(VALU_DEP_2)
	v_mul_lo_u32 v24, v21, s45
	v_mul_lo_u32 v22, v19, s44
	v_mad_u64_u32 v[19:20], null, v21, s44, 0
	s_delay_alu instid0(VALU_DEP_1) | instskip(NEXT) | instid1(VALU_DEP_2)
	v_add3_u32 v20, v20, v24, v22
	v_add_co_u32 v21, vcc_lo, v17, v19
	s_delay_alu instid0(VALU_DEP_2) | instskip(SKIP_2) | instid1(VALU_DEP_2)
	v_add_co_ci_u32_e32 v22, vcc_lo, v18, v20, vcc_lo
	v_add_co_u32 v24, vcc_lo, s10, v3
	v_add_co_ci_u32_e32 v27, vcc_lo, s11, v4, vcc_lo
	v_add_co_u32 v21, vcc_lo, v24, v21
	s_delay_alu instid0(VALU_DEP_2) | instskip(SKIP_1) | instid1(VALU_DEP_2)
	v_add_co_ci_u32_e32 v22, vcc_lo, v27, v22, vcc_lo
	v_mov_b32_e32 v24, 0
	v_cmpx_gt_i64_e64 s[14:15], v[21:22]
	s_cbranch_execz .LBB19_23
; %bb.22:                               ;   in Loop: Header=BB19_4 Depth=1
	v_mul_lo_u32 v24, s47, v9
	v_mul_lo_u32 v31, s52, v10
	v_mad_u64_u32 v[27:28], null, s52, v9, 0
	v_mul_lo_u32 v32, v14, s14
	v_mul_lo_u32 v33, v13, s15
	v_mad_u64_u32 v[29:30], null, v13, s14, 0
	v_lshlrev_b64 v[21:22], 1, v[21:22]
	v_add3_u32 v28, v28, v31, v24
	s_delay_alu instid0(VALU_DEP_3) | instskip(NEXT) | instid1(VALU_DEP_2)
	v_add3_u32 v30, v30, v33, v32
	v_lshlrev_b64 v[27:28], 1, v[27:28]
	s_delay_alu instid0(VALU_DEP_2) | instskip(NEXT) | instid1(VALU_DEP_2)
	v_lshlrev_b64 v[29:30], 1, v[29:30]
	v_add_co_u32 v24, vcc_lo, s18, v27
	s_delay_alu instid0(VALU_DEP_3) | instskip(NEXT) | instid1(VALU_DEP_2)
	v_add_co_ci_u32_e32 v27, vcc_lo, s19, v28, vcc_lo
	v_add_co_u32 v24, vcc_lo, v24, v29
	s_delay_alu instid0(VALU_DEP_2) | instskip(NEXT) | instid1(VALU_DEP_2)
	v_add_co_ci_u32_e32 v27, vcc_lo, v27, v30, vcc_lo
	v_add_co_u32 v21, vcc_lo, v24, v21
	s_delay_alu instid0(VALU_DEP_2)
	v_add_co_ci_u32_e32 v22, vcc_lo, v27, v22, vcc_lo
	global_load_u16 v21, v[21:22], off
	s_waitcnt vmcnt(0)
	v_add_f16_e32 v24, 0, v21
.LBB19_23:                              ;   in Loop: Header=BB19_4 Depth=1
	s_or_b32 exec_lo, exec_lo, s0
	s_mov_b32 s1, 0
                                        ; implicit-def: $vgpr21_vgpr22
	s_and_saveexec_b32 s0, s5
	s_delay_alu instid0(SALU_CYCLE_1)
	s_xor_b32 s4, exec_lo, s0
	s_cbranch_execz .LBB19_49
; %bb.24:                               ;   in Loop: Header=BB19_4 Depth=1
	s_mov_b32 s0, 0
                                        ; implicit-def: $vgpr21_vgpr22
	s_and_saveexec_b32 s1, s2
	s_delay_alu instid0(SALU_CYCLE_1)
	s_xor_b32 s62, exec_lo, s1
	s_cbranch_execz .LBB19_26
; %bb.25:                               ;   in Loop: Header=BB19_4 Depth=1
	v_mad_u64_u32 v[21:22], null, s22, v11, v[15:16]
	v_mul_lo_u32 v27, s22, v12
	v_mul_lo_u32 v28, s23, v11
	s_delay_alu instid0(VALU_DEP_1) | instskip(NEXT) | instid1(VALU_DEP_4)
	v_add3_u32 v22, v28, v22, v27
	v_add_co_u32 v27, vcc_lo, v21, 2
	s_delay_alu instid0(VALU_DEP_2) | instskip(NEXT) | instid1(VALU_DEP_2)
	v_add_co_ci_u32_e32 v28, vcc_lo, 0, v22, vcc_lo
	v_mul_lo_u32 v29, s21, v27
	v_mad_u64_u32 v[21:22], null, s20, v27, v[19:20]
	s_delay_alu instid0(VALU_DEP_3) | instskip(SKIP_2) | instid1(VALU_DEP_2)
	v_mul_lo_u32 v27, s20, v28
	v_add_co_u32 v28, vcc_lo, s10, v5
	v_add_co_ci_u32_e32 v30, vcc_lo, s11, v6, vcc_lo
	v_add_co_u32 v21, vcc_lo, v28, v21
	s_delay_alu instid0(VALU_DEP_4) | instskip(NEXT) | instid1(VALU_DEP_1)
	v_add3_u32 v22, v29, v22, v27
	v_add_co_ci_u32_e32 v22, vcc_lo, v30, v22, vcc_lo
	s_delay_alu instid0(VALU_DEP_3) | instskip(NEXT) | instid1(VALU_DEP_2)
	v_add_co_u32 v21, vcc_lo, v21, -2
	v_add_co_ci_u32_e32 v22, vcc_lo, -1, v22, vcc_lo
	v_sub_co_u32 v27, vcc_lo, s48, v25
	v_sub_co_ci_u32_e32 v28, vcc_lo, s49, v26, vcc_lo
	s_delay_alu instid0(VALU_DEP_3) | instskip(SKIP_1) | instid1(VALU_DEP_4)
	v_cmp_lt_i64_e32 vcc_lo, -1, v[21:22]
	v_cmp_gt_i64_e64 s0, s[14:15], v[21:22]
	v_add_co_u32 v21, s1, v27, v19
	s_delay_alu instid0(VALU_DEP_1) | instskip(NEXT) | instid1(VALU_DEP_3)
	v_add_co_ci_u32_e64 v22, s1, v28, v20, s1
	s_and_b32 s0, vcc_lo, s0
	s_delay_alu instid0(SALU_CYCLE_1)
	s_and_b32 s0, s0, exec_lo
.LBB19_26:                              ;   in Loop: Header=BB19_4 Depth=1
	s_or_b32 exec_lo, exec_lo, s62
	s_delay_alu instid0(SALU_CYCLE_1)
	s_and_b32 s1, s0, exec_lo
                                        ; implicit-def: $vgpr19_vgpr20
	s_and_not1_saveexec_b32 s4, s4
	s_cbranch_execnz .LBB19_50
.LBB19_27:                              ;   in Loop: Header=BB19_4 Depth=1
	s_or_b32 exec_lo, exec_lo, s4
	s_and_saveexec_b32 s0, s1
	s_cbranch_execz .LBB19_29
.LBB19_28:                              ;   in Loop: Header=BB19_4 Depth=1
	v_mul_lo_u32 v29, s47, v9
	v_mul_lo_u32 v30, s52, v10
	v_mad_u64_u32 v[19:20], null, s52, v9, 0
	v_mul_lo_u32 v31, v14, s14
	v_mul_lo_u32 v32, v13, s15
	v_mad_u64_u32 v[27:28], null, v13, s14, 0
	s_delay_alu instid0(VALU_DEP_4) | instskip(NEXT) | instid1(VALU_DEP_2)
	v_add3_u32 v20, v20, v30, v29
	v_add3_u32 v28, v28, v32, v31
	s_delay_alu instid0(VALU_DEP_2) | instskip(NEXT) | instid1(VALU_DEP_2)
	v_lshlrev_b64 v[19:20], 1, v[19:20]
	v_lshlrev_b64 v[27:28], 1, v[27:28]
	s_delay_alu instid0(VALU_DEP_2) | instskip(NEXT) | instid1(VALU_DEP_3)
	v_add_co_u32 v29, vcc_lo, s18, v19
	v_add_co_ci_u32_e32 v30, vcc_lo, s19, v20, vcc_lo
	v_lshlrev_b64 v[19:20], 1, v[21:22]
	s_delay_alu instid0(VALU_DEP_3) | instskip(NEXT) | instid1(VALU_DEP_3)
	v_add_co_u32 v21, vcc_lo, v29, v27
	v_add_co_ci_u32_e32 v22, vcc_lo, v30, v28, vcc_lo
	s_delay_alu instid0(VALU_DEP_2) | instskip(NEXT) | instid1(VALU_DEP_2)
	v_add_co_u32 v19, vcc_lo, v21, v19
	v_add_co_ci_u32_e32 v20, vcc_lo, v22, v20, vcc_lo
	global_load_u16 v19, v[19:20], off
	s_waitcnt vmcnt(0)
	v_add_f16_e32 v24, v24, v19
.LBB19_29:                              ;   in Loop: Header=BB19_4 Depth=1
	s_or_b32 exec_lo, exec_lo, s0
.LBB19_30:                              ;   in Loop: Header=BB19_4 Depth=1
	s_delay_alu instid0(SALU_CYCLE_1) | instskip(SKIP_2) | instid1(VALU_DEP_1)
	s_or_b32 exec_lo, exec_lo, s3
	v_cmp_gt_i64_e32 vcc_lo, s[24:25], v[15:16]
	v_cmp_le_i64_e64 s0, s[26:27], v[15:16]
	s_and_b32 s0, vcc_lo, s0
	s_delay_alu instid0(SALU_CYCLE_1)
	s_and_saveexec_b32 s3, s0
	s_cbranch_execz .LBB19_40
; %bb.31:                               ;   in Loop: Header=BB19_4 Depth=1
	v_sub_co_u32 v21, vcc_lo, s50, v15
	v_sub_co_ci_u32_e32 v19, vcc_lo, s51, v16, vcc_lo
	s_delay_alu instid0(VALU_DEP_2) | instskip(NEXT) | instid1(VALU_DEP_2)
	v_mul_lo_u32 v22, s45, v21
	v_mul_lo_u32 v27, s44, v19
	v_mad_u64_u32 v[19:20], null, s44, v21, 0
	v_add_co_u32 v21, vcc_lo, s10, v3
	s_delay_alu instid0(VALU_DEP_2) | instskip(SKIP_1) | instid1(VALU_DEP_4)
	v_add3_u32 v20, v20, v27, v22
	v_add_co_ci_u32_e32 v22, vcc_lo, s11, v4, vcc_lo
	v_add_co_u32 v27, vcc_lo, v19, v17
	s_delay_alu instid0(VALU_DEP_3) | instskip(NEXT) | instid1(VALU_DEP_2)
	v_add_co_ci_u32_e32 v28, vcc_lo, v20, v18, vcc_lo
	v_add_co_u32 v21, vcc_lo, v21, v27
	s_delay_alu instid0(VALU_DEP_2) | instskip(NEXT) | instid1(VALU_DEP_1)
	v_add_co_ci_u32_e32 v22, vcc_lo, v22, v28, vcc_lo
	v_cmp_lt_i64_e32 vcc_lo, -1, v[21:22]
	v_cmp_gt_i64_e64 s0, s[14:15], v[21:22]
	s_delay_alu instid0(VALU_DEP_1) | instskip(NEXT) | instid1(SALU_CYCLE_1)
	s_and_b32 s1, vcc_lo, s0
	s_and_saveexec_b32 s0, s1
	s_cbranch_execz .LBB19_33
; %bb.32:                               ;   in Loop: Header=BB19_4 Depth=1
	v_mul_lo_u32 v31, s47, v9
	v_mul_lo_u32 v32, s52, v10
	v_mad_u64_u32 v[27:28], null, s52, v9, 0
	v_mul_lo_u32 v33, v14, s14
	v_mul_lo_u32 v34, v13, s15
	v_mad_u64_u32 v[29:30], null, v13, s14, 0
	v_lshlrev_b64 v[21:22], 1, v[21:22]
	v_add3_u32 v28, v28, v32, v31
	s_delay_alu instid0(VALU_DEP_3) | instskip(NEXT) | instid1(VALU_DEP_2)
	v_add3_u32 v30, v30, v34, v33
	v_lshlrev_b64 v[27:28], 1, v[27:28]
	s_delay_alu instid0(VALU_DEP_2) | instskip(NEXT) | instid1(VALU_DEP_2)
	v_lshlrev_b64 v[29:30], 1, v[29:30]
	v_add_co_u32 v27, vcc_lo, s18, v27
	s_delay_alu instid0(VALU_DEP_3) | instskip(NEXT) | instid1(VALU_DEP_2)
	v_add_co_ci_u32_e32 v28, vcc_lo, s19, v28, vcc_lo
	v_add_co_u32 v27, vcc_lo, v27, v29
	s_delay_alu instid0(VALU_DEP_2) | instskip(NEXT) | instid1(VALU_DEP_2)
	v_add_co_ci_u32_e32 v28, vcc_lo, v28, v30, vcc_lo
	v_add_co_u32 v21, vcc_lo, v27, v21
	s_delay_alu instid0(VALU_DEP_2)
	v_add_co_ci_u32_e32 v22, vcc_lo, v28, v22, vcc_lo
	global_load_u16 v21, v[21:22], off
	s_waitcnt vmcnt(0)
	v_add_f16_e32 v24, v24, v21
.LBB19_33:                              ;   in Loop: Header=BB19_4 Depth=1
	s_or_b32 exec_lo, exec_lo, s0
	s_mov_b32 s1, 0
                                        ; implicit-def: $vgpr21_vgpr22
	s_and_saveexec_b32 s0, s5
	s_delay_alu instid0(SALU_CYCLE_1)
	s_xor_b32 s4, exec_lo, s0
	s_cbranch_execz .LBB19_51
; %bb.34:                               ;   in Loop: Header=BB19_4 Depth=1
	s_mov_b32 s0, 0
                                        ; implicit-def: $vgpr21_vgpr22
	s_and_saveexec_b32 s1, s2
	s_delay_alu instid0(SALU_CYCLE_1)
	s_xor_b32 s62, exec_lo, s1
	s_cbranch_execz .LBB19_36
; %bb.35:                               ;   in Loop: Header=BB19_4 Depth=1
	v_mad_u64_u32 v[21:22], null, s22, v11, v[15:16]
	v_mul_lo_u32 v27, s22, v12
	v_mul_lo_u32 v28, s23, v11
	s_delay_alu instid0(VALU_DEP_1) | instskip(NEXT) | instid1(VALU_DEP_4)
	v_add3_u32 v22, v28, v22, v27
	v_add_co_u32 v27, vcc_lo, v21, 2
	s_delay_alu instid0(VALU_DEP_2) | instskip(NEXT) | instid1(VALU_DEP_2)
	v_add_co_ci_u32_e32 v28, vcc_lo, 0, v22, vcc_lo
	v_mul_lo_u32 v29, s21, v27
	v_mad_u64_u32 v[21:22], null, s20, v27, v[19:20]
	s_delay_alu instid0(VALU_DEP_3) | instskip(SKIP_2) | instid1(VALU_DEP_2)
	v_mul_lo_u32 v27, s20, v28
	v_add_co_u32 v28, vcc_lo, s10, v5
	v_add_co_ci_u32_e32 v30, vcc_lo, s11, v6, vcc_lo
	v_add_co_u32 v21, vcc_lo, v28, v21
	s_delay_alu instid0(VALU_DEP_4) | instskip(NEXT) | instid1(VALU_DEP_1)
	v_add3_u32 v22, v29, v22, v27
	v_add_co_ci_u32_e32 v22, vcc_lo, v30, v22, vcc_lo
	s_delay_alu instid0(VALU_DEP_3) | instskip(NEXT) | instid1(VALU_DEP_2)
	v_add_co_u32 v21, vcc_lo, v21, -2
	v_add_co_ci_u32_e32 v22, vcc_lo, -1, v22, vcc_lo
	v_add_co_u32 v19, vcc_lo, s53, v19
	v_add_co_ci_u32_e32 v20, vcc_lo, s54, v20, vcc_lo
	s_delay_alu instid0(VALU_DEP_3) | instskip(SKIP_1) | instid1(VALU_DEP_4)
	v_cmp_lt_i64_e32 vcc_lo, -1, v[21:22]
	v_cmp_gt_i64_e64 s0, s[14:15], v[21:22]
	v_sub_co_u32 v21, s1, v19, v25
	s_delay_alu instid0(VALU_DEP_1) | instskip(NEXT) | instid1(VALU_DEP_3)
	v_sub_co_ci_u32_e64 v22, s1, v20, v26, s1
	s_and_b32 s0, vcc_lo, s0
	s_delay_alu instid0(SALU_CYCLE_1)
	s_and_b32 s0, s0, exec_lo
.LBB19_36:                              ;   in Loop: Header=BB19_4 Depth=1
	s_or_b32 exec_lo, exec_lo, s62
	s_delay_alu instid0(SALU_CYCLE_1)
	s_and_b32 s1, s0, exec_lo
                                        ; implicit-def: $vgpr19_vgpr20
	s_and_not1_saveexec_b32 s4, s4
	s_cbranch_execnz .LBB19_52
.LBB19_37:                              ;   in Loop: Header=BB19_4 Depth=1
	s_or_b32 exec_lo, exec_lo, s4
	s_and_saveexec_b32 s0, s1
	s_cbranch_execz .LBB19_39
.LBB19_38:                              ;   in Loop: Header=BB19_4 Depth=1
	v_mul_lo_u32 v27, s47, v9
	v_mul_lo_u32 v28, s52, v10
	v_mad_u64_u32 v[19:20], null, s52, v9, 0
	v_mul_lo_u32 v29, v14, s14
	v_mul_lo_u32 v30, v13, s15
	v_mad_u64_u32 v[25:26], null, v13, s14, 0
	s_delay_alu instid0(VALU_DEP_4) | instskip(NEXT) | instid1(VALU_DEP_2)
	v_add3_u32 v20, v20, v28, v27
	v_add3_u32 v26, v26, v30, v29
	s_delay_alu instid0(VALU_DEP_2) | instskip(NEXT) | instid1(VALU_DEP_2)
	v_lshlrev_b64 v[19:20], 1, v[19:20]
	v_lshlrev_b64 v[25:26], 1, v[25:26]
	s_delay_alu instid0(VALU_DEP_2) | instskip(NEXT) | instid1(VALU_DEP_3)
	v_add_co_u32 v27, vcc_lo, s18, v19
	v_add_co_ci_u32_e32 v28, vcc_lo, s19, v20, vcc_lo
	v_lshlrev_b64 v[19:20], 1, v[21:22]
	s_delay_alu instid0(VALU_DEP_3) | instskip(NEXT) | instid1(VALU_DEP_3)
	v_add_co_u32 v21, vcc_lo, v27, v25
	v_add_co_ci_u32_e32 v22, vcc_lo, v28, v26, vcc_lo
	s_delay_alu instid0(VALU_DEP_2) | instskip(NEXT) | instid1(VALU_DEP_2)
	v_add_co_u32 v19, vcc_lo, v21, v19
	v_add_co_ci_u32_e32 v20, vcc_lo, v22, v20, vcc_lo
	global_load_u16 v19, v[19:20], off
	s_waitcnt vmcnt(0)
	v_add_f16_e32 v24, v24, v19
.LBB19_39:                              ;   in Loop: Header=BB19_4 Depth=1
	s_or_b32 exec_lo, exec_lo, s0
.LBB19_40:                              ;   in Loop: Header=BB19_4 Depth=1
	s_delay_alu instid0(SALU_CYCLE_1) | instskip(SKIP_1) | instid1(SALU_CYCLE_1)
	s_or_b32 exec_lo, exec_lo, s3
                                        ; implicit-def: $vgpr19_vgpr20
	s_and_saveexec_b32 s0, s5
	s_xor_b32 s0, exec_lo, s0
	s_cbranch_execz .LBB19_43
; %bb.41:                               ;   in Loop: Header=BB19_4 Depth=1
	v_add_co_u32 v17, vcc_lo, v15, s12
	v_add_co_ci_u32_e32 v18, vcc_lo, s13, v16, vcc_lo
	s_delay_alu instid0(VALU_DEP_2) | instskip(SKIP_1) | instid1(VALU_DEP_3)
	v_mul_lo_u32 v21, v17, s45
	v_mad_u64_u32 v[19:20], null, v17, s44, 0
	v_mul_lo_u32 v18, v18, s44
	s_delay_alu instid0(VALU_DEP_1)
	v_add3_u32 v20, v20, v21, v18
                                        ; implicit-def: $vgpr17_vgpr18
	s_and_not1_saveexec_b32 s1, s0
	s_cbranch_execnz .LBB19_44
.LBB19_42:                              ;   in Loop: Header=BB19_4 Depth=1
	s_or_b32 exec_lo, exec_lo, s1
	s_and_saveexec_b32 s1, s2
	s_cbranch_execz .LBB19_3
	s_branch .LBB19_47
.LBB19_43:                              ;   in Loop: Header=BB19_4 Depth=1
	s_and_not1_saveexec_b32 s1, s0
	s_cbranch_execz .LBB19_42
.LBB19_44:                              ;   in Loop: Header=BB19_4 Depth=1
	v_add_co_u32 v21, vcc_lo, v15, s12
	v_add_co_ci_u32_e32 v19, vcc_lo, s13, v16, vcc_lo
	s_delay_alu instid0(VALU_DEP_2) | instskip(NEXT) | instid1(VALU_DEP_2)
	v_mul_lo_u32 v25, v21, s45
	v_mul_lo_u32 v22, v19, s44
	v_mad_u64_u32 v[19:20], null, v21, s44, 0
	v_add_co_u32 v21, vcc_lo, s10, v5
	s_delay_alu instid0(VALU_DEP_2) | instskip(SKIP_1) | instid1(VALU_DEP_4)
	v_add3_u32 v20, v20, v25, v22
	v_add_co_ci_u32_e32 v22, vcc_lo, s11, v6, vcc_lo
	v_sub_co_u32 v17, vcc_lo, v19, v17
	s_delay_alu instid0(VALU_DEP_3) | instskip(NEXT) | instid1(VALU_DEP_2)
	v_sub_co_ci_u32_e32 v18, vcc_lo, v20, v18, vcc_lo
	v_add_co_u32 v17, vcc_lo, v21, v17
	s_delay_alu instid0(VALU_DEP_2) | instskip(NEXT) | instid1(VALU_DEP_1)
	v_add_co_ci_u32_e32 v18, vcc_lo, v22, v18, vcc_lo
	v_cmp_lt_i64_e32 vcc_lo, -1, v[17:18]
	v_cmp_gt_i64_e64 s0, s[14:15], v[17:18]
	s_delay_alu instid0(VALU_DEP_1) | instskip(NEXT) | instid1(SALU_CYCLE_1)
	s_and_b32 s3, vcc_lo, s0
	s_and_saveexec_b32 s0, s3
	s_cbranch_execz .LBB19_46
; %bb.45:                               ;   in Loop: Header=BB19_4 Depth=1
	v_mul_lo_u32 v27, s47, v9
	v_mul_lo_u32 v28, s52, v10
	v_mad_u64_u32 v[21:22], null, s52, v9, 0
	v_mul_lo_u32 v29, v14, s14
	v_mul_lo_u32 v30, v13, s15
	v_mad_u64_u32 v[25:26], null, v13, s14, 0
	v_lshlrev_b64 v[17:18], 1, v[17:18]
	v_add3_u32 v22, v22, v28, v27
	s_delay_alu instid0(VALU_DEP_3) | instskip(NEXT) | instid1(VALU_DEP_2)
	v_add3_u32 v26, v26, v30, v29
	v_lshlrev_b64 v[21:22], 1, v[21:22]
	s_delay_alu instid0(VALU_DEP_2) | instskip(NEXT) | instid1(VALU_DEP_2)
	v_lshlrev_b64 v[25:26], 1, v[25:26]
	v_add_co_u32 v21, vcc_lo, s18, v21
	s_delay_alu instid0(VALU_DEP_3) | instskip(NEXT) | instid1(VALU_DEP_2)
	v_add_co_ci_u32_e32 v22, vcc_lo, s19, v22, vcc_lo
	v_add_co_u32 v21, vcc_lo, v21, v25
	s_delay_alu instid0(VALU_DEP_2) | instskip(NEXT) | instid1(VALU_DEP_2)
	v_add_co_ci_u32_e32 v22, vcc_lo, v22, v26, vcc_lo
	v_add_co_u32 v17, vcc_lo, v21, v17
	s_delay_alu instid0(VALU_DEP_2)
	v_add_co_ci_u32_e32 v18, vcc_lo, v22, v18, vcc_lo
	global_load_u16 v17, v[17:18], off
	s_waitcnt vmcnt(0)
	v_add_f16_e32 v24, v24, v17
.LBB19_46:                              ;   in Loop: Header=BB19_4 Depth=1
	s_or_b32 exec_lo, exec_lo, s0
	s_delay_alu instid0(SALU_CYCLE_1)
	s_or_b32 exec_lo, exec_lo, s1
	s_and_saveexec_b32 s1, s2
	s_cbranch_execz .LBB19_3
.LBB19_47:                              ;   in Loop: Header=BB19_4 Depth=1
	v_mad_u64_u32 v[17:18], null, s22, v11, v[15:16]
	v_mul_lo_u32 v12, s22, v12
	v_mul_lo_u32 v11, s23, v11
	s_delay_alu instid0(VALU_DEP_3) | instskip(NEXT) | instid1(VALU_DEP_2)
	v_add_co_u32 v15, vcc_lo, v17, 2
	v_add3_u32 v11, v11, v18, v12
	s_delay_alu instid0(VALU_DEP_2) | instskip(NEXT) | instid1(VALU_DEP_2)
	v_mul_lo_u32 v17, s21, v15
	v_add_co_ci_u32_e32 v16, vcc_lo, 0, v11, vcc_lo
	v_mad_u64_u32 v[11:12], null, s20, v15, v[19:20]
	s_delay_alu instid0(VALU_DEP_2) | instskip(SKIP_2) | instid1(VALU_DEP_2)
	v_mul_lo_u32 v15, s20, v16
	v_add_co_u32 v16, vcc_lo, s10, v5
	v_add_co_ci_u32_e32 v18, vcc_lo, s11, v6, vcc_lo
	v_add_co_u32 v11, vcc_lo, v16, v11
	s_delay_alu instid0(VALU_DEP_4) | instskip(NEXT) | instid1(VALU_DEP_1)
	v_add3_u32 v12, v17, v12, v15
	v_add_co_ci_u32_e32 v12, vcc_lo, v18, v12, vcc_lo
	s_delay_alu instid0(VALU_DEP_3) | instskip(NEXT) | instid1(VALU_DEP_2)
	v_add_co_u32 v11, vcc_lo, v11, -2
	v_add_co_ci_u32_e32 v12, vcc_lo, -1, v12, vcc_lo
	s_delay_alu instid0(VALU_DEP_1) | instskip(SKIP_1) | instid1(VALU_DEP_1)
	v_cmp_lt_i64_e32 vcc_lo, -1, v[11:12]
	v_cmp_gt_i64_e64 s0, s[14:15], v[11:12]
	s_and_b32 s2, vcc_lo, s0
	s_delay_alu instid0(SALU_CYCLE_1)
	s_and_saveexec_b32 s0, s2
	s_cbranch_execz .LBB19_2
; %bb.48:                               ;   in Loop: Header=BB19_4 Depth=1
	v_mul_lo_u32 v21, s47, v9
	v_mul_lo_u32 v22, s52, v10
	v_mad_u64_u32 v[15:16], null, s52, v9, 0
	v_mul_lo_u32 v25, v14, s14
	v_mul_lo_u32 v26, v13, s15
	v_mad_u64_u32 v[17:18], null, v13, s14, 0
	v_lshlrev_b64 v[11:12], 1, v[11:12]
	v_add3_u32 v16, v16, v22, v21
	s_delay_alu instid0(VALU_DEP_3) | instskip(NEXT) | instid1(VALU_DEP_2)
	v_add3_u32 v18, v18, v26, v25
	v_lshlrev_b64 v[15:16], 1, v[15:16]
	s_delay_alu instid0(VALU_DEP_2) | instskip(NEXT) | instid1(VALU_DEP_2)
	v_lshlrev_b64 v[17:18], 1, v[17:18]
	v_add_co_u32 v15, vcc_lo, s18, v15
	s_delay_alu instid0(VALU_DEP_3) | instskip(NEXT) | instid1(VALU_DEP_2)
	v_add_co_ci_u32_e32 v16, vcc_lo, s19, v16, vcc_lo
	v_add_co_u32 v15, vcc_lo, v15, v17
	s_delay_alu instid0(VALU_DEP_2) | instskip(NEXT) | instid1(VALU_DEP_2)
	v_add_co_ci_u32_e32 v16, vcc_lo, v16, v18, vcc_lo
	v_add_co_u32 v11, vcc_lo, v15, v11
	s_delay_alu instid0(VALU_DEP_2)
	v_add_co_ci_u32_e32 v12, vcc_lo, v16, v12, vcc_lo
	global_load_u16 v11, v[11:12], off
	s_waitcnt vmcnt(0)
	v_add_f16_e32 v24, v24, v11
	s_branch .LBB19_2
.LBB19_49:                              ;   in Loop: Header=BB19_4 Depth=1
	s_and_not1_saveexec_b32 s4, s4
	s_cbranch_execz .LBB19_27
.LBB19_50:                              ;   in Loop: Header=BB19_4 Depth=1
	v_sub_co_u32 v19, vcc_lo, v19, v17
	v_sub_co_ci_u32_e32 v20, vcc_lo, v20, v18, vcc_lo
	v_add_co_u32 v21, vcc_lo, s10, v5
	v_add_co_ci_u32_e32 v22, vcc_lo, s11, v6, vcc_lo
	s_and_not1_b32 s1, s1, exec_lo
	s_delay_alu instid0(VALU_DEP_2) | instskip(NEXT) | instid1(VALU_DEP_2)
	v_add_co_u32 v21, vcc_lo, v21, v19
	v_add_co_ci_u32_e32 v22, vcc_lo, v22, v20, vcc_lo
	s_delay_alu instid0(VALU_DEP_1) | instskip(SKIP_1) | instid1(VALU_DEP_1)
	v_cmp_lt_i64_e32 vcc_lo, -1, v[21:22]
	v_cmp_gt_i64_e64 s0, s[14:15], v[21:22]
	s_and_b32 s0, vcc_lo, s0
	s_delay_alu instid0(SALU_CYCLE_1) | instskip(NEXT) | instid1(SALU_CYCLE_1)
	s_and_b32 s0, s0, exec_lo
	s_or_b32 s1, s1, s0
	s_or_b32 exec_lo, exec_lo, s4
	s_and_saveexec_b32 s0, s1
	s_cbranch_execnz .LBB19_28
	s_branch .LBB19_29
.LBB19_51:                              ;   in Loop: Header=BB19_4 Depth=1
	s_and_not1_saveexec_b32 s4, s4
	s_cbranch_execz .LBB19_37
.LBB19_52:                              ;   in Loop: Header=BB19_4 Depth=1
	v_sub_co_u32 v19, vcc_lo, v19, v17
	v_sub_co_ci_u32_e32 v20, vcc_lo, v20, v18, vcc_lo
	v_add_co_u32 v21, vcc_lo, s10, v5
	v_add_co_ci_u32_e32 v22, vcc_lo, s11, v6, vcc_lo
	s_and_not1_b32 s1, s1, exec_lo
	s_delay_alu instid0(VALU_DEP_2) | instskip(NEXT) | instid1(VALU_DEP_2)
	v_add_co_u32 v21, vcc_lo, v21, v19
	v_add_co_ci_u32_e32 v22, vcc_lo, v22, v20, vcc_lo
	s_delay_alu instid0(VALU_DEP_1) | instskip(SKIP_1) | instid1(VALU_DEP_1)
	v_cmp_lt_i64_e32 vcc_lo, -1, v[21:22]
	v_cmp_gt_i64_e64 s0, s[14:15], v[21:22]
	s_and_b32 s0, vcc_lo, s0
	s_delay_alu instid0(SALU_CYCLE_1) | instskip(NEXT) | instid1(SALU_CYCLE_1)
	s_and_b32 s0, s0, exec_lo
	s_or_b32 s1, s1, s0
	s_or_b32 exec_lo, exec_lo, s4
	s_and_saveexec_b32 s0, s1
	s_cbranch_execnz .LBB19_38
	s_branch .LBB19_39
.LBB19_53:
	s_nop 0
	s_sendmsg sendmsg(MSG_DEALLOC_VGPRS)
	s_endpgm
	.section	.rodata,"a",@progbits
	.p2align	6, 0x0
	.amdhsa_kernel _ZN2at6native12_GLOBAL__N_140reflection_pad2d_backward_det_out_kernelIN3c104HalfEEEvPT_PKS5_lliiiiiii
		.amdhsa_group_segment_fixed_size 0
		.amdhsa_private_segment_fixed_size 0
		.amdhsa_kernarg_size 320
		.amdhsa_user_sgpr_count 15
		.amdhsa_user_sgpr_dispatch_ptr 0
		.amdhsa_user_sgpr_queue_ptr 0
		.amdhsa_user_sgpr_kernarg_segment_ptr 1
		.amdhsa_user_sgpr_dispatch_id 0
		.amdhsa_user_sgpr_private_segment_size 0
		.amdhsa_wavefront_size32 1
		.amdhsa_uses_dynamic_stack 0
		.amdhsa_enable_private_segment 0
		.amdhsa_system_sgpr_workgroup_id_x 1
		.amdhsa_system_sgpr_workgroup_id_y 0
		.amdhsa_system_sgpr_workgroup_id_z 0
		.amdhsa_system_sgpr_workgroup_info 0
		.amdhsa_system_vgpr_workitem_id 0
		.amdhsa_next_free_vgpr 35
		.amdhsa_next_free_sgpr 63
		.amdhsa_reserve_vcc 1
		.amdhsa_float_round_mode_32 0
		.amdhsa_float_round_mode_16_64 0
		.amdhsa_float_denorm_mode_32 3
		.amdhsa_float_denorm_mode_16_64 3
		.amdhsa_dx10_clamp 1
		.amdhsa_ieee_mode 1
		.amdhsa_fp16_overflow 0
		.amdhsa_workgroup_processor_mode 1
		.amdhsa_memory_ordered 1
		.amdhsa_forward_progress 0
		.amdhsa_shared_vgpr_count 0
		.amdhsa_exception_fp_ieee_invalid_op 0
		.amdhsa_exception_fp_denorm_src 0
		.amdhsa_exception_fp_ieee_div_zero 0
		.amdhsa_exception_fp_ieee_overflow 0
		.amdhsa_exception_fp_ieee_underflow 0
		.amdhsa_exception_fp_ieee_inexact 0
		.amdhsa_exception_int_div_zero 0
	.end_amdhsa_kernel
	.section	.text._ZN2at6native12_GLOBAL__N_140reflection_pad2d_backward_det_out_kernelIN3c104HalfEEEvPT_PKS5_lliiiiiii,"axG",@progbits,_ZN2at6native12_GLOBAL__N_140reflection_pad2d_backward_det_out_kernelIN3c104HalfEEEvPT_PKS5_lliiiiiii,comdat
.Lfunc_end19:
	.size	_ZN2at6native12_GLOBAL__N_140reflection_pad2d_backward_det_out_kernelIN3c104HalfEEEvPT_PKS5_lliiiiiii, .Lfunc_end19-_ZN2at6native12_GLOBAL__N_140reflection_pad2d_backward_det_out_kernelIN3c104HalfEEEvPT_PKS5_lliiiiiii
                                        ; -- End function
	.section	.AMDGPU.csdata,"",@progbits
; Kernel info:
; codeLenInByte = 7456
; NumSgprs: 65
; NumVgprs: 35
; ScratchSize: 0
; MemoryBound: 0
; FloatMode: 240
; IeeeMode: 1
; LDSByteSize: 0 bytes/workgroup (compile time only)
; SGPRBlocks: 8
; VGPRBlocks: 4
; NumSGPRsForWavesPerEU: 65
; NumVGPRsForWavesPerEU: 35
; Occupancy: 16
; WaveLimiterHint : 0
; COMPUTE_PGM_RSRC2:SCRATCH_EN: 0
; COMPUTE_PGM_RSRC2:USER_SGPR: 15
; COMPUTE_PGM_RSRC2:TRAP_HANDLER: 0
; COMPUTE_PGM_RSRC2:TGID_X_EN: 1
; COMPUTE_PGM_RSRC2:TGID_Y_EN: 0
; COMPUTE_PGM_RSRC2:TGID_Z_EN: 0
; COMPUTE_PGM_RSRC2:TIDIG_COMP_CNT: 0
	.section	.text._ZN2at6native12_GLOBAL__N_136reflection_pad2d_backward_out_kernelIN3c104HalfEEEvPT_PKS5_lliiiiiii,"axG",@progbits,_ZN2at6native12_GLOBAL__N_136reflection_pad2d_backward_out_kernelIN3c104HalfEEEvPT_PKS5_lliiiiiii,comdat
	.globl	_ZN2at6native12_GLOBAL__N_136reflection_pad2d_backward_out_kernelIN3c104HalfEEEvPT_PKS5_lliiiiiii ; -- Begin function _ZN2at6native12_GLOBAL__N_136reflection_pad2d_backward_out_kernelIN3c104HalfEEEvPT_PKS5_lliiiiiii
	.p2align	8
	.type	_ZN2at6native12_GLOBAL__N_136reflection_pad2d_backward_out_kernelIN3c104HalfEEEvPT_PKS5_lliiiiiii,@function
_ZN2at6native12_GLOBAL__N_136reflection_pad2d_backward_out_kernelIN3c104HalfEEEvPT_PKS5_lliiiiiii: ; @_ZN2at6native12_GLOBAL__N_136reflection_pad2d_backward_out_kernelIN3c104HalfEEEvPT_PKS5_lliiiiiii
; %bb.0:
	s_clause 0x2
	s_load_b32 s2, s[0:1], 0x4c
	s_load_b128 s[16:19], s[0:1], 0x20
	s_load_b256 s[4:11], s[0:1], 0x0
	s_waitcnt lgkmcnt(0)
	s_and_b32 s2, s2, 0xffff
	s_ashr_i32 s3, s18, 31
	s_add_u32 s27, s18, s8
	v_mad_u64_u32 v[1:2], null, s13, s2, v[0:1]
	s_addc_u32 s28, s3, s9
	s_ashr_i32 s2, s19, 31
	s_add_u32 s26, s27, s19
	s_addc_u32 s13, s28, s2
	s_ashr_i32 s21, s16, 31
	s_add_u32 s31, s16, s10
	;; [unrolled: 3-line block ×3, first 2 shown]
	s_addc_u32 s29, s33, s2
	s_mul_hi_u32 s2, s26, s30
	s_mul_i32 s12, s26, s29
	v_mov_b32_e32 v2, 0
	s_mul_i32 s17, s13, s30
	s_add_i32 s2, s2, s12
	s_mul_i32 s22, s26, s30
	s_add_i32 s23, s2, s17
	s_mov_b32 s12, exec_lo
	v_cmpx_gt_i64_e64 s[22:23], v[1:2]
	s_cbranch_execz .LBB20_10
; %bb.1:
	s_mov_b32 s2, s18
	s_mov_b32 s20, s16
	s_load_b128 s[16:19], s[0:1], 0x30
	s_mov_b32 s12, 0
	s_delay_alu instid0(SALU_CYCLE_1)
	s_cmp_lg_u64 s[12:13], 0
	s_cbranch_scc0 .LBB20_11
; %bb.2:
	s_ashr_i32 s22, s13, 31
	s_delay_alu instid0(SALU_CYCLE_1) | instskip(SKIP_2) | instid1(SALU_CYCLE_1)
	s_add_u32 s0, s26, s22
	s_mov_b32 s23, s22
	s_addc_u32 s1, s13, s22
	s_xor_b64 s[24:25], s[0:1], s[22:23]
	s_delay_alu instid0(SALU_CYCLE_1) | instskip(SKIP_3) | instid1(VALU_DEP_1)
	v_cvt_f32_u32_e32 v0, s24
	v_cvt_f32_u32_e32 v2, s25
	s_sub_u32 s0, 0, s24
	s_subb_u32 s1, 0, s25
	v_fmamk_f32 v0, v2, 0x4f800000, v0
	s_delay_alu instid0(VALU_DEP_1) | instskip(SKIP_2) | instid1(VALU_DEP_1)
	v_rcp_f32_e32 v0, v0
	s_waitcnt_depctr 0xfff
	v_mul_f32_e32 v0, 0x5f7ffffc, v0
	v_mul_f32_e32 v2, 0x2f800000, v0
	s_delay_alu instid0(VALU_DEP_1) | instskip(NEXT) | instid1(VALU_DEP_1)
	v_trunc_f32_e32 v2, v2
	v_fmamk_f32 v0, v2, 0xcf800000, v0
	v_cvt_u32_f32_e32 v2, v2
	s_delay_alu instid0(VALU_DEP_2) | instskip(NEXT) | instid1(VALU_DEP_2)
	v_cvt_u32_f32_e32 v0, v0
	v_mul_lo_u32 v3, s0, v2
	s_delay_alu instid0(VALU_DEP_2) | instskip(SKIP_1) | instid1(VALU_DEP_2)
	v_mul_hi_u32 v4, s0, v0
	v_mul_lo_u32 v5, s1, v0
	v_add_nc_u32_e32 v3, v4, v3
	v_mul_lo_u32 v4, s0, v0
	s_delay_alu instid0(VALU_DEP_2) | instskip(NEXT) | instid1(VALU_DEP_2)
	v_add_nc_u32_e32 v3, v3, v5
	v_mul_hi_u32 v5, v0, v4
	s_delay_alu instid0(VALU_DEP_2)
	v_mul_lo_u32 v6, v0, v3
	v_mul_hi_u32 v7, v0, v3
	v_mul_hi_u32 v8, v2, v4
	v_mul_lo_u32 v4, v2, v4
	v_mul_hi_u32 v9, v2, v3
	v_mul_lo_u32 v3, v2, v3
	v_add_co_u32 v5, vcc_lo, v5, v6
	v_add_co_ci_u32_e32 v6, vcc_lo, 0, v7, vcc_lo
	s_delay_alu instid0(VALU_DEP_2) | instskip(NEXT) | instid1(VALU_DEP_2)
	v_add_co_u32 v4, vcc_lo, v5, v4
	v_add_co_ci_u32_e32 v4, vcc_lo, v6, v8, vcc_lo
	v_add_co_ci_u32_e32 v5, vcc_lo, 0, v9, vcc_lo
	v_ashrrev_i32_e64 v8, 31, 0
	s_delay_alu instid0(VALU_DEP_3) | instskip(NEXT) | instid1(VALU_DEP_3)
	v_add_co_u32 v3, vcc_lo, v4, v3
	v_add_co_ci_u32_e32 v4, vcc_lo, 0, v5, vcc_lo
	s_delay_alu instid0(VALU_DEP_2) | instskip(NEXT) | instid1(VALU_DEP_2)
	v_add_co_u32 v0, vcc_lo, v0, v3
	v_add_co_ci_u32_e32 v2, vcc_lo, v2, v4, vcc_lo
	s_delay_alu instid0(VALU_DEP_2) | instskip(SKIP_1) | instid1(VALU_DEP_3)
	v_mul_hi_u32 v3, s0, v0
	v_mul_lo_u32 v5, s1, v0
	v_mul_lo_u32 v4, s0, v2
	s_delay_alu instid0(VALU_DEP_1) | instskip(SKIP_1) | instid1(VALU_DEP_2)
	v_add_nc_u32_e32 v3, v3, v4
	v_mul_lo_u32 v4, s0, v0
	v_add_nc_u32_e32 v3, v3, v5
	s_delay_alu instid0(VALU_DEP_2) | instskip(NEXT) | instid1(VALU_DEP_2)
	v_mul_hi_u32 v5, v0, v4
	v_mul_lo_u32 v6, v0, v3
	v_mul_hi_u32 v7, v0, v3
	v_mul_hi_u32 v9, v2, v4
	v_mul_lo_u32 v4, v2, v4
	v_mul_hi_u32 v10, v2, v3
	v_mul_lo_u32 v3, v2, v3
	v_add_co_u32 v5, vcc_lo, v5, v6
	v_add_co_ci_u32_e32 v6, vcc_lo, 0, v7, vcc_lo
	s_delay_alu instid0(VALU_DEP_2) | instskip(NEXT) | instid1(VALU_DEP_2)
	v_add_co_u32 v4, vcc_lo, v5, v4
	v_add_co_ci_u32_e32 v4, vcc_lo, v6, v9, vcc_lo
	v_add_co_ci_u32_e32 v5, vcc_lo, 0, v10, vcc_lo
	v_add_co_u32 v6, vcc_lo, v1, v8
	v_add_co_ci_u32_e32 v7, vcc_lo, 0, v8, vcc_lo
	s_delay_alu instid0(VALU_DEP_4) | instskip(NEXT) | instid1(VALU_DEP_4)
	v_add_co_u32 v3, vcc_lo, v4, v3
	v_add_co_ci_u32_e32 v4, vcc_lo, 0, v5, vcc_lo
	s_delay_alu instid0(VALU_DEP_4) | instskip(NEXT) | instid1(VALU_DEP_3)
	v_xor_b32_e32 v9, v6, v8
	v_add_co_u32 v0, vcc_lo, v0, v3
	s_delay_alu instid0(VALU_DEP_3) | instskip(SKIP_1) | instid1(VALU_DEP_3)
	v_add_co_ci_u32_e32 v10, vcc_lo, v2, v4, vcc_lo
	v_xor_b32_e32 v11, v7, v8
	v_mul_hi_u32 v12, v9, v0
	s_delay_alu instid0(VALU_DEP_3) | instskip(NEXT) | instid1(VALU_DEP_3)
	v_mad_u64_u32 v[2:3], null, v9, v10, 0
	v_mad_u64_u32 v[4:5], null, v11, v0, 0
	;; [unrolled: 1-line block ×3, first 2 shown]
	s_delay_alu instid0(VALU_DEP_3) | instskip(NEXT) | instid1(VALU_DEP_4)
	v_add_co_u32 v0, vcc_lo, v12, v2
	v_add_co_ci_u32_e32 v2, vcc_lo, 0, v3, vcc_lo
	s_delay_alu instid0(VALU_DEP_2) | instskip(NEXT) | instid1(VALU_DEP_2)
	v_add_co_u32 v0, vcc_lo, v0, v4
	v_add_co_ci_u32_e32 v0, vcc_lo, v2, v5, vcc_lo
	v_add_co_ci_u32_e32 v2, vcc_lo, 0, v7, vcc_lo
	s_delay_alu instid0(VALU_DEP_2) | instskip(NEXT) | instid1(VALU_DEP_2)
	v_add_co_u32 v0, vcc_lo, v0, v6
	v_add_co_ci_u32_e32 v4, vcc_lo, 0, v2, vcc_lo
	s_delay_alu instid0(VALU_DEP_2) | instskip(SKIP_1) | instid1(VALU_DEP_3)
	v_mul_lo_u32 v5, s25, v0
	v_mad_u64_u32 v[2:3], null, s24, v0, 0
	v_mul_lo_u32 v6, s24, v4
	s_delay_alu instid0(VALU_DEP_2) | instskip(NEXT) | instid1(VALU_DEP_2)
	v_sub_co_u32 v2, vcc_lo, v9, v2
	v_add3_u32 v3, v3, v6, v5
	s_delay_alu instid0(VALU_DEP_1) | instskip(NEXT) | instid1(VALU_DEP_1)
	v_sub_nc_u32_e32 v5, v11, v3
	v_subrev_co_ci_u32_e64 v5, s0, s25, v5, vcc_lo
	v_add_co_u32 v6, s0, v0, 2
	s_delay_alu instid0(VALU_DEP_1) | instskip(SKIP_3) | instid1(VALU_DEP_3)
	v_add_co_ci_u32_e64 v7, s0, 0, v4, s0
	v_sub_co_u32 v9, s0, v2, s24
	v_sub_co_ci_u32_e32 v3, vcc_lo, v11, v3, vcc_lo
	v_subrev_co_ci_u32_e64 v5, s0, 0, v5, s0
	v_cmp_le_u32_e32 vcc_lo, s24, v9
	s_delay_alu instid0(VALU_DEP_3) | instskip(SKIP_1) | instid1(VALU_DEP_4)
	v_cmp_eq_u32_e64 s0, s25, v3
	v_cndmask_b32_e64 v9, 0, -1, vcc_lo
	v_cmp_le_u32_e32 vcc_lo, s25, v5
	v_cndmask_b32_e64 v10, 0, -1, vcc_lo
	v_cmp_le_u32_e32 vcc_lo, s24, v2
	;; [unrolled: 2-line block ×3, first 2 shown]
	v_cndmask_b32_e64 v11, 0, -1, vcc_lo
	v_cmp_eq_u32_e32 vcc_lo, s25, v5
	s_delay_alu instid0(VALU_DEP_2) | instskip(SKIP_3) | instid1(VALU_DEP_3)
	v_cndmask_b32_e64 v2, v11, v2, s0
	v_cndmask_b32_e32 v5, v10, v9, vcc_lo
	v_add_co_u32 v9, vcc_lo, v0, 1
	v_add_co_ci_u32_e32 v10, vcc_lo, 0, v4, vcc_lo
	v_cmp_ne_u32_e32 vcc_lo, 0, v5
	s_delay_alu instid0(VALU_DEP_3) | instskip(NEXT) | instid1(VALU_DEP_3)
	v_cndmask_b32_e32 v5, v9, v6, vcc_lo
	v_cndmask_b32_e32 v3, v10, v7, vcc_lo
	v_cmp_ne_u32_e32 vcc_lo, 0, v2
	v_xor_b32_e32 v6, s22, v8
	s_delay_alu instid0(VALU_DEP_4) | instskip(NEXT) | instid1(VALU_DEP_4)
	v_cndmask_b32_e32 v0, v0, v5, vcc_lo
	v_cndmask_b32_e32 v2, v4, v3, vcc_lo
	s_delay_alu instid0(VALU_DEP_2) | instskip(NEXT) | instid1(VALU_DEP_2)
	v_xor_b32_e32 v0, v0, v6
	v_xor_b32_e32 v3, v2, v6
	s_delay_alu instid0(VALU_DEP_2) | instskip(NEXT) | instid1(VALU_DEP_2)
	v_sub_co_u32 v2, vcc_lo, v0, v6
	v_sub_co_ci_u32_e32 v3, vcc_lo, v3, v6, vcc_lo
	s_and_not1_b32 vcc_lo, exec_lo, s12
	s_cbranch_vccnz .LBB20_4
.LBB20_3:
	v_cvt_f32_u32_e32 v0, s26
	s_sub_i32 s0, 0, s26
	s_delay_alu instid0(VALU_DEP_1) | instskip(SKIP_2) | instid1(VALU_DEP_1)
	v_rcp_iflag_f32_e32 v0, v0
	s_waitcnt_depctr 0xfff
	v_mul_f32_e32 v0, 0x4f7ffffe, v0
	v_cvt_u32_f32_e32 v0, v0
	s_delay_alu instid0(VALU_DEP_1) | instskip(NEXT) | instid1(VALU_DEP_1)
	v_mul_lo_u32 v2, s0, v0
	v_mul_hi_u32 v2, v0, v2
	s_delay_alu instid0(VALU_DEP_1) | instskip(NEXT) | instid1(VALU_DEP_1)
	v_add_nc_u32_e32 v0, v0, v2
	v_mul_hi_u32 v0, v1, v0
	s_delay_alu instid0(VALU_DEP_1) | instskip(SKIP_1) | instid1(VALU_DEP_2)
	v_mul_lo_u32 v2, v0, s26
	v_add_nc_u32_e32 v3, 1, v0
	v_sub_nc_u32_e32 v2, v1, v2
	s_delay_alu instid0(VALU_DEP_1) | instskip(SKIP_1) | instid1(VALU_DEP_2)
	v_subrev_nc_u32_e32 v4, s26, v2
	v_cmp_le_u32_e32 vcc_lo, s26, v2
	v_cndmask_b32_e32 v2, v2, v4, vcc_lo
	v_cndmask_b32_e32 v0, v0, v3, vcc_lo
	s_delay_alu instid0(VALU_DEP_2) | instskip(NEXT) | instid1(VALU_DEP_2)
	v_cmp_le_u32_e32 vcc_lo, s26, v2
	v_add_nc_u32_e32 v3, 1, v0
	s_delay_alu instid0(VALU_DEP_1)
	v_dual_cndmask_b32 v2, v0, v3 :: v_dual_mov_b32 v3, 0
.LBB20_4:
	s_delay_alu instid0(VALU_DEP_1) | instskip(NEXT) | instid1(VALU_DEP_2)
	v_mul_lo_u32 v0, v3, s26
	v_mul_lo_u32 v6, v2, s13
	v_mad_u64_u32 v[4:5], null, v2, s26, 0
	s_sub_u32 s0, 0, s20
	s_subb_u32 s1, 0, s21
	s_sub_u32 s22, 0, s2
	s_subb_u32 s23, 0, s3
	s_waitcnt lgkmcnt(0)
	s_add_i32 s12, s15, s17
	s_add_i32 s14, s14, s16
	v_add3_u32 v5, v5, v6, v0
	v_sub_co_u32 v0, vcc_lo, v1, v4
	s_mul_i32 s12, s12, s18
	s_delay_alu instid0(VALU_DEP_2) | instskip(NEXT) | instid1(VALU_DEP_2)
	v_sub_co_ci_u32_e32 v1, vcc_lo, 0, v5, vcc_lo
	v_sub_co_u32 v4, vcc_lo, v0, s2
	s_add_i32 s12, s14, s12
	s_delay_alu instid0(VALU_DEP_2) | instskip(SKIP_2) | instid1(VALU_DEP_3)
	v_subrev_co_ci_u32_e32 v5, vcc_lo, s3, v1, vcc_lo
	v_sub_co_u32 v6, vcc_lo, v0, s27
	v_subrev_co_ci_u32_e32 v7, vcc_lo, s28, v1, vcc_lo
	v_ashrrev_i32_e32 v10, 31, v5
	s_delay_alu instid0(VALU_DEP_3) | instskip(NEXT) | instid1(VALU_DEP_3)
	v_add_co_u32 v6, vcc_lo, v6, 1
	v_add_co_ci_u32_e32 v7, vcc_lo, 0, v7, vcc_lo
	v_sub_co_u32 v8, vcc_lo, v2, s31
	v_subrev_co_ci_u32_e32 v9, vcc_lo, s33, v3, vcc_lo
	v_sub_co_u32 v11, vcc_lo, v2, s20
	v_subrev_co_ci_u32_e32 v12, vcc_lo, s21, v3, vcc_lo
	s_mul_i32 s11, s12, s11
	s_mul_hi_u32 s14, s12, s10
	v_add_co_u32 v8, vcc_lo, v8, 1
	s_mul_i32 s15, s12, s10
	v_cmp_gt_i64_e64 s10, s[22:23], 0
	s_add_i32 s14, s14, s11
	v_cmp_gt_i64_e64 s11, s[0:1], 0
	v_add_co_ci_u32_e32 v9, vcc_lo, 0, v9, vcc_lo
	v_xor_b32_e32 v14, v5, v10
	v_ashrrev_i32_e32 v5, 31, v12
	s_and_b32 s10, s10, exec_lo
	v_xor_b32_e32 v15, v4, v10
	v_ashrrev_i32_e32 v4, 31, v9
	s_cselect_b32 s16, s23, 0
	v_cmp_gt_i64_e64 s10, s[2:3], 0
	s_cselect_b32 s17, s22, 0
	s_and_b32 s11, s11, exec_lo
	v_cmp_gt_i64_e64 s11, s[20:21], 0
	v_xor_b32_e32 v11, v11, v5
	v_xor_b32_e32 v12, v12, v5
	;; [unrolled: 1-line block ×3, first 2 shown]
	s_cselect_b32 s18, s1, 0
	s_cselect_b32 s19, s0, 0
	s_and_b32 s0, s10, exec_lo
	v_xor_b32_e32 v9, v9, v4
	v_sub_co_u32 v11, vcc_lo, v11, v5
	s_cselect_b32 s1, s3, 0
	s_cselect_b32 s0, s2, 0
	s_and_b32 s10, s11, exec_lo
	s_cselect_b32 s11, s21, 0
	s_cselect_b32 s10, s20, 0
	v_sub_co_ci_u32_e32 v5, vcc_lo, v12, v5, vcc_lo
	v_sub_co_u32 v8, vcc_lo, v8, v4
	s_not_b64 s[0:1], s[0:1]
	s_not_b64 s[10:11], s[10:11]
	v_sub_co_ci_u32_e32 v4, vcc_lo, v9, v4, vcc_lo
	s_add_u32 s20, s31, s20
	s_addc_u32 s21, s33, s21
	s_add_u32 s10, s20, s10
	s_addc_u32 s11, s21, s11
	v_add_co_u32 v8, vcc_lo, v2, v8
	s_add_u32 s10, s10, s19
	s_addc_u32 s11, s11, s18
	v_add_co_ci_u32_e32 v4, vcc_lo, v3, v4, vcc_lo
	s_add_u32 s10, s10, s15
	s_addc_u32 s11, s11, s14
	v_sub_co_u32 v8, vcc_lo, s10, v8
	v_ashrrev_i32_e32 v13, 31, v7
	v_sub_co_ci_u32_e32 v4, vcc_lo, s11, v4, vcc_lo
	s_delay_alu instid0(VALU_DEP_3) | instskip(NEXT) | instid1(VALU_DEP_3)
	v_add_co_u32 v8, vcc_lo, v8, v11
	v_xor_b32_e32 v6, v6, v13
	s_delay_alu instid0(VALU_DEP_3) | instskip(SKIP_2) | instid1(VALU_DEP_4)
	v_add_co_ci_u32_e32 v9, vcc_lo, v4, v5, vcc_lo
	v_mad_u64_u32 v[4:5], null, s30, s12, v[2:3]
	v_xor_b32_e32 v7, v7, v13
	v_sub_co_u32 v11, vcc_lo, v6, v13
	s_add_u32 s2, s27, s2
	s_addc_u32 s3, s28, s3
	s_delay_alu instid0(VALU_DEP_2) | instskip(NEXT) | instid1(VALU_DEP_4)
	v_sub_co_ci_u32_e32 v12, vcc_lo, v7, v13, vcc_lo
	v_mad_u64_u32 v[6:7], null, s29, s12, v[5:6]
	v_add_co_u32 v5, vcc_lo, v0, v11
	s_add_u32 s0, s2, s0
	v_mul_lo_u32 v16, v8, s9
	v_mad_u64_u32 v[2:3], null, v8, s8, 0
	s_addc_u32 s1, s3, s1
	v_add_co_ci_u32_e32 v8, vcc_lo, v1, v12, vcc_lo
	s_add_u32 s0, s0, s17
	s_addc_u32 s1, s1, s16
	v_sub_co_u32 v7, vcc_lo, s0, v5
	s_delay_alu instid0(VALU_DEP_2)
	v_sub_co_ci_u32_e32 v8, vcc_lo, s1, v8, vcc_lo
	v_mul_lo_u32 v11, v6, s26
	v_mul_lo_u32 v12, v4, s13
	v_mad_u64_u32 v[5:6], null, v4, s26, 0
	v_mul_lo_u32 v13, v9, s8
	v_sub_co_u32 v9, vcc_lo, v15, v10
	v_sub_co_ci_u32_e32 v10, vcc_lo, v14, v10, vcc_lo
	v_lshlrev_b64 v[7:8], 1, v[7:8]
	v_add3_u32 v6, v6, v12, v11
	s_mov_b32 s2, 0
	s_delay_alu instid0(VALU_DEP_3) | instskip(SKIP_1) | instid1(VALU_DEP_4)
	v_lshlrev_b64 v[9:10], 1, v[9:10]
	v_add3_u32 v3, v3, v16, v13
	v_add_co_u32 v7, vcc_lo, s4, v7
	v_add_co_ci_u32_e32 v8, vcc_lo, s5, v8, vcc_lo
	v_lshlrev_b64 v[4:5], 1, v[5:6]
	s_delay_alu instid0(VALU_DEP_3) | instskip(NEXT) | instid1(VALU_DEP_3)
	v_add_co_u32 v6, vcc_lo, v7, v9
	v_add_co_ci_u32_e32 v7, vcc_lo, v8, v10, vcc_lo
	v_lshlrev_b64 v[2:3], 1, v[2:3]
	s_delay_alu instid0(VALU_DEP_4) | instskip(SKIP_2) | instid1(VALU_DEP_4)
	v_add_co_u32 v8, vcc_lo, s6, v4
	v_add_co_ci_u32_e32 v9, vcc_lo, s7, v5, vcc_lo
	v_lshlrev_b64 v[4:5], 1, v[0:1]
	v_add_co_u32 v6, vcc_lo, v6, v2
	v_add_co_ci_u32_e32 v1, vcc_lo, v7, v3, vcc_lo
	s_delay_alu instid0(VALU_DEP_3) | instskip(NEXT) | instid1(VALU_DEP_4)
	v_add_co_u32 v2, vcc_lo, v8, v4
	v_add_co_ci_u32_e32 v3, vcc_lo, v9, v5, vcc_lo
	s_delay_alu instid0(VALU_DEP_4) | instskip(SKIP_3) | instid1(VALU_DEP_1)
	v_and_b32_e32 v0, -3, v6
	global_load_u16 v4, v[2:3], off
	global_load_b32 v3, v[0:1], off
	v_dual_mov_b32 v6, 0 :: v_dual_and_b32 v5, 2, v6
	v_cmp_ne_u32_e64 s0, 0, v5
	s_delay_alu instid0(VALU_DEP_2)
	v_cmp_eq_u64_e32 vcc_lo, 0, v[5:6]
	s_set_inst_prefetch_distance 0x1
	s_branch .LBB20_6
	.p2align	6
.LBB20_5:                               ;   in Loop: Header=BB20_6 Depth=1
	s_or_b32 exec_lo, exec_lo, s1
	global_atomic_cmpswap_b32 v2, v[0:1], v[2:3], off glc
	s_waitcnt vmcnt(0)
	v_cmp_eq_u32_e64 s1, v3, v2
	v_mov_b32_e32 v3, v2
	s_delay_alu instid0(VALU_DEP_2) | instskip(NEXT) | instid1(SALU_CYCLE_1)
	s_or_b32 s2, s1, s2
	s_and_not1_b32 exec_lo, exec_lo, s2
	s_cbranch_execz .LBB20_10
.LBB20_6:                               ; =>This Inner Loop Header: Depth=1
	s_waitcnt vmcnt(0)
	v_lshrrev_b32_e32 v2, 16, v3
	s_delay_alu instid0(VALU_DEP_1) | instskip(NEXT) | instid1(VALU_DEP_1)
	v_cndmask_b32_e32 v2, v2, v3, vcc_lo
	v_add_f16_e32 v2, v4, v2
	s_delay_alu instid0(VALU_DEP_1) | instskip(SKIP_1) | instid1(SALU_CYCLE_1)
	v_and_b32_e32 v5, 0xffff, v2
	s_and_saveexec_b32 s1, s0
	s_xor_b32 s1, exec_lo, s1
; %bb.7:                                ;   in Loop: Header=BB20_6 Depth=1
	v_and_b32_e32 v2, 0xffff, v3
	s_delay_alu instid0(VALU_DEP_1)
	v_lshl_or_b32 v2, v5, 16, v2
                                        ; implicit-def: $vgpr5
; %bb.8:                                ;   in Loop: Header=BB20_6 Depth=1
	s_and_not1_saveexec_b32 s1, s1
	s_cbranch_execz .LBB20_5
; %bb.9:                                ;   in Loop: Header=BB20_6 Depth=1
	v_and_or_b32 v2, 0xffff0000, v3, v5
	s_branch .LBB20_5
.LBB20_10:
	s_set_inst_prefetch_distance 0x2
	s_endpgm
.LBB20_11:
                                        ; implicit-def: $vgpr2_vgpr3
	s_branch .LBB20_3
	.section	.rodata,"a",@progbits
	.p2align	6, 0x0
	.amdhsa_kernel _ZN2at6native12_GLOBAL__N_136reflection_pad2d_backward_out_kernelIN3c104HalfEEEvPT_PKS5_lliiiiiii
		.amdhsa_group_segment_fixed_size 0
		.amdhsa_private_segment_fixed_size 0
		.amdhsa_kernarg_size 320
		.amdhsa_user_sgpr_count 13
		.amdhsa_user_sgpr_dispatch_ptr 0
		.amdhsa_user_sgpr_queue_ptr 0
		.amdhsa_user_sgpr_kernarg_segment_ptr 1
		.amdhsa_user_sgpr_dispatch_id 0
		.amdhsa_user_sgpr_private_segment_size 0
		.amdhsa_wavefront_size32 1
		.amdhsa_uses_dynamic_stack 0
		.amdhsa_enable_private_segment 0
		.amdhsa_system_sgpr_workgroup_id_x 1
		.amdhsa_system_sgpr_workgroup_id_y 1
		.amdhsa_system_sgpr_workgroup_id_z 1
		.amdhsa_system_sgpr_workgroup_info 0
		.amdhsa_system_vgpr_workitem_id 0
		.amdhsa_next_free_vgpr 17
		.amdhsa_next_free_sgpr 34
		.amdhsa_reserve_vcc 1
		.amdhsa_float_round_mode_32 0
		.amdhsa_float_round_mode_16_64 0
		.amdhsa_float_denorm_mode_32 3
		.amdhsa_float_denorm_mode_16_64 3
		.amdhsa_dx10_clamp 1
		.amdhsa_ieee_mode 1
		.amdhsa_fp16_overflow 0
		.amdhsa_workgroup_processor_mode 1
		.amdhsa_memory_ordered 1
		.amdhsa_forward_progress 0
		.amdhsa_shared_vgpr_count 0
		.amdhsa_exception_fp_ieee_invalid_op 0
		.amdhsa_exception_fp_denorm_src 0
		.amdhsa_exception_fp_ieee_div_zero 0
		.amdhsa_exception_fp_ieee_overflow 0
		.amdhsa_exception_fp_ieee_underflow 0
		.amdhsa_exception_fp_ieee_inexact 0
		.amdhsa_exception_int_div_zero 0
	.end_amdhsa_kernel
	.section	.text._ZN2at6native12_GLOBAL__N_136reflection_pad2d_backward_out_kernelIN3c104HalfEEEvPT_PKS5_lliiiiiii,"axG",@progbits,_ZN2at6native12_GLOBAL__N_136reflection_pad2d_backward_out_kernelIN3c104HalfEEEvPT_PKS5_lliiiiiii,comdat
.Lfunc_end20:
	.size	_ZN2at6native12_GLOBAL__N_136reflection_pad2d_backward_out_kernelIN3c104HalfEEEvPT_PKS5_lliiiiiii, .Lfunc_end20-_ZN2at6native12_GLOBAL__N_136reflection_pad2d_backward_out_kernelIN3c104HalfEEEvPT_PKS5_lliiiiiii
                                        ; -- End function
	.section	.AMDGPU.csdata,"",@progbits
; Kernel info:
; codeLenInByte = 2040
; NumSgprs: 36
; NumVgprs: 17
; ScratchSize: 0
; MemoryBound: 0
; FloatMode: 240
; IeeeMode: 1
; LDSByteSize: 0 bytes/workgroup (compile time only)
; SGPRBlocks: 4
; VGPRBlocks: 2
; NumSGPRsForWavesPerEU: 36
; NumVGPRsForWavesPerEU: 17
; Occupancy: 16
; WaveLimiterHint : 0
; COMPUTE_PGM_RSRC2:SCRATCH_EN: 0
; COMPUTE_PGM_RSRC2:USER_SGPR: 13
; COMPUTE_PGM_RSRC2:TRAP_HANDLER: 0
; COMPUTE_PGM_RSRC2:TGID_X_EN: 1
; COMPUTE_PGM_RSRC2:TGID_Y_EN: 1
; COMPUTE_PGM_RSRC2:TGID_Z_EN: 1
; COMPUTE_PGM_RSRC2:TIDIG_COMP_CNT: 0
	.section	.text._ZN2at6native12_GLOBAL__N_140reflection_pad2d_backward_det_out_kernelIN3c108BFloat16EEEvPT_PKS5_lliiiiiii,"axG",@progbits,_ZN2at6native12_GLOBAL__N_140reflection_pad2d_backward_det_out_kernelIN3c108BFloat16EEEvPT_PKS5_lliiiiiii,comdat
	.globl	_ZN2at6native12_GLOBAL__N_140reflection_pad2d_backward_det_out_kernelIN3c108BFloat16EEEvPT_PKS5_lliiiiiii ; -- Begin function _ZN2at6native12_GLOBAL__N_140reflection_pad2d_backward_det_out_kernelIN3c108BFloat16EEEvPT_PKS5_lliiiiiii
	.p2align	8
	.type	_ZN2at6native12_GLOBAL__N_140reflection_pad2d_backward_det_out_kernelIN3c108BFloat16EEEvPT_PKS5_lliiiiiii,@function
_ZN2at6native12_GLOBAL__N_140reflection_pad2d_backward_det_out_kernelIN3c108BFloat16EEEvPT_PKS5_lliiiiiii: ; @_ZN2at6native12_GLOBAL__N_140reflection_pad2d_backward_det_out_kernelIN3c108BFloat16EEEvPT_PKS5_lliiiiiii
; %bb.0:
	s_clause 0x2
	s_load_b32 s6, s[0:1], 0x4c
	s_load_b64 s[2:3], s[0:1], 0x30
	s_load_b256 s[16:23], s[0:1], 0x0
	v_mov_b32_e32 v1, 0
	s_add_u32 s4, s0, 64
	s_addc_u32 s5, s1, 0
	s_waitcnt lgkmcnt(0)
	s_and_b32 s34, s6, 0xffff
	s_ashr_i32 s6, s2, 31
	s_mul_i32 s8, s22, s21
	s_mul_hi_u32 s9, s22, s20
	s_mul_i32 s10, s23, s20
	s_mul_i32 s33, s22, s20
	s_add_i32 s42, s9, s8
	s_mul_i32 s6, s33, s6
	s_mul_hi_u32 s8, s33, s2
	s_add_i32 s42, s42, s10
	s_ashr_i32 s7, s3, 31
	v_mad_u64_u32 v[3:4], null, s15, s34, v[0:1]
	s_mul_i32 s11, s33, s2
	s_add_i32 s6, s8, s6
	s_mul_i32 s2, s42, s2
	s_mul_i32 s8, s11, s7
	s_mul_hi_u32 s9, s11, s3
	s_add_i32 s2, s6, s2
	v_mov_b32_e32 v4, v1
	s_add_i32 s6, s9, s8
	s_mul_i32 s2, s2, s3
	s_mul_i32 s8, s11, s3
	s_add_i32 s9, s6, s2
	s_mov_b32 s2, exec_lo
	v_cmpx_gt_i64_e64 s[8:9], v[3:4]
	s_cbranch_execz .LBB21_53
; %bb.1:
	s_mov_b32 s6, s3
	s_load_b128 s[0:3], s[0:1], 0x20
	s_load_b32 s36, s[4:5], 0x0
	s_mul_i32 s14, s33, s7
	s_mul_hi_u32 s15, s33, s6
	s_mul_i32 s24, s42, s6
	s_mul_i32 s43, s33, s6
	v_lshlrev_b64 v[7:8], 1, v[3:4]
	v_cvt_f32_u32_e32 v0, s43
	s_mov_b32 s61, 0
	s_delay_alu instid0(VALU_DEP_1)
	v_rcp_iflag_f32_e32 v0, v0
	s_waitcnt lgkmcnt(0)
	s_ashr_i32 s11, s2, 31
	s_add_u32 s37, s2, s20
	s_addc_u32 s38, s11, s21
	s_ashr_i32 s5, s3, 31
	s_add_u32 s44, s37, s3
	s_addc_u32 s45, s38, s5
	s_ashr_i32 s13, s0, 31
	s_mov_b32 s4, s3
	s_add_u32 s3, s0, s22
	s_addc_u32 s25, s13, s23
	s_ashr_i32 s27, s1, 31
	s_mov_b32 s26, s1
	s_add_u32 s1, s3, s1
	s_addc_u32 s3, s25, s27
	s_add_i32 s15, s15, s14
	s_mul_hi_u32 s25, s44, s1
	s_mul_i32 s28, s45, s1
	s_mul_i32 s14, s44, s1
	;; [unrolled: 1-line block ×3, first 2 shown]
	s_add_i32 s46, s15, s24
	s_add_i32 s1, s25, s1
	s_mul_i32 s3, s14, s7
	s_add_i32 s15, s1, s28
	s_add_u32 s24, s22, -1
	s_addc_u32 s25, s23, -1
	s_not_b64 s[26:27], s[26:27]
	s_mul_hi_u32 s1, s14, s6
	s_add_u32 s26, s26, s22
	s_addc_u32 s27, s27, s23
	s_add_u32 s28, s20, -1
	s_addc_u32 s29, s21, -1
	s_not_b64 s[4:5], s[4:5]
	s_mul_i32 s39, s15, s6
	s_add_u32 s30, s4, s20
	s_addc_u32 s31, s5, s21
	s_add_i32 s1, s1, s3
	s_mov_b32 s12, s0
	s_add_i32 s47, s1, s39
	s_add_u32 s1, s20, s37
	s_addc_u32 s3, s21, s38
	s_add_u32 s48, s1, -2
	s_addc_u32 s49, s3, -1
	s_lshl_b64 s[4:5], s[24:25], 1
	s_waitcnt_depctr 0xfff
	v_mul_f32_e32 v0, 0x4f7ffffe, v0
	s_add_u32 s50, s4, s0
	s_addc_u32 s51, s5, s13
	s_lshl_b64 s[0:1], s[28:29], 1
	s_mov_b32 s10, s2
	s_add_u32 s53, s0, s2
	s_addc_u32 s54, s1, s11
	v_sub_co_u32 v5, s0, 0, v3
	s_sub_u32 s55, 0, s22
	s_subb_u32 s56, 0, s23
	v_sub_co_ci_u32_e64 v6, null, 0, 0, s0
	s_lshl_b64 s[0:1], s[10:11], 1
	s_mul_hi_u32 s35, s34, s36
	s_mul_i32 s34, s34, s36
	s_lshl_b64 s[36:37], s[6:7], 1
	s_lshl_b64 s[38:39], s[20:21], 1
	s_add_u32 s57, s18, s0
	v_cvt_u32_f32_e32 v0, v0
	s_addc_u32 s58, s19, s1
	s_lshl_b64 s[40:41], s[34:35], 1
	s_sub_u32 s59, 0, s33
	s_mul_i32 s52, s14, s6
	s_subb_u32 s60, 0, s42
	s_branch .LBB21_4
.LBB21_2:                               ;   in Loop: Header=BB21_4 Depth=1
	s_or_b32 exec_lo, exec_lo, s0
.LBB21_3:                               ;   in Loop: Header=BB21_4 Depth=1
	s_delay_alu instid0(SALU_CYCLE_1)
	s_or_b32 exec_lo, exec_lo, s1
	v_lshlrev_b64 v[11:12], 1, v[13:14]
	v_mul_lo_u32 v10, s36, v10
	v_mul_lo_u32 v17, s37, v9
	;; [unrolled: 1-line block ×4, first 2 shown]
	v_mad_u64_u32 v[13:14], null, s38, v2, 0
	v_mad_u64_u32 v[15:16], null, s36, v9, v[11:12]
	v_lshlrev_b64 v[11:12], 1, v[19:20]
	s_delay_alu instid0(VALU_DEP_3) | instskip(NEXT) | instid1(VALU_DEP_3)
	v_add3_u32 v14, v14, v21, v18
	v_add3_u32 v2, v17, v16, v10
	s_delay_alu instid0(VALU_DEP_2) | instskip(SKIP_1) | instid1(VALU_DEP_3)
	v_mad_u64_u32 v[9:10], null, s14, v15, v[13:14]
	v_mul_lo_u32 v13, s15, v15
	v_mul_lo_u32 v2, s14, v2
	s_delay_alu instid0(VALU_DEP_3) | instskip(NEXT) | instid1(VALU_DEP_2)
	v_add_co_u32 v9, vcc_lo, v9, v11
	v_add3_u32 v2, v13, v10, v2
	s_delay_alu instid0(VALU_DEP_1) | instskip(NEXT) | instid1(VALU_DEP_3)
	v_add_co_ci_u32_e32 v2, vcc_lo, v2, v12, vcc_lo
	v_add_co_u32 v9, vcc_lo, v7, v9
	v_lshlrev_b32_e32 v12, 16, v24
	s_delay_alu instid0(VALU_DEP_3) | instskip(NEXT) | instid1(VALU_DEP_3)
	v_add_co_ci_u32_e32 v2, vcc_lo, v8, v2, vcc_lo
	v_add_co_u32 v9, vcc_lo, s57, v9
	s_delay_alu instid0(VALU_DEP_2)
	v_add_co_ci_u32_e32 v10, vcc_lo, s58, v2, vcc_lo
	global_load_u16 v2, v[9:10], off
	v_add_co_u32 v9, vcc_lo, s16, v7
	v_add_co_ci_u32_e32 v10, vcc_lo, s17, v8, vcc_lo
	global_load_u16 v11, v[9:10], off
	s_waitcnt vmcnt(1)
	v_lshlrev_b32_e32 v2, 16, v2
	s_waitcnt vmcnt(0)
	s_delay_alu instid0(VALU_DEP_1) | instskip(NEXT) | instid1(VALU_DEP_1)
	v_dual_add_f32 v2, v12, v2 :: v_dual_lshlrev_b32 v11, 16, v11
	v_bfe_u32 v12, v2, 16, 1
	v_cmp_o_f32_e32 vcc_lo, v2, v2
	s_delay_alu instid0(VALU_DEP_2) | instskip(NEXT) | instid1(VALU_DEP_1)
	v_add3_u32 v12, v2, v12, 0x7fff
	v_and_b32_e32 v12, 0xffff0000, v12
	s_delay_alu instid0(VALU_DEP_1) | instskip(SKIP_2) | instid1(VALU_DEP_3)
	v_cndmask_b32_e32 v2, 0x7fc00000, v12, vcc_lo
	v_add_co_u32 v3, vcc_lo, v3, s34
	v_add_co_ci_u32_e32 v4, vcc_lo, s35, v4, vcc_lo
	v_add_f32_e32 v2, v2, v11
	v_sub_co_u32 v5, vcc_lo, v5, s34
	v_subrev_co_ci_u32_e32 v6, vcc_lo, s35, v6, vcc_lo
	s_delay_alu instid0(VALU_DEP_3) | instskip(SKIP_2) | instid1(VALU_DEP_3)
	v_bfe_u32 v11, v2, 16, 1
	v_cmp_o_f32_e64 s0, v2, v2
	v_cmp_le_i64_e32 vcc_lo, s[8:9], v[3:4]
	v_add3_u32 v11, v2, v11, 0x7fff
	s_or_b32 s61, vcc_lo, s61
	s_delay_alu instid0(VALU_DEP_1) | instskip(NEXT) | instid1(VALU_DEP_1)
	v_lshrrev_b32_e32 v11, 16, v11
	v_cndmask_b32_e64 v2, 0x7fc0, v11, s0
	v_add_co_u32 v7, s0, v7, s40
	s_delay_alu instid0(VALU_DEP_1)
	v_add_co_ci_u32_e64 v8, s0, s41, v8, s0
	global_store_b16 v[9:10], v2, off
	s_and_not1_b32 exec_lo, exec_lo, s61
	s_cbranch_execz .LBB21_53
.LBB21_4:                               ; =>This Inner Loop Header: Depth=1
	v_or_b32_e32 v2, s46, v4
	v_ashrrev_i32_e32 v13, 31, v4
                                        ; implicit-def: $vgpr9_vgpr10
	s_mov_b32 s0, exec_lo
	s_delay_alu instid0(VALU_DEP_2)
	v_cmpx_ne_u64_e32 0, v[1:2]
	s_xor_b32 s1, exec_lo, s0
	s_cbranch_execz .LBB21_6
; %bb.5:                                ;   in Loop: Header=BB21_4 Depth=1
	s_ashr_i32 s2, s46, 31
	s_delay_alu instid0(SALU_CYCLE_1) | instskip(SKIP_2) | instid1(SALU_CYCLE_1)
	s_add_u32 s4, s43, s2
	s_mov_b32 s3, s2
	s_addc_u32 s5, s46, s2
	s_xor_b64 s[4:5], s[4:5], s[2:3]
	s_delay_alu instid0(SALU_CYCLE_1) | instskip(SKIP_3) | instid1(VALU_DEP_1)
	v_cvt_f32_u32_e32 v2, s4
	v_cvt_f32_u32_e32 v9, s5
	s_sub_u32 s0, 0, s4
	s_subb_u32 s3, 0, s5
	v_fmac_f32_e32 v2, 0x4f800000, v9
	s_delay_alu instid0(VALU_DEP_1) | instskip(SKIP_2) | instid1(VALU_DEP_1)
	v_rcp_f32_e32 v2, v2
	s_waitcnt_depctr 0xfff
	v_mul_f32_e32 v2, 0x5f7ffffc, v2
	v_mul_f32_e32 v9, 0x2f800000, v2
	s_delay_alu instid0(VALU_DEP_1) | instskip(NEXT) | instid1(VALU_DEP_1)
	v_trunc_f32_e32 v9, v9
	v_fmac_f32_e32 v2, 0xcf800000, v9
	v_cvt_u32_f32_e32 v9, v9
	s_delay_alu instid0(VALU_DEP_2) | instskip(NEXT) | instid1(VALU_DEP_2)
	v_cvt_u32_f32_e32 v2, v2
	v_mul_lo_u32 v10, s0, v9
	s_delay_alu instid0(VALU_DEP_2) | instskip(SKIP_1) | instid1(VALU_DEP_2)
	v_mul_hi_u32 v11, s0, v2
	v_mul_lo_u32 v12, s3, v2
	v_add_nc_u32_e32 v10, v11, v10
	v_mul_lo_u32 v11, s0, v2
	s_delay_alu instid0(VALU_DEP_2) | instskip(NEXT) | instid1(VALU_DEP_2)
	v_add_nc_u32_e32 v10, v10, v12
	v_mul_hi_u32 v12, v2, v11
	s_delay_alu instid0(VALU_DEP_2)
	v_mul_lo_u32 v14, v2, v10
	v_mul_hi_u32 v15, v2, v10
	v_mul_hi_u32 v16, v9, v11
	v_mul_lo_u32 v11, v9, v11
	v_mul_hi_u32 v17, v9, v10
	v_mul_lo_u32 v10, v9, v10
	v_add_co_u32 v12, vcc_lo, v12, v14
	v_add_co_ci_u32_e32 v14, vcc_lo, 0, v15, vcc_lo
	s_delay_alu instid0(VALU_DEP_2) | instskip(NEXT) | instid1(VALU_DEP_2)
	v_add_co_u32 v11, vcc_lo, v12, v11
	v_add_co_ci_u32_e32 v11, vcc_lo, v14, v16, vcc_lo
	v_add_co_ci_u32_e32 v12, vcc_lo, 0, v17, vcc_lo
	s_delay_alu instid0(VALU_DEP_2) | instskip(NEXT) | instid1(VALU_DEP_2)
	v_add_co_u32 v10, vcc_lo, v11, v10
	v_add_co_ci_u32_e32 v11, vcc_lo, 0, v12, vcc_lo
	s_delay_alu instid0(VALU_DEP_2) | instskip(NEXT) | instid1(VALU_DEP_2)
	v_add_co_u32 v2, vcc_lo, v2, v10
	v_add_co_ci_u32_e32 v9, vcc_lo, v9, v11, vcc_lo
	s_delay_alu instid0(VALU_DEP_2) | instskip(SKIP_1) | instid1(VALU_DEP_3)
	v_mul_hi_u32 v10, s0, v2
	v_mul_lo_u32 v12, s3, v2
	v_mul_lo_u32 v11, s0, v9
	s_delay_alu instid0(VALU_DEP_1) | instskip(SKIP_1) | instid1(VALU_DEP_2)
	v_add_nc_u32_e32 v10, v10, v11
	v_mul_lo_u32 v11, s0, v2
	v_add_nc_u32_e32 v10, v10, v12
	s_delay_alu instid0(VALU_DEP_2) | instskip(NEXT) | instid1(VALU_DEP_2)
	v_mul_hi_u32 v12, v2, v11
	v_mul_lo_u32 v14, v2, v10
	v_mul_hi_u32 v15, v2, v10
	v_mul_hi_u32 v16, v9, v11
	v_mul_lo_u32 v11, v9, v11
	v_mul_hi_u32 v17, v9, v10
	v_mul_lo_u32 v10, v9, v10
	v_add_co_u32 v12, vcc_lo, v12, v14
	v_add_co_ci_u32_e32 v14, vcc_lo, 0, v15, vcc_lo
	s_delay_alu instid0(VALU_DEP_2) | instskip(NEXT) | instid1(VALU_DEP_2)
	v_add_co_u32 v11, vcc_lo, v12, v11
	v_add_co_ci_u32_e32 v11, vcc_lo, v14, v16, vcc_lo
	v_add_co_ci_u32_e32 v12, vcc_lo, 0, v17, vcc_lo
	v_add_co_u32 v14, vcc_lo, v3, v13
	v_add_co_ci_u32_e32 v15, vcc_lo, v4, v13, vcc_lo
	s_delay_alu instid0(VALU_DEP_4) | instskip(NEXT) | instid1(VALU_DEP_4)
	v_add_co_u32 v10, vcc_lo, v11, v10
	v_add_co_ci_u32_e32 v11, vcc_lo, 0, v12, vcc_lo
	s_delay_alu instid0(VALU_DEP_4) | instskip(NEXT) | instid1(VALU_DEP_3)
	v_xor_b32_e32 v16, v14, v13
	v_add_co_u32 v2, vcc_lo, v2, v10
	s_delay_alu instid0(VALU_DEP_3) | instskip(SKIP_1) | instid1(VALU_DEP_3)
	v_add_co_ci_u32_e32 v17, vcc_lo, v9, v11, vcc_lo
	v_xor_b32_e32 v18, v15, v13
	v_mul_hi_u32 v19, v16, v2
	s_delay_alu instid0(VALU_DEP_3) | instskip(NEXT) | instid1(VALU_DEP_3)
	v_mad_u64_u32 v[9:10], null, v16, v17, 0
	v_mad_u64_u32 v[11:12], null, v18, v2, 0
	v_mad_u64_u32 v[14:15], null, v18, v17, 0
	s_delay_alu instid0(VALU_DEP_3) | instskip(NEXT) | instid1(VALU_DEP_4)
	v_add_co_u32 v2, vcc_lo, v19, v9
	v_add_co_ci_u32_e32 v9, vcc_lo, 0, v10, vcc_lo
	s_delay_alu instid0(VALU_DEP_2) | instskip(NEXT) | instid1(VALU_DEP_2)
	v_add_co_u32 v2, vcc_lo, v2, v11
	v_add_co_ci_u32_e32 v2, vcc_lo, v9, v12, vcc_lo
	v_add_co_ci_u32_e32 v9, vcc_lo, 0, v15, vcc_lo
	s_delay_alu instid0(VALU_DEP_2) | instskip(NEXT) | instid1(VALU_DEP_2)
	v_add_co_u32 v2, vcc_lo, v2, v14
	v_add_co_ci_u32_e32 v11, vcc_lo, 0, v9, vcc_lo
	s_delay_alu instid0(VALU_DEP_2) | instskip(SKIP_1) | instid1(VALU_DEP_3)
	v_mul_lo_u32 v12, s5, v2
	v_mad_u64_u32 v[9:10], null, s4, v2, 0
	v_mul_lo_u32 v14, s4, v11
	s_delay_alu instid0(VALU_DEP_2) | instskip(NEXT) | instid1(VALU_DEP_2)
	v_sub_co_u32 v9, vcc_lo, v16, v9
	v_add3_u32 v10, v10, v14, v12
	s_delay_alu instid0(VALU_DEP_1) | instskip(NEXT) | instid1(VALU_DEP_1)
	v_sub_nc_u32_e32 v12, v18, v10
	v_subrev_co_ci_u32_e64 v12, s0, s5, v12, vcc_lo
	v_add_co_u32 v14, s0, v2, 2
	s_delay_alu instid0(VALU_DEP_1) | instskip(SKIP_3) | instid1(VALU_DEP_3)
	v_add_co_ci_u32_e64 v15, s0, 0, v11, s0
	v_sub_co_u32 v16, s0, v9, s4
	v_sub_co_ci_u32_e32 v10, vcc_lo, v18, v10, vcc_lo
	v_subrev_co_ci_u32_e64 v12, s0, 0, v12, s0
	v_cmp_le_u32_e32 vcc_lo, s4, v16
	s_delay_alu instid0(VALU_DEP_3) | instskip(SKIP_1) | instid1(VALU_DEP_4)
	v_cmp_eq_u32_e64 s0, s5, v10
	v_cndmask_b32_e64 v16, 0, -1, vcc_lo
	v_cmp_le_u32_e32 vcc_lo, s5, v12
	v_cndmask_b32_e64 v17, 0, -1, vcc_lo
	v_cmp_le_u32_e32 vcc_lo, s4, v9
	;; [unrolled: 2-line block ×3, first 2 shown]
	v_cndmask_b32_e64 v18, 0, -1, vcc_lo
	v_cmp_eq_u32_e32 vcc_lo, s5, v12
	s_delay_alu instid0(VALU_DEP_2) | instskip(SKIP_3) | instid1(VALU_DEP_3)
	v_cndmask_b32_e64 v9, v18, v9, s0
	v_cndmask_b32_e32 v12, v17, v16, vcc_lo
	v_add_co_u32 v16, vcc_lo, v2, 1
	v_add_co_ci_u32_e32 v17, vcc_lo, 0, v11, vcc_lo
	v_cmp_ne_u32_e32 vcc_lo, 0, v12
	s_delay_alu instid0(VALU_DEP_2) | instskip(NEXT) | instid1(VALU_DEP_4)
	v_cndmask_b32_e32 v10, v17, v15, vcc_lo
	v_cndmask_b32_e32 v12, v16, v14, vcc_lo
	v_cmp_ne_u32_e32 vcc_lo, 0, v9
	v_xor_b32_e32 v14, s2, v13
	s_delay_alu instid0(VALU_DEP_3) | instskip(NEXT) | instid1(VALU_DEP_1)
	v_dual_cndmask_b32 v2, v2, v12 :: v_dual_cndmask_b32 v9, v11, v10
	v_xor_b32_e32 v2, v2, v14
	s_delay_alu instid0(VALU_DEP_2) | instskip(NEXT) | instid1(VALU_DEP_2)
	v_xor_b32_e32 v10, v9, v14
	v_sub_co_u32 v9, vcc_lo, v2, v14
	s_delay_alu instid0(VALU_DEP_2)
	v_sub_co_ci_u32_e32 v10, vcc_lo, v10, v14, vcc_lo
.LBB21_6:                               ;   in Loop: Header=BB21_4 Depth=1
	s_and_not1_saveexec_b32 s0, s1
	s_cbranch_execz .LBB21_8
; %bb.7:                                ;   in Loop: Header=BB21_4 Depth=1
	s_sub_i32 s1, 0, s43
	s_delay_alu instid0(SALU_CYCLE_1) | instskip(NEXT) | instid1(VALU_DEP_1)
	v_mul_lo_u32 v2, s1, v0
	v_mul_hi_u32 v2, v0, v2
	s_delay_alu instid0(VALU_DEP_1) | instskip(NEXT) | instid1(VALU_DEP_1)
	v_add_nc_u32_e32 v2, v0, v2
	v_mul_hi_u32 v2, v3, v2
	s_delay_alu instid0(VALU_DEP_1) | instskip(SKIP_1) | instid1(VALU_DEP_2)
	v_mul_lo_u32 v9, v2, s43
	v_add_nc_u32_e32 v10, 1, v2
	v_sub_nc_u32_e32 v9, v3, v9
	s_delay_alu instid0(VALU_DEP_1) | instskip(SKIP_1) | instid1(VALU_DEP_2)
	v_subrev_nc_u32_e32 v11, s43, v9
	v_cmp_le_u32_e32 vcc_lo, s43, v9
	v_dual_cndmask_b32 v9, v9, v11 :: v_dual_cndmask_b32 v2, v2, v10
	s_delay_alu instid0(VALU_DEP_1) | instskip(NEXT) | instid1(VALU_DEP_2)
	v_cmp_le_u32_e32 vcc_lo, s43, v9
	v_add_nc_u32_e32 v10, 1, v2
	s_delay_alu instid0(VALU_DEP_1)
	v_dual_cndmask_b32 v9, v2, v10 :: v_dual_mov_b32 v10, v1
.LBB21_8:                               ;   in Loop: Header=BB21_4 Depth=1
	s_or_b32 exec_lo, exec_lo, s0
	v_or_b32_e32 v2, s42, v4
                                        ; implicit-def: $vgpr11_vgpr12
	s_mov_b32 s0, exec_lo
	s_delay_alu instid0(VALU_DEP_1)
	v_cmpx_ne_u64_e32 0, v[1:2]
	s_xor_b32 s1, exec_lo, s0
	s_cbranch_execz .LBB21_10
; %bb.9:                                ;   in Loop: Header=BB21_4 Depth=1
	s_ashr_i32 s2, s42, 31
	s_delay_alu instid0(SALU_CYCLE_1) | instskip(SKIP_2) | instid1(SALU_CYCLE_1)
	s_add_u32 s4, s33, s2
	s_mov_b32 s3, s2
	s_addc_u32 s5, s42, s2
	s_xor_b64 s[4:5], s[4:5], s[2:3]
	s_delay_alu instid0(SALU_CYCLE_1) | instskip(SKIP_3) | instid1(VALU_DEP_1)
	v_cvt_f32_u32_e32 v2, s4
	v_cvt_f32_u32_e32 v11, s5
	s_sub_u32 s0, 0, s4
	s_subb_u32 s3, 0, s5
	v_fmac_f32_e32 v2, 0x4f800000, v11
	s_delay_alu instid0(VALU_DEP_1) | instskip(SKIP_2) | instid1(VALU_DEP_1)
	v_rcp_f32_e32 v2, v2
	s_waitcnt_depctr 0xfff
	v_mul_f32_e32 v2, 0x5f7ffffc, v2
	v_mul_f32_e32 v11, 0x2f800000, v2
	s_delay_alu instid0(VALU_DEP_1) | instskip(NEXT) | instid1(VALU_DEP_1)
	v_trunc_f32_e32 v11, v11
	v_fmac_f32_e32 v2, 0xcf800000, v11
	v_cvt_u32_f32_e32 v11, v11
	s_delay_alu instid0(VALU_DEP_2) | instskip(NEXT) | instid1(VALU_DEP_2)
	v_cvt_u32_f32_e32 v2, v2
	v_mul_lo_u32 v12, s0, v11
	s_delay_alu instid0(VALU_DEP_2) | instskip(SKIP_1) | instid1(VALU_DEP_2)
	v_mul_hi_u32 v14, s0, v2
	v_mul_lo_u32 v15, s3, v2
	v_add_nc_u32_e32 v12, v14, v12
	v_mul_lo_u32 v14, s0, v2
	s_delay_alu instid0(VALU_DEP_2) | instskip(NEXT) | instid1(VALU_DEP_2)
	v_add_nc_u32_e32 v12, v12, v15
	v_mul_hi_u32 v15, v2, v14
	s_delay_alu instid0(VALU_DEP_2)
	v_mul_lo_u32 v16, v2, v12
	v_mul_hi_u32 v17, v2, v12
	v_mul_hi_u32 v18, v11, v14
	v_mul_lo_u32 v14, v11, v14
	v_mul_hi_u32 v19, v11, v12
	v_mul_lo_u32 v12, v11, v12
	v_add_co_u32 v15, vcc_lo, v15, v16
	v_add_co_ci_u32_e32 v16, vcc_lo, 0, v17, vcc_lo
	s_delay_alu instid0(VALU_DEP_2) | instskip(NEXT) | instid1(VALU_DEP_2)
	v_add_co_u32 v14, vcc_lo, v15, v14
	v_add_co_ci_u32_e32 v14, vcc_lo, v16, v18, vcc_lo
	v_add_co_ci_u32_e32 v15, vcc_lo, 0, v19, vcc_lo
	s_delay_alu instid0(VALU_DEP_2) | instskip(NEXT) | instid1(VALU_DEP_2)
	v_add_co_u32 v12, vcc_lo, v14, v12
	v_add_co_ci_u32_e32 v14, vcc_lo, 0, v15, vcc_lo
	s_delay_alu instid0(VALU_DEP_2) | instskip(NEXT) | instid1(VALU_DEP_2)
	v_add_co_u32 v2, vcc_lo, v2, v12
	v_add_co_ci_u32_e32 v11, vcc_lo, v11, v14, vcc_lo
	s_delay_alu instid0(VALU_DEP_2) | instskip(SKIP_1) | instid1(VALU_DEP_3)
	v_mul_hi_u32 v12, s0, v2
	v_mul_lo_u32 v15, s3, v2
	v_mul_lo_u32 v14, s0, v11
	s_delay_alu instid0(VALU_DEP_1) | instskip(SKIP_1) | instid1(VALU_DEP_2)
	v_add_nc_u32_e32 v12, v12, v14
	v_mul_lo_u32 v14, s0, v2
	v_add_nc_u32_e32 v12, v12, v15
	s_delay_alu instid0(VALU_DEP_2) | instskip(NEXT) | instid1(VALU_DEP_2)
	v_mul_hi_u32 v15, v2, v14
	v_mul_lo_u32 v16, v2, v12
	v_mul_hi_u32 v17, v2, v12
	v_mul_hi_u32 v18, v11, v14
	v_mul_lo_u32 v14, v11, v14
	v_mul_hi_u32 v19, v11, v12
	v_mul_lo_u32 v12, v11, v12
	v_add_co_u32 v15, vcc_lo, v15, v16
	v_add_co_ci_u32_e32 v16, vcc_lo, 0, v17, vcc_lo
	s_delay_alu instid0(VALU_DEP_2) | instskip(NEXT) | instid1(VALU_DEP_2)
	v_add_co_u32 v14, vcc_lo, v15, v14
	v_add_co_ci_u32_e32 v14, vcc_lo, v16, v18, vcc_lo
	v_add_co_ci_u32_e32 v15, vcc_lo, 0, v19, vcc_lo
	v_add_co_u32 v16, vcc_lo, v3, v13
	v_add_co_ci_u32_e32 v17, vcc_lo, v4, v13, vcc_lo
	s_delay_alu instid0(VALU_DEP_4) | instskip(NEXT) | instid1(VALU_DEP_4)
	v_add_co_u32 v12, vcc_lo, v14, v12
	v_add_co_ci_u32_e32 v14, vcc_lo, 0, v15, vcc_lo
	s_delay_alu instid0(VALU_DEP_4) | instskip(NEXT) | instid1(VALU_DEP_3)
	v_xor_b32_e32 v18, v16, v13
	v_add_co_u32 v2, vcc_lo, v2, v12
	s_delay_alu instid0(VALU_DEP_3) | instskip(SKIP_1) | instid1(VALU_DEP_3)
	v_add_co_ci_u32_e32 v19, vcc_lo, v11, v14, vcc_lo
	v_xor_b32_e32 v20, v17, v13
	v_mul_hi_u32 v21, v18, v2
	v_xor_b32_e32 v13, s2, v13
	s_delay_alu instid0(VALU_DEP_4) | instskip(NEXT) | instid1(VALU_DEP_4)
	v_mad_u64_u32 v[11:12], null, v18, v19, 0
	v_mad_u64_u32 v[14:15], null, v20, v2, 0
	;; [unrolled: 1-line block ×3, first 2 shown]
	s_delay_alu instid0(VALU_DEP_3) | instskip(NEXT) | instid1(VALU_DEP_4)
	v_add_co_u32 v2, vcc_lo, v21, v11
	v_add_co_ci_u32_e32 v11, vcc_lo, 0, v12, vcc_lo
	s_delay_alu instid0(VALU_DEP_2) | instskip(NEXT) | instid1(VALU_DEP_2)
	v_add_co_u32 v2, vcc_lo, v2, v14
	v_add_co_ci_u32_e32 v2, vcc_lo, v11, v15, vcc_lo
	v_add_co_ci_u32_e32 v11, vcc_lo, 0, v17, vcc_lo
	s_delay_alu instid0(VALU_DEP_2) | instskip(NEXT) | instid1(VALU_DEP_2)
	v_add_co_u32 v2, vcc_lo, v2, v16
	v_add_co_ci_u32_e32 v14, vcc_lo, 0, v11, vcc_lo
	s_delay_alu instid0(VALU_DEP_2) | instskip(SKIP_1) | instid1(VALU_DEP_3)
	v_mul_lo_u32 v15, s5, v2
	v_mad_u64_u32 v[11:12], null, s4, v2, 0
	v_mul_lo_u32 v16, s4, v14
	s_delay_alu instid0(VALU_DEP_2) | instskip(NEXT) | instid1(VALU_DEP_2)
	v_sub_co_u32 v11, vcc_lo, v18, v11
	v_add3_u32 v12, v12, v16, v15
	s_delay_alu instid0(VALU_DEP_1) | instskip(NEXT) | instid1(VALU_DEP_1)
	v_sub_nc_u32_e32 v15, v20, v12
	v_subrev_co_ci_u32_e64 v15, s0, s5, v15, vcc_lo
	v_add_co_u32 v16, s0, v2, 2
	s_delay_alu instid0(VALU_DEP_1) | instskip(SKIP_3) | instid1(VALU_DEP_3)
	v_add_co_ci_u32_e64 v17, s0, 0, v14, s0
	v_sub_co_u32 v18, s0, v11, s4
	v_sub_co_ci_u32_e32 v12, vcc_lo, v20, v12, vcc_lo
	v_subrev_co_ci_u32_e64 v15, s0, 0, v15, s0
	v_cmp_le_u32_e32 vcc_lo, s4, v18
	s_delay_alu instid0(VALU_DEP_3) | instskip(SKIP_1) | instid1(VALU_DEP_4)
	v_cmp_eq_u32_e64 s0, s5, v12
	v_cndmask_b32_e64 v18, 0, -1, vcc_lo
	v_cmp_le_u32_e32 vcc_lo, s5, v15
	v_cndmask_b32_e64 v19, 0, -1, vcc_lo
	v_cmp_le_u32_e32 vcc_lo, s4, v11
	;; [unrolled: 2-line block ×3, first 2 shown]
	v_cndmask_b32_e64 v20, 0, -1, vcc_lo
	v_cmp_eq_u32_e32 vcc_lo, s5, v15
	s_delay_alu instid0(VALU_DEP_2) | instskip(SKIP_3) | instid1(VALU_DEP_3)
	v_cndmask_b32_e64 v11, v20, v11, s0
	v_cndmask_b32_e32 v15, v19, v18, vcc_lo
	v_add_co_u32 v18, vcc_lo, v2, 1
	v_add_co_ci_u32_e32 v19, vcc_lo, 0, v14, vcc_lo
	v_cmp_ne_u32_e32 vcc_lo, 0, v15
	s_delay_alu instid0(VALU_DEP_2) | instskip(SKIP_1) | instid1(VALU_DEP_2)
	v_dual_cndmask_b32 v12, v19, v17 :: v_dual_cndmask_b32 v15, v18, v16
	v_cmp_ne_u32_e32 vcc_lo, 0, v11
	v_cndmask_b32_e32 v11, v14, v12, vcc_lo
	s_delay_alu instid0(VALU_DEP_3) | instskip(NEXT) | instid1(VALU_DEP_2)
	v_cndmask_b32_e32 v2, v2, v15, vcc_lo
	v_xor_b32_e32 v12, v11, v13
	s_delay_alu instid0(VALU_DEP_2) | instskip(NEXT) | instid1(VALU_DEP_1)
	v_xor_b32_e32 v2, v2, v13
	v_sub_co_u32 v11, vcc_lo, v2, v13
	s_delay_alu instid0(VALU_DEP_3)
	v_sub_co_ci_u32_e32 v12, vcc_lo, v12, v13, vcc_lo
.LBB21_10:                              ;   in Loop: Header=BB21_4 Depth=1
	s_and_not1_saveexec_b32 s0, s1
	s_cbranch_execz .LBB21_12
; %bb.11:                               ;   in Loop: Header=BB21_4 Depth=1
	v_cvt_f32_u32_e32 v2, s33
	s_sub_i32 s1, 0, s33
	s_delay_alu instid0(VALU_DEP_1) | instskip(SKIP_2) | instid1(VALU_DEP_1)
	v_rcp_iflag_f32_e32 v2, v2
	s_waitcnt_depctr 0xfff
	v_mul_f32_e32 v2, 0x4f7ffffe, v2
	v_cvt_u32_f32_e32 v2, v2
	s_delay_alu instid0(VALU_DEP_1) | instskip(NEXT) | instid1(VALU_DEP_1)
	v_mul_lo_u32 v11, s1, v2
	v_mul_hi_u32 v11, v2, v11
	s_delay_alu instid0(VALU_DEP_1) | instskip(NEXT) | instid1(VALU_DEP_1)
	v_add_nc_u32_e32 v2, v2, v11
	v_mul_hi_u32 v2, v3, v2
	s_delay_alu instid0(VALU_DEP_1) | instskip(SKIP_1) | instid1(VALU_DEP_2)
	v_mul_lo_u32 v11, v2, s33
	v_add_nc_u32_e32 v12, 1, v2
	v_sub_nc_u32_e32 v11, v3, v11
	s_delay_alu instid0(VALU_DEP_1) | instskip(SKIP_1) | instid1(VALU_DEP_2)
	v_subrev_nc_u32_e32 v13, s33, v11
	v_cmp_le_u32_e32 vcc_lo, s33, v11
	v_dual_cndmask_b32 v11, v11, v13 :: v_dual_cndmask_b32 v2, v2, v12
	s_delay_alu instid0(VALU_DEP_1) | instskip(NEXT) | instid1(VALU_DEP_2)
	v_cmp_le_u32_e32 vcc_lo, s33, v11
	v_add_nc_u32_e32 v12, 1, v2
	s_delay_alu instid0(VALU_DEP_1)
	v_dual_cndmask_b32 v11, v2, v12 :: v_dual_mov_b32 v12, v1
.LBB21_12:                              ;   in Loop: Header=BB21_4 Depth=1
	s_or_b32 exec_lo, exec_lo, s0
	s_delay_alu instid0(VALU_DEP_1) | instskip(SKIP_1) | instid1(VALU_DEP_1)
	v_or_b32_e32 v2, s7, v12
                                        ; implicit-def: $vgpr13_vgpr14
	s_mov_b32 s0, exec_lo
	v_cmpx_ne_u64_e32 0, v[1:2]
	s_xor_b32 s1, exec_lo, s0
	s_cbranch_execz .LBB21_14
; %bb.13:                               ;   in Loop: Header=BB21_4 Depth=1
	s_add_u32 s4, s6, s7
	s_mov_b32 s2, s7
	s_mov_b32 s3, s7
	s_addc_u32 s5, s7, s7
	s_delay_alu instid0(SALU_CYCLE_1) | instskip(NEXT) | instid1(SALU_CYCLE_1)
	s_xor_b64 s[2:3], s[4:5], s[2:3]
	v_cvt_f32_u32_e32 v2, s2
	v_cvt_f32_u32_e32 v13, s3
	s_sub_u32 s0, 0, s2
	s_subb_u32 s4, 0, s3
	s_delay_alu instid0(VALU_DEP_1) | instskip(NEXT) | instid1(VALU_DEP_1)
	v_fmac_f32_e32 v2, 0x4f800000, v13
	v_rcp_f32_e32 v2, v2
	s_waitcnt_depctr 0xfff
	v_mul_f32_e32 v2, 0x5f7ffffc, v2
	s_delay_alu instid0(VALU_DEP_1) | instskip(NEXT) | instid1(VALU_DEP_1)
	v_mul_f32_e32 v13, 0x2f800000, v2
	v_trunc_f32_e32 v13, v13
	s_delay_alu instid0(VALU_DEP_1) | instskip(SKIP_1) | instid1(VALU_DEP_2)
	v_fmac_f32_e32 v2, 0xcf800000, v13
	v_cvt_u32_f32_e32 v13, v13
	v_cvt_u32_f32_e32 v2, v2
	s_delay_alu instid0(VALU_DEP_2) | instskip(NEXT) | instid1(VALU_DEP_2)
	v_mul_lo_u32 v14, s0, v13
	v_mul_hi_u32 v15, s0, v2
	v_mul_lo_u32 v16, s4, v2
	s_delay_alu instid0(VALU_DEP_2) | instskip(SKIP_1) | instid1(VALU_DEP_2)
	v_add_nc_u32_e32 v14, v15, v14
	v_mul_lo_u32 v15, s0, v2
	v_add_nc_u32_e32 v14, v14, v16
	s_delay_alu instid0(VALU_DEP_2) | instskip(NEXT) | instid1(VALU_DEP_2)
	v_mul_hi_u32 v16, v2, v15
	v_mul_lo_u32 v17, v2, v14
	v_mul_hi_u32 v18, v2, v14
	v_mul_hi_u32 v19, v13, v15
	v_mul_lo_u32 v15, v13, v15
	v_mul_hi_u32 v20, v13, v14
	v_mul_lo_u32 v14, v13, v14
	v_add_co_u32 v16, vcc_lo, v16, v17
	v_add_co_ci_u32_e32 v17, vcc_lo, 0, v18, vcc_lo
	s_delay_alu instid0(VALU_DEP_2) | instskip(NEXT) | instid1(VALU_DEP_2)
	v_add_co_u32 v15, vcc_lo, v16, v15
	v_add_co_ci_u32_e32 v15, vcc_lo, v17, v19, vcc_lo
	v_add_co_ci_u32_e32 v16, vcc_lo, 0, v20, vcc_lo
	v_ashrrev_i32_e32 v19, 31, v12
	s_delay_alu instid0(VALU_DEP_3) | instskip(NEXT) | instid1(VALU_DEP_3)
	v_add_co_u32 v14, vcc_lo, v15, v14
	v_add_co_ci_u32_e32 v15, vcc_lo, 0, v16, vcc_lo
	s_delay_alu instid0(VALU_DEP_2) | instskip(NEXT) | instid1(VALU_DEP_2)
	v_add_co_u32 v2, vcc_lo, v2, v14
	v_add_co_ci_u32_e32 v13, vcc_lo, v13, v15, vcc_lo
	s_delay_alu instid0(VALU_DEP_2) | instskip(SKIP_1) | instid1(VALU_DEP_3)
	v_mul_hi_u32 v14, s0, v2
	v_mul_lo_u32 v16, s4, v2
	v_mul_lo_u32 v15, s0, v13
	s_delay_alu instid0(VALU_DEP_1) | instskip(SKIP_1) | instid1(VALU_DEP_2)
	v_add_nc_u32_e32 v14, v14, v15
	v_mul_lo_u32 v15, s0, v2
	v_add_nc_u32_e32 v14, v14, v16
	s_delay_alu instid0(VALU_DEP_2) | instskip(NEXT) | instid1(VALU_DEP_2)
	v_mul_hi_u32 v16, v2, v15
	v_mul_lo_u32 v17, v2, v14
	v_mul_hi_u32 v18, v2, v14
	v_mul_hi_u32 v20, v13, v15
	v_mul_lo_u32 v15, v13, v15
	v_mul_hi_u32 v21, v13, v14
	v_mul_lo_u32 v14, v13, v14
	v_add_co_u32 v16, vcc_lo, v16, v17
	v_add_co_ci_u32_e32 v17, vcc_lo, 0, v18, vcc_lo
	s_delay_alu instid0(VALU_DEP_2) | instskip(NEXT) | instid1(VALU_DEP_2)
	v_add_co_u32 v15, vcc_lo, v16, v15
	v_add_co_ci_u32_e32 v15, vcc_lo, v17, v20, vcc_lo
	v_add_co_ci_u32_e32 v16, vcc_lo, 0, v21, vcc_lo
	v_add_co_u32 v17, vcc_lo, v11, v19
	v_add_co_ci_u32_e32 v18, vcc_lo, v12, v19, vcc_lo
	s_delay_alu instid0(VALU_DEP_4) | instskip(NEXT) | instid1(VALU_DEP_4)
	v_add_co_u32 v14, vcc_lo, v15, v14
	v_add_co_ci_u32_e32 v15, vcc_lo, 0, v16, vcc_lo
	s_delay_alu instid0(VALU_DEP_4) | instskip(NEXT) | instid1(VALU_DEP_3)
	v_xor_b32_e32 v20, v17, v19
	v_add_co_u32 v2, vcc_lo, v2, v14
	s_delay_alu instid0(VALU_DEP_3) | instskip(SKIP_1) | instid1(VALU_DEP_3)
	v_add_co_ci_u32_e32 v21, vcc_lo, v13, v15, vcc_lo
	v_xor_b32_e32 v22, v18, v19
	v_mul_hi_u32 v23, v20, v2
	s_delay_alu instid0(VALU_DEP_3) | instskip(NEXT) | instid1(VALU_DEP_3)
	v_mad_u64_u32 v[13:14], null, v20, v21, 0
	v_mad_u64_u32 v[15:16], null, v22, v2, 0
	;; [unrolled: 1-line block ×3, first 2 shown]
	s_delay_alu instid0(VALU_DEP_3) | instskip(NEXT) | instid1(VALU_DEP_4)
	v_add_co_u32 v2, vcc_lo, v23, v13
	v_add_co_ci_u32_e32 v13, vcc_lo, 0, v14, vcc_lo
	s_delay_alu instid0(VALU_DEP_2) | instskip(NEXT) | instid1(VALU_DEP_2)
	v_add_co_u32 v2, vcc_lo, v2, v15
	v_add_co_ci_u32_e32 v2, vcc_lo, v13, v16, vcc_lo
	v_add_co_ci_u32_e32 v13, vcc_lo, 0, v18, vcc_lo
	s_delay_alu instid0(VALU_DEP_2) | instskip(NEXT) | instid1(VALU_DEP_2)
	v_add_co_u32 v2, vcc_lo, v2, v17
	v_add_co_ci_u32_e32 v15, vcc_lo, 0, v13, vcc_lo
	s_delay_alu instid0(VALU_DEP_2) | instskip(SKIP_1) | instid1(VALU_DEP_3)
	v_mul_lo_u32 v16, s3, v2
	v_mad_u64_u32 v[13:14], null, s2, v2, 0
	v_mul_lo_u32 v2, s2, v15
	s_delay_alu instid0(VALU_DEP_2) | instskip(NEXT) | instid1(VALU_DEP_2)
	v_sub_co_u32 v13, vcc_lo, v20, v13
	v_add3_u32 v2, v14, v2, v16
	s_delay_alu instid0(VALU_DEP_1) | instskip(NEXT) | instid1(VALU_DEP_1)
	v_sub_nc_u32_e32 v14, v22, v2
	v_subrev_co_ci_u32_e64 v14, s0, s3, v14, vcc_lo
	v_sub_co_ci_u32_e32 v2, vcc_lo, v22, v2, vcc_lo
	v_sub_co_u32 v15, vcc_lo, v13, s2
	s_delay_alu instid0(VALU_DEP_1) | instskip(SKIP_3) | instid1(VALU_DEP_3)
	v_subrev_co_ci_u32_e64 v16, s0, 0, v14, vcc_lo
	v_cmp_le_u32_e64 s0, s2, v13
	v_subrev_co_ci_u32_e32 v14, vcc_lo, s3, v14, vcc_lo
	v_cmp_le_u32_e32 vcc_lo, s3, v2
	v_cndmask_b32_e64 v17, 0, -1, s0
	v_cmp_le_u32_e64 s0, s2, v15
	v_cndmask_b32_e64 v21, 0, -1, vcc_lo
	v_cmp_eq_u32_e32 vcc_lo, s3, v16
	s_delay_alu instid0(VALU_DEP_3) | instskip(SKIP_1) | instid1(VALU_DEP_1)
	v_cndmask_b32_e64 v18, 0, -1, s0
	v_cmp_le_u32_e64 s0, s3, v16
	v_cndmask_b32_e64 v20, 0, -1, s0
	v_cmp_eq_u32_e64 s0, s3, v2
	s_delay_alu instid0(VALU_DEP_2) | instskip(SKIP_2) | instid1(VALU_DEP_3)
	v_cndmask_b32_e32 v18, v20, v18, vcc_lo
	v_sub_co_u32 v20, vcc_lo, v15, s2
	v_subrev_co_ci_u32_e32 v14, vcc_lo, 0, v14, vcc_lo
	v_cmp_ne_u32_e32 vcc_lo, 0, v18
	v_cndmask_b32_e64 v17, v21, v17, s0
	s_delay_alu instid0(VALU_DEP_3) | instskip(NEXT) | instid1(VALU_DEP_2)
	v_dual_cndmask_b32 v14, v16, v14 :: v_dual_cndmask_b32 v15, v15, v20
	v_cmp_ne_u32_e32 vcc_lo, 0, v17
	s_delay_alu instid0(VALU_DEP_2) | instskip(NEXT) | instid1(VALU_DEP_1)
	v_dual_cndmask_b32 v13, v13, v15 :: v_dual_cndmask_b32 v2, v2, v14
	v_xor_b32_e32 v13, v13, v19
	s_delay_alu instid0(VALU_DEP_2) | instskip(NEXT) | instid1(VALU_DEP_2)
	v_xor_b32_e32 v2, v2, v19
	v_sub_co_u32 v13, vcc_lo, v13, v19
	s_delay_alu instid0(VALU_DEP_2)
	v_sub_co_ci_u32_e32 v14, vcc_lo, v2, v19, vcc_lo
.LBB21_14:                              ;   in Loop: Header=BB21_4 Depth=1
	s_and_not1_saveexec_b32 s0, s1
	s_cbranch_execz .LBB21_16
; %bb.15:                               ;   in Loop: Header=BB21_4 Depth=1
	v_cvt_f32_u32_e32 v2, s6
	s_sub_i32 s1, 0, s6
	v_mov_b32_e32 v14, v1
	s_delay_alu instid0(VALU_DEP_2) | instskip(SKIP_2) | instid1(VALU_DEP_1)
	v_rcp_iflag_f32_e32 v2, v2
	s_waitcnt_depctr 0xfff
	v_mul_f32_e32 v2, 0x4f7ffffe, v2
	v_cvt_u32_f32_e32 v2, v2
	s_delay_alu instid0(VALU_DEP_1) | instskip(NEXT) | instid1(VALU_DEP_1)
	v_mul_lo_u32 v13, s1, v2
	v_mul_hi_u32 v13, v2, v13
	s_delay_alu instid0(VALU_DEP_1) | instskip(NEXT) | instid1(VALU_DEP_1)
	v_add_nc_u32_e32 v2, v2, v13
	v_mul_hi_u32 v2, v11, v2
	s_delay_alu instid0(VALU_DEP_1) | instskip(NEXT) | instid1(VALU_DEP_1)
	v_mul_lo_u32 v2, v2, s6
	v_sub_nc_u32_e32 v2, v11, v2
	s_delay_alu instid0(VALU_DEP_1) | instskip(SKIP_1) | instid1(VALU_DEP_2)
	v_subrev_nc_u32_e32 v13, s6, v2
	v_cmp_le_u32_e32 vcc_lo, s6, v2
	v_cndmask_b32_e32 v2, v2, v13, vcc_lo
	s_delay_alu instid0(VALU_DEP_1) | instskip(SKIP_1) | instid1(VALU_DEP_2)
	v_subrev_nc_u32_e32 v13, s6, v2
	v_cmp_le_u32_e32 vcc_lo, s6, v2
	v_cndmask_b32_e32 v13, v2, v13, vcc_lo
.LBB21_16:                              ;   in Loop: Header=BB21_4 Depth=1
	s_or_b32 exec_lo, exec_lo, s0
	v_mad_u64_u32 v[17:18], null, s59, v11, v[3:4]
	v_mul_lo_u32 v2, s59, v12
	v_mul_lo_u32 v15, s60, v11
	s_mov_b32 s0, exec_lo
	s_delay_alu instid0(VALU_DEP_1) | instskip(NEXT) | instid1(VALU_DEP_1)
	v_add3_u32 v18, v15, v18, v2
                                        ; implicit-def: $vgpr15_vgpr16
	v_or_b32_e32 v2, s21, v18
	s_delay_alu instid0(VALU_DEP_1)
	v_cmpx_ne_u64_e32 0, v[1:2]
	s_xor_b32 s1, exec_lo, s0
	s_cbranch_execz .LBB21_18
; %bb.17:                               ;   in Loop: Header=BB21_4 Depth=1
	s_ashr_i32 s2, s21, 31
	s_delay_alu instid0(SALU_CYCLE_1) | instskip(SKIP_2) | instid1(SALU_CYCLE_1)
	s_add_u32 s4, s20, s2
	s_mov_b32 s3, s2
	s_addc_u32 s5, s21, s2
	s_xor_b64 s[4:5], s[4:5], s[2:3]
	s_delay_alu instid0(SALU_CYCLE_1) | instskip(SKIP_3) | instid1(VALU_DEP_1)
	v_cvt_f32_u32_e32 v2, s4
	v_cvt_f32_u32_e32 v15, s5
	s_sub_u32 s0, 0, s4
	s_subb_u32 s3, 0, s5
	v_fmac_f32_e32 v2, 0x4f800000, v15
	s_delay_alu instid0(VALU_DEP_1) | instskip(SKIP_2) | instid1(VALU_DEP_1)
	v_rcp_f32_e32 v2, v2
	s_waitcnt_depctr 0xfff
	v_mul_f32_e32 v2, 0x5f7ffffc, v2
	v_mul_f32_e32 v15, 0x2f800000, v2
	s_delay_alu instid0(VALU_DEP_1) | instskip(NEXT) | instid1(VALU_DEP_1)
	v_trunc_f32_e32 v15, v15
	v_fmac_f32_e32 v2, 0xcf800000, v15
	v_cvt_u32_f32_e32 v15, v15
	s_delay_alu instid0(VALU_DEP_2) | instskip(NEXT) | instid1(VALU_DEP_2)
	v_cvt_u32_f32_e32 v2, v2
	v_mul_lo_u32 v16, s0, v15
	s_delay_alu instid0(VALU_DEP_2) | instskip(SKIP_1) | instid1(VALU_DEP_2)
	v_mul_hi_u32 v19, s0, v2
	v_mul_lo_u32 v20, s3, v2
	v_add_nc_u32_e32 v16, v19, v16
	v_mul_lo_u32 v19, s0, v2
	s_delay_alu instid0(VALU_DEP_2) | instskip(NEXT) | instid1(VALU_DEP_2)
	v_add_nc_u32_e32 v16, v16, v20
	v_mul_hi_u32 v20, v2, v19
	s_delay_alu instid0(VALU_DEP_2)
	v_mul_lo_u32 v21, v2, v16
	v_mul_hi_u32 v22, v2, v16
	v_mul_hi_u32 v23, v15, v19
	v_mul_lo_u32 v19, v15, v19
	v_mul_hi_u32 v24, v15, v16
	v_mul_lo_u32 v16, v15, v16
	v_add_co_u32 v20, vcc_lo, v20, v21
	v_add_co_ci_u32_e32 v21, vcc_lo, 0, v22, vcc_lo
	s_delay_alu instid0(VALU_DEP_2) | instskip(NEXT) | instid1(VALU_DEP_2)
	v_add_co_u32 v19, vcc_lo, v20, v19
	v_add_co_ci_u32_e32 v19, vcc_lo, v21, v23, vcc_lo
	v_add_co_ci_u32_e32 v20, vcc_lo, 0, v24, vcc_lo
	v_ashrrev_i32_e32 v23, 31, v18
	s_delay_alu instid0(VALU_DEP_3) | instskip(NEXT) | instid1(VALU_DEP_3)
	v_add_co_u32 v16, vcc_lo, v19, v16
	v_add_co_ci_u32_e32 v19, vcc_lo, 0, v20, vcc_lo
	s_delay_alu instid0(VALU_DEP_2) | instskip(NEXT) | instid1(VALU_DEP_2)
	v_add_co_u32 v2, vcc_lo, v2, v16
	v_add_co_ci_u32_e32 v15, vcc_lo, v15, v19, vcc_lo
	s_delay_alu instid0(VALU_DEP_2) | instskip(SKIP_1) | instid1(VALU_DEP_3)
	v_mul_hi_u32 v16, s0, v2
	v_mul_lo_u32 v20, s3, v2
	v_mul_lo_u32 v19, s0, v15
	s_delay_alu instid0(VALU_DEP_1) | instskip(SKIP_1) | instid1(VALU_DEP_2)
	v_add_nc_u32_e32 v16, v16, v19
	v_mul_lo_u32 v19, s0, v2
	v_add_nc_u32_e32 v16, v16, v20
	s_delay_alu instid0(VALU_DEP_2) | instskip(NEXT) | instid1(VALU_DEP_2)
	v_mul_hi_u32 v20, v2, v19
	v_mul_lo_u32 v21, v2, v16
	v_mul_hi_u32 v22, v2, v16
	v_mul_hi_u32 v24, v15, v19
	v_mul_lo_u32 v19, v15, v19
	v_mul_hi_u32 v25, v15, v16
	v_mul_lo_u32 v16, v15, v16
	v_add_co_u32 v20, vcc_lo, v20, v21
	v_add_co_ci_u32_e32 v21, vcc_lo, 0, v22, vcc_lo
	s_delay_alu instid0(VALU_DEP_2) | instskip(NEXT) | instid1(VALU_DEP_2)
	v_add_co_u32 v19, vcc_lo, v20, v19
	v_add_co_ci_u32_e32 v19, vcc_lo, v21, v24, vcc_lo
	v_add_co_ci_u32_e32 v20, vcc_lo, 0, v25, vcc_lo
	v_add_co_u32 v17, vcc_lo, v17, v23
	v_add_co_ci_u32_e32 v18, vcc_lo, v18, v23, vcc_lo
	s_delay_alu instid0(VALU_DEP_4) | instskip(NEXT) | instid1(VALU_DEP_4)
	v_add_co_u32 v16, vcc_lo, v19, v16
	v_add_co_ci_u32_e32 v19, vcc_lo, 0, v20, vcc_lo
	s_delay_alu instid0(VALU_DEP_4) | instskip(NEXT) | instid1(VALU_DEP_3)
	v_xor_b32_e32 v21, v17, v23
	v_add_co_u32 v2, vcc_lo, v2, v16
	s_delay_alu instid0(VALU_DEP_3) | instskip(SKIP_1) | instid1(VALU_DEP_3)
	v_add_co_ci_u32_e32 v22, vcc_lo, v15, v19, vcc_lo
	v_xor_b32_e32 v24, v18, v23
	v_mul_hi_u32 v25, v21, v2
	s_delay_alu instid0(VALU_DEP_3) | instskip(NEXT) | instid1(VALU_DEP_3)
	v_mad_u64_u32 v[15:16], null, v21, v22, 0
	v_mad_u64_u32 v[17:18], null, v24, v2, 0
	;; [unrolled: 1-line block ×3, first 2 shown]
	s_delay_alu instid0(VALU_DEP_3) | instskip(NEXT) | instid1(VALU_DEP_4)
	v_add_co_u32 v2, vcc_lo, v25, v15
	v_add_co_ci_u32_e32 v15, vcc_lo, 0, v16, vcc_lo
	s_delay_alu instid0(VALU_DEP_2) | instskip(NEXT) | instid1(VALU_DEP_2)
	v_add_co_u32 v2, vcc_lo, v2, v17
	v_add_co_ci_u32_e32 v2, vcc_lo, v15, v18, vcc_lo
	v_add_co_ci_u32_e32 v15, vcc_lo, 0, v20, vcc_lo
	s_delay_alu instid0(VALU_DEP_2) | instskip(NEXT) | instid1(VALU_DEP_2)
	v_add_co_u32 v2, vcc_lo, v2, v19
	v_add_co_ci_u32_e32 v17, vcc_lo, 0, v15, vcc_lo
	s_delay_alu instid0(VALU_DEP_2) | instskip(SKIP_1) | instid1(VALU_DEP_3)
	v_mul_lo_u32 v18, s5, v2
	v_mad_u64_u32 v[15:16], null, s4, v2, 0
	v_mul_lo_u32 v19, s4, v17
	s_delay_alu instid0(VALU_DEP_2) | instskip(NEXT) | instid1(VALU_DEP_2)
	v_sub_co_u32 v15, vcc_lo, v21, v15
	v_add3_u32 v16, v16, v19, v18
	s_delay_alu instid0(VALU_DEP_1) | instskip(NEXT) | instid1(VALU_DEP_1)
	v_sub_nc_u32_e32 v18, v24, v16
	v_subrev_co_ci_u32_e64 v18, s0, s5, v18, vcc_lo
	v_add_co_u32 v19, s0, v2, 2
	s_delay_alu instid0(VALU_DEP_1) | instskip(SKIP_3) | instid1(VALU_DEP_3)
	v_add_co_ci_u32_e64 v20, s0, 0, v17, s0
	v_sub_co_u32 v21, s0, v15, s4
	v_sub_co_ci_u32_e32 v16, vcc_lo, v24, v16, vcc_lo
	v_subrev_co_ci_u32_e64 v18, s0, 0, v18, s0
	v_cmp_le_u32_e32 vcc_lo, s4, v21
	s_delay_alu instid0(VALU_DEP_3) | instskip(SKIP_1) | instid1(VALU_DEP_4)
	v_cmp_eq_u32_e64 s0, s5, v16
	v_cndmask_b32_e64 v21, 0, -1, vcc_lo
	v_cmp_le_u32_e32 vcc_lo, s5, v18
	v_cndmask_b32_e64 v22, 0, -1, vcc_lo
	v_cmp_le_u32_e32 vcc_lo, s4, v15
	;; [unrolled: 2-line block ×3, first 2 shown]
	v_cndmask_b32_e64 v24, 0, -1, vcc_lo
	v_cmp_eq_u32_e32 vcc_lo, s5, v18
	s_delay_alu instid0(VALU_DEP_2) | instskip(SKIP_3) | instid1(VALU_DEP_3)
	v_cndmask_b32_e64 v15, v24, v15, s0
	v_cndmask_b32_e32 v18, v22, v21, vcc_lo
	v_add_co_u32 v21, vcc_lo, v2, 1
	v_add_co_ci_u32_e32 v22, vcc_lo, 0, v17, vcc_lo
	v_cmp_ne_u32_e32 vcc_lo, 0, v18
	s_delay_alu instid0(VALU_DEP_2) | instskip(NEXT) | instid1(VALU_DEP_4)
	v_cndmask_b32_e32 v16, v22, v20, vcc_lo
	v_cndmask_b32_e32 v18, v21, v19, vcc_lo
	v_cmp_ne_u32_e32 vcc_lo, 0, v15
	v_xor_b32_e32 v19, s2, v23
	s_delay_alu instid0(VALU_DEP_3) | instskip(NEXT) | instid1(VALU_DEP_1)
	v_dual_cndmask_b32 v2, v2, v18 :: v_dual_cndmask_b32 v15, v17, v16
                                        ; implicit-def: $vgpr17_vgpr18
	v_xor_b32_e32 v2, v2, v19
	s_delay_alu instid0(VALU_DEP_2) | instskip(NEXT) | instid1(VALU_DEP_2)
	v_xor_b32_e32 v16, v15, v19
	v_sub_co_u32 v15, vcc_lo, v2, v19
	s_delay_alu instid0(VALU_DEP_2)
	v_sub_co_ci_u32_e32 v16, vcc_lo, v16, v19, vcc_lo
.LBB21_18:                              ;   in Loop: Header=BB21_4 Depth=1
	s_and_not1_saveexec_b32 s0, s1
	s_cbranch_execz .LBB21_20
; %bb.19:                               ;   in Loop: Header=BB21_4 Depth=1
	v_cvt_f32_u32_e32 v2, s20
	s_sub_i32 s1, 0, s20
	s_delay_alu instid0(VALU_DEP_1) | instskip(SKIP_2) | instid1(VALU_DEP_1)
	v_rcp_iflag_f32_e32 v2, v2
	s_waitcnt_depctr 0xfff
	v_mul_f32_e32 v2, 0x4f7ffffe, v2
	v_cvt_u32_f32_e32 v2, v2
	s_delay_alu instid0(VALU_DEP_1) | instskip(NEXT) | instid1(VALU_DEP_1)
	v_mul_lo_u32 v15, s1, v2
	v_mul_hi_u32 v15, v2, v15
	s_delay_alu instid0(VALU_DEP_1) | instskip(NEXT) | instid1(VALU_DEP_1)
	v_add_nc_u32_e32 v2, v2, v15
	v_mul_hi_u32 v2, v17, v2
	s_delay_alu instid0(VALU_DEP_1) | instskip(SKIP_1) | instid1(VALU_DEP_2)
	v_mul_lo_u32 v15, v2, s20
	v_add_nc_u32_e32 v16, 1, v2
	v_sub_nc_u32_e32 v15, v17, v15
	s_delay_alu instid0(VALU_DEP_1) | instskip(SKIP_1) | instid1(VALU_DEP_2)
	v_subrev_nc_u32_e32 v17, s20, v15
	v_cmp_le_u32_e32 vcc_lo, s20, v15
	v_dual_cndmask_b32 v15, v15, v17 :: v_dual_cndmask_b32 v2, v2, v16
	s_delay_alu instid0(VALU_DEP_1) | instskip(NEXT) | instid1(VALU_DEP_2)
	v_cmp_le_u32_e32 vcc_lo, s20, v15
	v_add_nc_u32_e32 v16, 1, v2
	s_delay_alu instid0(VALU_DEP_1)
	v_dual_cndmask_b32 v15, v2, v16 :: v_dual_mov_b32 v16, v1
.LBB21_20:                              ;   in Loop: Header=BB21_4 Depth=1
	s_or_b32 exec_lo, exec_lo, s0
	v_mul_lo_u32 v2, s56, v11
	v_mul_lo_u32 v21, s55, v12
	v_mad_u64_u32 v[17:18], null, s55, v11, 0
	v_mul_lo_u32 v24, v12, s33
	v_mul_lo_u32 v25, v11, s42
	v_mad_u64_u32 v[19:20], null, v11, s33, 0
	v_mul_lo_u32 v26, v16, s20
	v_mul_lo_u32 v27, v15, s21
	v_add3_u32 v18, v18, v21, v2
	v_sub_co_u32 v2, vcc_lo, v17, v15
	v_mad_u64_u32 v[21:22], null, v15, s20, 0
	s_delay_alu instid0(VALU_DEP_3) | instskip(NEXT) | instid1(VALU_DEP_3)
	v_sub_co_ci_u32_e32 v23, vcc_lo, v18, v16, vcc_lo
	v_mul_lo_u32 v28, s21, v2
	v_mad_u64_u32 v[17:18], null, s20, v2, 0
	s_delay_alu instid0(VALU_DEP_3)
	v_mul_lo_u32 v29, s20, v23
	v_add3_u32 v20, v20, v25, v24
	v_add3_u32 v22, v22, v27, v26
	v_cmp_lt_i64_e32 vcc_lo, 0, v[15:16]
	v_cmp_ge_i64_e64 s0, s[12:13], v[15:16]
	v_add_co_u32 v24, s1, v3, v17
	v_add3_u32 v18, v18, v29, v28
	s_delay_alu instid0(VALU_DEP_3) | instskip(NEXT) | instid1(VALU_DEP_1)
	s_and_b32 s0, vcc_lo, s0
	v_add_co_ci_u32_e64 v25, s1, v4, v18, s1
	v_sub_co_u32 v19, s1, v3, v19
	s_delay_alu instid0(VALU_DEP_1) | instskip(SKIP_1) | instid1(VALU_DEP_4)
	v_sub_co_ci_u32_e64 v20, s1, v4, v20, s1
	v_cmp_eq_u64_e64 s1, v[17:18], v[5:6]
	v_cmp_lt_i64_e64 s2, s[10:11], v[24:25]
	v_cmp_gt_i64_e64 s3, s[28:29], v[24:25]
	v_cmp_le_i64_e64 s4, s[30:31], v[24:25]
	v_sub_co_u32 v25, s5, v19, v21
	s_delay_alu instid0(VALU_DEP_1) | instskip(SKIP_2) | instid1(VALU_DEP_4)
	v_sub_co_ci_u32_e64 v26, s5, v20, v22, s5
	v_mov_b32_e32 v24, 0
	s_or_b32 s5, s1, s2
	s_and_b32 s2, s3, s4
	s_and_saveexec_b32 s3, s0
	s_cbranch_execz .LBB21_30
; %bb.21:                               ;   in Loop: Header=BB21_4 Depth=1
	v_sub_co_u32 v21, vcc_lo, s12, v15
	v_sub_co_ci_u32_e32 v19, vcc_lo, s13, v16, vcc_lo
	s_mov_b32 s0, exec_lo
	s_delay_alu instid0(VALU_DEP_2) | instskip(NEXT) | instid1(VALU_DEP_2)
	v_mul_lo_u32 v24, v21, s45
	v_mul_lo_u32 v22, v19, s44
	v_mad_u64_u32 v[19:20], null, v21, s44, 0
	s_delay_alu instid0(VALU_DEP_1) | instskip(NEXT) | instid1(VALU_DEP_2)
	v_add3_u32 v20, v20, v24, v22
	v_add_co_u32 v21, vcc_lo, v17, v19
	s_delay_alu instid0(VALU_DEP_2) | instskip(SKIP_2) | instid1(VALU_DEP_2)
	v_add_co_ci_u32_e32 v22, vcc_lo, v18, v20, vcc_lo
	v_add_co_u32 v24, vcc_lo, s10, v3
	v_add_co_ci_u32_e32 v27, vcc_lo, s11, v4, vcc_lo
	v_add_co_u32 v21, vcc_lo, v24, v21
	s_delay_alu instid0(VALU_DEP_2) | instskip(SKIP_1) | instid1(VALU_DEP_2)
	v_add_co_ci_u32_e32 v22, vcc_lo, v27, v22, vcc_lo
	v_mov_b32_e32 v24, 0
	v_cmpx_gt_i64_e64 s[14:15], v[21:22]
	s_cbranch_execz .LBB21_23
; %bb.22:                               ;   in Loop: Header=BB21_4 Depth=1
	v_mul_lo_u32 v24, s47, v9
	v_mul_lo_u32 v31, s52, v10
	v_mad_u64_u32 v[27:28], null, s52, v9, 0
	v_mul_lo_u32 v32, v14, s14
	v_mul_lo_u32 v33, v13, s15
	v_mad_u64_u32 v[29:30], null, v13, s14, 0
	v_lshlrev_b64 v[21:22], 1, v[21:22]
	v_add3_u32 v28, v28, v31, v24
	s_delay_alu instid0(VALU_DEP_3) | instskip(NEXT) | instid1(VALU_DEP_2)
	v_add3_u32 v30, v30, v33, v32
	v_lshlrev_b64 v[27:28], 1, v[27:28]
	s_delay_alu instid0(VALU_DEP_2) | instskip(NEXT) | instid1(VALU_DEP_2)
	v_lshlrev_b64 v[29:30], 1, v[29:30]
	v_add_co_u32 v24, vcc_lo, s18, v27
	s_delay_alu instid0(VALU_DEP_3) | instskip(NEXT) | instid1(VALU_DEP_2)
	v_add_co_ci_u32_e32 v27, vcc_lo, s19, v28, vcc_lo
	v_add_co_u32 v24, vcc_lo, v24, v29
	s_delay_alu instid0(VALU_DEP_2) | instskip(NEXT) | instid1(VALU_DEP_2)
	v_add_co_ci_u32_e32 v27, vcc_lo, v27, v30, vcc_lo
	v_add_co_u32 v21, vcc_lo, v24, v21
	s_delay_alu instid0(VALU_DEP_2) | instskip(SKIP_3) | instid1(VALU_DEP_1)
	v_add_co_ci_u32_e32 v22, vcc_lo, v27, v22, vcc_lo
	global_load_u16 v21, v[21:22], off
	s_waitcnt vmcnt(0)
	v_lshlrev_b32_e32 v21, 16, v21
	v_add_f32_e32 v22, 0, v21
	v_cmp_o_f32_e32 vcc_lo, v21, v21
	s_delay_alu instid0(VALU_DEP_2) | instskip(NEXT) | instid1(VALU_DEP_1)
	v_bfe_u32 v24, v22, 16, 1
	v_add3_u32 v22, v22, v24, 0x7fff
	s_delay_alu instid0(VALU_DEP_1) | instskip(NEXT) | instid1(VALU_DEP_1)
	v_lshrrev_b32_e32 v22, 16, v22
	v_cndmask_b32_e32 v24, 0x7fc0, v22, vcc_lo
.LBB21_23:                              ;   in Loop: Header=BB21_4 Depth=1
	s_or_b32 exec_lo, exec_lo, s0
	s_mov_b32 s1, 0
                                        ; implicit-def: $vgpr21_vgpr22
	s_and_saveexec_b32 s0, s5
	s_delay_alu instid0(SALU_CYCLE_1)
	s_xor_b32 s4, exec_lo, s0
	s_cbranch_execz .LBB21_49
; %bb.24:                               ;   in Loop: Header=BB21_4 Depth=1
	s_mov_b32 s0, 0
                                        ; implicit-def: $vgpr21_vgpr22
	s_and_saveexec_b32 s1, s2
	s_delay_alu instid0(SALU_CYCLE_1)
	s_xor_b32 s62, exec_lo, s1
	s_cbranch_execz .LBB21_26
; %bb.25:                               ;   in Loop: Header=BB21_4 Depth=1
	v_mad_u64_u32 v[21:22], null, s22, v11, v[15:16]
	v_mul_lo_u32 v27, s22, v12
	v_mul_lo_u32 v28, s23, v11
	s_delay_alu instid0(VALU_DEP_1) | instskip(NEXT) | instid1(VALU_DEP_4)
	v_add3_u32 v22, v28, v22, v27
	v_add_co_u32 v27, vcc_lo, v21, 2
	s_delay_alu instid0(VALU_DEP_2) | instskip(NEXT) | instid1(VALU_DEP_2)
	v_add_co_ci_u32_e32 v28, vcc_lo, 0, v22, vcc_lo
	v_mul_lo_u32 v29, s21, v27
	v_mad_u64_u32 v[21:22], null, s20, v27, v[19:20]
	s_delay_alu instid0(VALU_DEP_3) | instskip(SKIP_2) | instid1(VALU_DEP_2)
	v_mul_lo_u32 v27, s20, v28
	v_add_co_u32 v28, vcc_lo, s10, v5
	v_add_co_ci_u32_e32 v30, vcc_lo, s11, v6, vcc_lo
	v_add_co_u32 v21, vcc_lo, v28, v21
	s_delay_alu instid0(VALU_DEP_4) | instskip(NEXT) | instid1(VALU_DEP_1)
	v_add3_u32 v22, v29, v22, v27
	v_add_co_ci_u32_e32 v22, vcc_lo, v30, v22, vcc_lo
	s_delay_alu instid0(VALU_DEP_3) | instskip(NEXT) | instid1(VALU_DEP_2)
	v_add_co_u32 v21, vcc_lo, v21, -2
	v_add_co_ci_u32_e32 v22, vcc_lo, -1, v22, vcc_lo
	v_sub_co_u32 v27, vcc_lo, s48, v25
	v_sub_co_ci_u32_e32 v28, vcc_lo, s49, v26, vcc_lo
	s_delay_alu instid0(VALU_DEP_3) | instskip(SKIP_1) | instid1(VALU_DEP_4)
	v_cmp_lt_i64_e32 vcc_lo, -1, v[21:22]
	v_cmp_gt_i64_e64 s0, s[14:15], v[21:22]
	v_add_co_u32 v21, s1, v27, v19
	s_delay_alu instid0(VALU_DEP_1) | instskip(NEXT) | instid1(VALU_DEP_3)
	v_add_co_ci_u32_e64 v22, s1, v28, v20, s1
	s_and_b32 s0, vcc_lo, s0
	s_delay_alu instid0(SALU_CYCLE_1)
	s_and_b32 s0, s0, exec_lo
.LBB21_26:                              ;   in Loop: Header=BB21_4 Depth=1
	s_or_b32 exec_lo, exec_lo, s62
	s_delay_alu instid0(SALU_CYCLE_1)
	s_and_b32 s1, s0, exec_lo
                                        ; implicit-def: $vgpr19_vgpr20
	s_and_not1_saveexec_b32 s4, s4
	s_cbranch_execnz .LBB21_50
.LBB21_27:                              ;   in Loop: Header=BB21_4 Depth=1
	s_or_b32 exec_lo, exec_lo, s4
	s_and_saveexec_b32 s0, s1
	s_cbranch_execz .LBB21_29
.LBB21_28:                              ;   in Loop: Header=BB21_4 Depth=1
	v_mul_lo_u32 v29, s47, v9
	v_mul_lo_u32 v30, s52, v10
	v_mad_u64_u32 v[19:20], null, s52, v9, 0
	v_mul_lo_u32 v31, v14, s14
	v_mul_lo_u32 v32, v13, s15
	v_mad_u64_u32 v[27:28], null, v13, s14, 0
	s_delay_alu instid0(VALU_DEP_4) | instskip(NEXT) | instid1(VALU_DEP_2)
	v_add3_u32 v20, v20, v30, v29
	v_add3_u32 v28, v28, v32, v31
	s_delay_alu instid0(VALU_DEP_2) | instskip(NEXT) | instid1(VALU_DEP_2)
	v_lshlrev_b64 v[19:20], 1, v[19:20]
	v_lshlrev_b64 v[27:28], 1, v[27:28]
	s_delay_alu instid0(VALU_DEP_2) | instskip(NEXT) | instid1(VALU_DEP_3)
	v_add_co_u32 v29, vcc_lo, s18, v19
	v_add_co_ci_u32_e32 v30, vcc_lo, s19, v20, vcc_lo
	v_lshlrev_b64 v[19:20], 1, v[21:22]
	s_delay_alu instid0(VALU_DEP_3) | instskip(NEXT) | instid1(VALU_DEP_3)
	v_add_co_u32 v21, vcc_lo, v29, v27
	v_add_co_ci_u32_e32 v22, vcc_lo, v30, v28, vcc_lo
	s_delay_alu instid0(VALU_DEP_2) | instskip(NEXT) | instid1(VALU_DEP_2)
	v_add_co_u32 v19, vcc_lo, v21, v19
	v_add_co_ci_u32_e32 v20, vcc_lo, v22, v20, vcc_lo
	global_load_u16 v19, v[19:20], off
	v_lshlrev_b32_e32 v20, 16, v24
	s_waitcnt vmcnt(0)
	v_lshlrev_b32_e32 v19, 16, v19
	s_delay_alu instid0(VALU_DEP_1) | instskip(NEXT) | instid1(VALU_DEP_1)
	v_add_f32_e32 v19, v20, v19
	v_bfe_u32 v20, v19, 16, 1
	v_cmp_o_f32_e32 vcc_lo, v19, v19
	s_delay_alu instid0(VALU_DEP_2) | instskip(NEXT) | instid1(VALU_DEP_1)
	v_add3_u32 v20, v19, v20, 0x7fff
	v_lshrrev_b32_e32 v20, 16, v20
	s_delay_alu instid0(VALU_DEP_1)
	v_cndmask_b32_e32 v24, 0x7fc0, v20, vcc_lo
.LBB21_29:                              ;   in Loop: Header=BB21_4 Depth=1
	s_or_b32 exec_lo, exec_lo, s0
.LBB21_30:                              ;   in Loop: Header=BB21_4 Depth=1
	s_delay_alu instid0(SALU_CYCLE_1) | instskip(SKIP_2) | instid1(VALU_DEP_1)
	s_or_b32 exec_lo, exec_lo, s3
	v_cmp_gt_i64_e32 vcc_lo, s[24:25], v[15:16]
	v_cmp_le_i64_e64 s0, s[26:27], v[15:16]
	s_and_b32 s0, vcc_lo, s0
	s_delay_alu instid0(SALU_CYCLE_1)
	s_and_saveexec_b32 s3, s0
	s_cbranch_execz .LBB21_40
; %bb.31:                               ;   in Loop: Header=BB21_4 Depth=1
	v_sub_co_u32 v21, vcc_lo, s50, v15
	v_sub_co_ci_u32_e32 v19, vcc_lo, s51, v16, vcc_lo
	s_delay_alu instid0(VALU_DEP_2) | instskip(NEXT) | instid1(VALU_DEP_2)
	v_mul_lo_u32 v22, s45, v21
	v_mul_lo_u32 v27, s44, v19
	v_mad_u64_u32 v[19:20], null, s44, v21, 0
	v_add_co_u32 v21, vcc_lo, s10, v3
	s_delay_alu instid0(VALU_DEP_2) | instskip(SKIP_1) | instid1(VALU_DEP_4)
	v_add3_u32 v20, v20, v27, v22
	v_add_co_ci_u32_e32 v22, vcc_lo, s11, v4, vcc_lo
	v_add_co_u32 v27, vcc_lo, v19, v17
	s_delay_alu instid0(VALU_DEP_3) | instskip(NEXT) | instid1(VALU_DEP_2)
	v_add_co_ci_u32_e32 v28, vcc_lo, v20, v18, vcc_lo
	v_add_co_u32 v21, vcc_lo, v21, v27
	s_delay_alu instid0(VALU_DEP_2) | instskip(NEXT) | instid1(VALU_DEP_1)
	v_add_co_ci_u32_e32 v22, vcc_lo, v22, v28, vcc_lo
	v_cmp_lt_i64_e32 vcc_lo, -1, v[21:22]
	v_cmp_gt_i64_e64 s0, s[14:15], v[21:22]
	s_delay_alu instid0(VALU_DEP_1) | instskip(NEXT) | instid1(SALU_CYCLE_1)
	s_and_b32 s1, vcc_lo, s0
	s_and_saveexec_b32 s0, s1
	s_cbranch_execz .LBB21_33
; %bb.32:                               ;   in Loop: Header=BB21_4 Depth=1
	v_mul_lo_u32 v31, s47, v9
	v_mul_lo_u32 v32, s52, v10
	v_mad_u64_u32 v[27:28], null, s52, v9, 0
	v_mul_lo_u32 v33, v14, s14
	v_mul_lo_u32 v34, v13, s15
	v_mad_u64_u32 v[29:30], null, v13, s14, 0
	v_lshlrev_b64 v[21:22], 1, v[21:22]
	v_add3_u32 v28, v28, v32, v31
	s_delay_alu instid0(VALU_DEP_3) | instskip(NEXT) | instid1(VALU_DEP_2)
	v_add3_u32 v30, v30, v34, v33
	v_lshlrev_b64 v[27:28], 1, v[27:28]
	s_delay_alu instid0(VALU_DEP_2) | instskip(NEXT) | instid1(VALU_DEP_2)
	v_lshlrev_b64 v[29:30], 1, v[29:30]
	v_add_co_u32 v27, vcc_lo, s18, v27
	s_delay_alu instid0(VALU_DEP_3) | instskip(NEXT) | instid1(VALU_DEP_2)
	v_add_co_ci_u32_e32 v28, vcc_lo, s19, v28, vcc_lo
	v_add_co_u32 v27, vcc_lo, v27, v29
	s_delay_alu instid0(VALU_DEP_2) | instskip(NEXT) | instid1(VALU_DEP_2)
	v_add_co_ci_u32_e32 v28, vcc_lo, v28, v30, vcc_lo
	v_add_co_u32 v21, vcc_lo, v27, v21
	s_delay_alu instid0(VALU_DEP_2) | instskip(SKIP_4) | instid1(VALU_DEP_1)
	v_add_co_ci_u32_e32 v22, vcc_lo, v28, v22, vcc_lo
	global_load_u16 v21, v[21:22], off
	v_lshlrev_b32_e32 v22, 16, v24
	s_waitcnt vmcnt(0)
	v_lshlrev_b32_e32 v21, 16, v21
	v_add_f32_e32 v21, v22, v21
	s_delay_alu instid0(VALU_DEP_1) | instskip(SKIP_1) | instid1(VALU_DEP_2)
	v_bfe_u32 v22, v21, 16, 1
	v_cmp_o_f32_e32 vcc_lo, v21, v21
	v_add3_u32 v22, v21, v22, 0x7fff
	s_delay_alu instid0(VALU_DEP_1) | instskip(NEXT) | instid1(VALU_DEP_1)
	v_lshrrev_b32_e32 v22, 16, v22
	v_cndmask_b32_e32 v24, 0x7fc0, v22, vcc_lo
.LBB21_33:                              ;   in Loop: Header=BB21_4 Depth=1
	s_or_b32 exec_lo, exec_lo, s0
	s_mov_b32 s1, 0
                                        ; implicit-def: $vgpr21_vgpr22
	s_and_saveexec_b32 s0, s5
	s_delay_alu instid0(SALU_CYCLE_1)
	s_xor_b32 s4, exec_lo, s0
	s_cbranch_execz .LBB21_51
; %bb.34:                               ;   in Loop: Header=BB21_4 Depth=1
	s_mov_b32 s0, 0
                                        ; implicit-def: $vgpr21_vgpr22
	s_and_saveexec_b32 s1, s2
	s_delay_alu instid0(SALU_CYCLE_1)
	s_xor_b32 s62, exec_lo, s1
	s_cbranch_execz .LBB21_36
; %bb.35:                               ;   in Loop: Header=BB21_4 Depth=1
	v_mad_u64_u32 v[21:22], null, s22, v11, v[15:16]
	v_mul_lo_u32 v27, s22, v12
	v_mul_lo_u32 v28, s23, v11
	s_delay_alu instid0(VALU_DEP_1) | instskip(NEXT) | instid1(VALU_DEP_4)
	v_add3_u32 v22, v28, v22, v27
	v_add_co_u32 v27, vcc_lo, v21, 2
	s_delay_alu instid0(VALU_DEP_2) | instskip(NEXT) | instid1(VALU_DEP_2)
	v_add_co_ci_u32_e32 v28, vcc_lo, 0, v22, vcc_lo
	v_mul_lo_u32 v29, s21, v27
	v_mad_u64_u32 v[21:22], null, s20, v27, v[19:20]
	s_delay_alu instid0(VALU_DEP_3) | instskip(SKIP_2) | instid1(VALU_DEP_2)
	v_mul_lo_u32 v27, s20, v28
	v_add_co_u32 v28, vcc_lo, s10, v5
	v_add_co_ci_u32_e32 v30, vcc_lo, s11, v6, vcc_lo
	v_add_co_u32 v21, vcc_lo, v28, v21
	s_delay_alu instid0(VALU_DEP_4) | instskip(NEXT) | instid1(VALU_DEP_1)
	v_add3_u32 v22, v29, v22, v27
	v_add_co_ci_u32_e32 v22, vcc_lo, v30, v22, vcc_lo
	s_delay_alu instid0(VALU_DEP_3) | instskip(NEXT) | instid1(VALU_DEP_2)
	v_add_co_u32 v21, vcc_lo, v21, -2
	v_add_co_ci_u32_e32 v22, vcc_lo, -1, v22, vcc_lo
	v_add_co_u32 v19, vcc_lo, s53, v19
	v_add_co_ci_u32_e32 v20, vcc_lo, s54, v20, vcc_lo
	s_delay_alu instid0(VALU_DEP_3) | instskip(SKIP_1) | instid1(VALU_DEP_4)
	v_cmp_lt_i64_e32 vcc_lo, -1, v[21:22]
	v_cmp_gt_i64_e64 s0, s[14:15], v[21:22]
	v_sub_co_u32 v21, s1, v19, v25
	s_delay_alu instid0(VALU_DEP_1) | instskip(NEXT) | instid1(VALU_DEP_3)
	v_sub_co_ci_u32_e64 v22, s1, v20, v26, s1
	s_and_b32 s0, vcc_lo, s0
	s_delay_alu instid0(SALU_CYCLE_1)
	s_and_b32 s0, s0, exec_lo
.LBB21_36:                              ;   in Loop: Header=BB21_4 Depth=1
	s_or_b32 exec_lo, exec_lo, s62
	s_delay_alu instid0(SALU_CYCLE_1)
	s_and_b32 s1, s0, exec_lo
                                        ; implicit-def: $vgpr19_vgpr20
	s_and_not1_saveexec_b32 s4, s4
	s_cbranch_execnz .LBB21_52
.LBB21_37:                              ;   in Loop: Header=BB21_4 Depth=1
	s_or_b32 exec_lo, exec_lo, s4
	s_and_saveexec_b32 s0, s1
	s_cbranch_execz .LBB21_39
.LBB21_38:                              ;   in Loop: Header=BB21_4 Depth=1
	v_mul_lo_u32 v27, s47, v9
	v_mul_lo_u32 v28, s52, v10
	v_mad_u64_u32 v[19:20], null, s52, v9, 0
	v_mul_lo_u32 v29, v14, s14
	v_mul_lo_u32 v30, v13, s15
	v_mad_u64_u32 v[25:26], null, v13, s14, 0
	s_delay_alu instid0(VALU_DEP_4) | instskip(NEXT) | instid1(VALU_DEP_2)
	v_add3_u32 v20, v20, v28, v27
	v_add3_u32 v26, v26, v30, v29
	s_delay_alu instid0(VALU_DEP_2) | instskip(NEXT) | instid1(VALU_DEP_2)
	v_lshlrev_b64 v[19:20], 1, v[19:20]
	v_lshlrev_b64 v[25:26], 1, v[25:26]
	s_delay_alu instid0(VALU_DEP_2) | instskip(NEXT) | instid1(VALU_DEP_3)
	v_add_co_u32 v27, vcc_lo, s18, v19
	v_add_co_ci_u32_e32 v28, vcc_lo, s19, v20, vcc_lo
	v_lshlrev_b64 v[19:20], 1, v[21:22]
	s_delay_alu instid0(VALU_DEP_3) | instskip(NEXT) | instid1(VALU_DEP_3)
	v_add_co_u32 v21, vcc_lo, v27, v25
	v_add_co_ci_u32_e32 v22, vcc_lo, v28, v26, vcc_lo
	s_delay_alu instid0(VALU_DEP_2) | instskip(NEXT) | instid1(VALU_DEP_2)
	v_add_co_u32 v19, vcc_lo, v21, v19
	v_add_co_ci_u32_e32 v20, vcc_lo, v22, v20, vcc_lo
	global_load_u16 v19, v[19:20], off
	v_lshlrev_b32_e32 v20, 16, v24
	s_waitcnt vmcnt(0)
	v_lshlrev_b32_e32 v19, 16, v19
	s_delay_alu instid0(VALU_DEP_1) | instskip(NEXT) | instid1(VALU_DEP_1)
	v_add_f32_e32 v19, v20, v19
	v_bfe_u32 v20, v19, 16, 1
	v_cmp_o_f32_e32 vcc_lo, v19, v19
	s_delay_alu instid0(VALU_DEP_2) | instskip(NEXT) | instid1(VALU_DEP_1)
	v_add3_u32 v20, v19, v20, 0x7fff
	v_lshrrev_b32_e32 v20, 16, v20
	s_delay_alu instid0(VALU_DEP_1)
	v_cndmask_b32_e32 v24, 0x7fc0, v20, vcc_lo
.LBB21_39:                              ;   in Loop: Header=BB21_4 Depth=1
	s_or_b32 exec_lo, exec_lo, s0
.LBB21_40:                              ;   in Loop: Header=BB21_4 Depth=1
	s_delay_alu instid0(SALU_CYCLE_1) | instskip(SKIP_1) | instid1(SALU_CYCLE_1)
	s_or_b32 exec_lo, exec_lo, s3
                                        ; implicit-def: $vgpr19_vgpr20
	s_and_saveexec_b32 s0, s5
	s_xor_b32 s0, exec_lo, s0
	s_cbranch_execz .LBB21_43
; %bb.41:                               ;   in Loop: Header=BB21_4 Depth=1
	v_add_co_u32 v17, vcc_lo, v15, s12
	v_add_co_ci_u32_e32 v18, vcc_lo, s13, v16, vcc_lo
	s_delay_alu instid0(VALU_DEP_2) | instskip(SKIP_1) | instid1(VALU_DEP_3)
	v_mul_lo_u32 v21, v17, s45
	v_mad_u64_u32 v[19:20], null, v17, s44, 0
	v_mul_lo_u32 v18, v18, s44
	s_delay_alu instid0(VALU_DEP_1)
	v_add3_u32 v20, v20, v21, v18
                                        ; implicit-def: $vgpr17_vgpr18
	s_and_not1_saveexec_b32 s1, s0
	s_cbranch_execnz .LBB21_44
.LBB21_42:                              ;   in Loop: Header=BB21_4 Depth=1
	s_or_b32 exec_lo, exec_lo, s1
	s_and_saveexec_b32 s1, s2
	s_cbranch_execz .LBB21_3
	s_branch .LBB21_47
.LBB21_43:                              ;   in Loop: Header=BB21_4 Depth=1
	s_and_not1_saveexec_b32 s1, s0
	s_cbranch_execz .LBB21_42
.LBB21_44:                              ;   in Loop: Header=BB21_4 Depth=1
	v_add_co_u32 v21, vcc_lo, v15, s12
	v_add_co_ci_u32_e32 v19, vcc_lo, s13, v16, vcc_lo
	s_delay_alu instid0(VALU_DEP_2) | instskip(NEXT) | instid1(VALU_DEP_2)
	v_mul_lo_u32 v25, v21, s45
	v_mul_lo_u32 v22, v19, s44
	v_mad_u64_u32 v[19:20], null, v21, s44, 0
	v_add_co_u32 v21, vcc_lo, s10, v5
	s_delay_alu instid0(VALU_DEP_2) | instskip(SKIP_1) | instid1(VALU_DEP_4)
	v_add3_u32 v20, v20, v25, v22
	v_add_co_ci_u32_e32 v22, vcc_lo, s11, v6, vcc_lo
	v_sub_co_u32 v17, vcc_lo, v19, v17
	s_delay_alu instid0(VALU_DEP_3) | instskip(NEXT) | instid1(VALU_DEP_2)
	v_sub_co_ci_u32_e32 v18, vcc_lo, v20, v18, vcc_lo
	v_add_co_u32 v17, vcc_lo, v21, v17
	s_delay_alu instid0(VALU_DEP_2) | instskip(NEXT) | instid1(VALU_DEP_1)
	v_add_co_ci_u32_e32 v18, vcc_lo, v22, v18, vcc_lo
	v_cmp_lt_i64_e32 vcc_lo, -1, v[17:18]
	v_cmp_gt_i64_e64 s0, s[14:15], v[17:18]
	s_delay_alu instid0(VALU_DEP_1) | instskip(NEXT) | instid1(SALU_CYCLE_1)
	s_and_b32 s3, vcc_lo, s0
	s_and_saveexec_b32 s0, s3
	s_cbranch_execz .LBB21_46
; %bb.45:                               ;   in Loop: Header=BB21_4 Depth=1
	v_mul_lo_u32 v27, s47, v9
	v_mul_lo_u32 v28, s52, v10
	v_mad_u64_u32 v[21:22], null, s52, v9, 0
	v_mul_lo_u32 v29, v14, s14
	v_mul_lo_u32 v30, v13, s15
	v_mad_u64_u32 v[25:26], null, v13, s14, 0
	v_lshlrev_b64 v[17:18], 1, v[17:18]
	v_add3_u32 v22, v22, v28, v27
	s_delay_alu instid0(VALU_DEP_3) | instskip(NEXT) | instid1(VALU_DEP_2)
	v_add3_u32 v26, v26, v30, v29
	v_lshlrev_b64 v[21:22], 1, v[21:22]
	s_delay_alu instid0(VALU_DEP_2) | instskip(NEXT) | instid1(VALU_DEP_2)
	v_lshlrev_b64 v[25:26], 1, v[25:26]
	v_add_co_u32 v21, vcc_lo, s18, v21
	s_delay_alu instid0(VALU_DEP_3) | instskip(NEXT) | instid1(VALU_DEP_2)
	v_add_co_ci_u32_e32 v22, vcc_lo, s19, v22, vcc_lo
	v_add_co_u32 v21, vcc_lo, v21, v25
	s_delay_alu instid0(VALU_DEP_2) | instskip(NEXT) | instid1(VALU_DEP_2)
	v_add_co_ci_u32_e32 v22, vcc_lo, v22, v26, vcc_lo
	v_add_co_u32 v17, vcc_lo, v21, v17
	s_delay_alu instid0(VALU_DEP_2) | instskip(SKIP_4) | instid1(VALU_DEP_1)
	v_add_co_ci_u32_e32 v18, vcc_lo, v22, v18, vcc_lo
	global_load_u16 v17, v[17:18], off
	v_lshlrev_b32_e32 v18, 16, v24
	s_waitcnt vmcnt(0)
	v_lshlrev_b32_e32 v17, 16, v17
	v_add_f32_e32 v17, v18, v17
	s_delay_alu instid0(VALU_DEP_1) | instskip(SKIP_1) | instid1(VALU_DEP_2)
	v_bfe_u32 v18, v17, 16, 1
	v_cmp_o_f32_e32 vcc_lo, v17, v17
	v_add3_u32 v18, v17, v18, 0x7fff
	s_delay_alu instid0(VALU_DEP_1) | instskip(NEXT) | instid1(VALU_DEP_1)
	v_lshrrev_b32_e32 v18, 16, v18
	v_cndmask_b32_e32 v24, 0x7fc0, v18, vcc_lo
.LBB21_46:                              ;   in Loop: Header=BB21_4 Depth=1
	s_or_b32 exec_lo, exec_lo, s0
	s_delay_alu instid0(SALU_CYCLE_1)
	s_or_b32 exec_lo, exec_lo, s1
	s_and_saveexec_b32 s1, s2
	s_cbranch_execz .LBB21_3
.LBB21_47:                              ;   in Loop: Header=BB21_4 Depth=1
	v_mad_u64_u32 v[17:18], null, s22, v11, v[15:16]
	v_mul_lo_u32 v12, s22, v12
	v_mul_lo_u32 v11, s23, v11
	s_delay_alu instid0(VALU_DEP_3) | instskip(NEXT) | instid1(VALU_DEP_2)
	v_add_co_u32 v15, vcc_lo, v17, 2
	v_add3_u32 v11, v11, v18, v12
	s_delay_alu instid0(VALU_DEP_2) | instskip(NEXT) | instid1(VALU_DEP_2)
	v_mul_lo_u32 v17, s21, v15
	v_add_co_ci_u32_e32 v16, vcc_lo, 0, v11, vcc_lo
	v_mad_u64_u32 v[11:12], null, s20, v15, v[19:20]
	s_delay_alu instid0(VALU_DEP_2) | instskip(SKIP_2) | instid1(VALU_DEP_2)
	v_mul_lo_u32 v15, s20, v16
	v_add_co_u32 v16, vcc_lo, s10, v5
	v_add_co_ci_u32_e32 v18, vcc_lo, s11, v6, vcc_lo
	v_add_co_u32 v11, vcc_lo, v16, v11
	s_delay_alu instid0(VALU_DEP_4) | instskip(NEXT) | instid1(VALU_DEP_1)
	v_add3_u32 v12, v17, v12, v15
	v_add_co_ci_u32_e32 v12, vcc_lo, v18, v12, vcc_lo
	s_delay_alu instid0(VALU_DEP_3) | instskip(NEXT) | instid1(VALU_DEP_2)
	v_add_co_u32 v11, vcc_lo, v11, -2
	v_add_co_ci_u32_e32 v12, vcc_lo, -1, v12, vcc_lo
	s_delay_alu instid0(VALU_DEP_1) | instskip(SKIP_1) | instid1(VALU_DEP_1)
	v_cmp_lt_i64_e32 vcc_lo, -1, v[11:12]
	v_cmp_gt_i64_e64 s0, s[14:15], v[11:12]
	s_and_b32 s2, vcc_lo, s0
	s_delay_alu instid0(SALU_CYCLE_1)
	s_and_saveexec_b32 s0, s2
	s_cbranch_execz .LBB21_2
; %bb.48:                               ;   in Loop: Header=BB21_4 Depth=1
	v_mul_lo_u32 v21, s47, v9
	v_mul_lo_u32 v22, s52, v10
	v_mad_u64_u32 v[15:16], null, s52, v9, 0
	v_mul_lo_u32 v25, v14, s14
	v_mul_lo_u32 v26, v13, s15
	v_mad_u64_u32 v[17:18], null, v13, s14, 0
	v_lshlrev_b64 v[11:12], 1, v[11:12]
	v_add3_u32 v16, v16, v22, v21
	s_delay_alu instid0(VALU_DEP_3) | instskip(NEXT) | instid1(VALU_DEP_2)
	v_add3_u32 v18, v18, v26, v25
	v_lshlrev_b64 v[15:16], 1, v[15:16]
	s_delay_alu instid0(VALU_DEP_2) | instskip(NEXT) | instid1(VALU_DEP_2)
	v_lshlrev_b64 v[17:18], 1, v[17:18]
	v_add_co_u32 v15, vcc_lo, s18, v15
	s_delay_alu instid0(VALU_DEP_3) | instskip(NEXT) | instid1(VALU_DEP_2)
	v_add_co_ci_u32_e32 v16, vcc_lo, s19, v16, vcc_lo
	v_add_co_u32 v15, vcc_lo, v15, v17
	s_delay_alu instid0(VALU_DEP_2) | instskip(NEXT) | instid1(VALU_DEP_2)
	v_add_co_ci_u32_e32 v16, vcc_lo, v16, v18, vcc_lo
	v_add_co_u32 v11, vcc_lo, v15, v11
	s_delay_alu instid0(VALU_DEP_2) | instskip(SKIP_4) | instid1(VALU_DEP_1)
	v_add_co_ci_u32_e32 v12, vcc_lo, v16, v12, vcc_lo
	global_load_u16 v11, v[11:12], off
	v_lshlrev_b32_e32 v12, 16, v24
	s_waitcnt vmcnt(0)
	v_lshlrev_b32_e32 v11, 16, v11
	v_add_f32_e32 v11, v12, v11
	s_delay_alu instid0(VALU_DEP_1) | instskip(SKIP_1) | instid1(VALU_DEP_2)
	v_bfe_u32 v12, v11, 16, 1
	v_cmp_o_f32_e32 vcc_lo, v11, v11
	v_add3_u32 v12, v11, v12, 0x7fff
	s_delay_alu instid0(VALU_DEP_1) | instskip(NEXT) | instid1(VALU_DEP_1)
	v_lshrrev_b32_e32 v12, 16, v12
	v_cndmask_b32_e32 v24, 0x7fc0, v12, vcc_lo
	s_branch .LBB21_2
.LBB21_49:                              ;   in Loop: Header=BB21_4 Depth=1
	s_and_not1_saveexec_b32 s4, s4
	s_cbranch_execz .LBB21_27
.LBB21_50:                              ;   in Loop: Header=BB21_4 Depth=1
	v_sub_co_u32 v19, vcc_lo, v19, v17
	v_sub_co_ci_u32_e32 v20, vcc_lo, v20, v18, vcc_lo
	v_add_co_u32 v21, vcc_lo, s10, v5
	v_add_co_ci_u32_e32 v22, vcc_lo, s11, v6, vcc_lo
	s_and_not1_b32 s1, s1, exec_lo
	s_delay_alu instid0(VALU_DEP_2) | instskip(NEXT) | instid1(VALU_DEP_2)
	v_add_co_u32 v21, vcc_lo, v21, v19
	v_add_co_ci_u32_e32 v22, vcc_lo, v22, v20, vcc_lo
	s_delay_alu instid0(VALU_DEP_1) | instskip(SKIP_1) | instid1(VALU_DEP_1)
	v_cmp_lt_i64_e32 vcc_lo, -1, v[21:22]
	v_cmp_gt_i64_e64 s0, s[14:15], v[21:22]
	s_and_b32 s0, vcc_lo, s0
	s_delay_alu instid0(SALU_CYCLE_1) | instskip(NEXT) | instid1(SALU_CYCLE_1)
	s_and_b32 s0, s0, exec_lo
	s_or_b32 s1, s1, s0
	s_or_b32 exec_lo, exec_lo, s4
	s_and_saveexec_b32 s0, s1
	s_cbranch_execnz .LBB21_28
	s_branch .LBB21_29
.LBB21_51:                              ;   in Loop: Header=BB21_4 Depth=1
	s_and_not1_saveexec_b32 s4, s4
	s_cbranch_execz .LBB21_37
.LBB21_52:                              ;   in Loop: Header=BB21_4 Depth=1
	v_sub_co_u32 v19, vcc_lo, v19, v17
	v_sub_co_ci_u32_e32 v20, vcc_lo, v20, v18, vcc_lo
	v_add_co_u32 v21, vcc_lo, s10, v5
	v_add_co_ci_u32_e32 v22, vcc_lo, s11, v6, vcc_lo
	s_and_not1_b32 s1, s1, exec_lo
	s_delay_alu instid0(VALU_DEP_2) | instskip(NEXT) | instid1(VALU_DEP_2)
	v_add_co_u32 v21, vcc_lo, v21, v19
	v_add_co_ci_u32_e32 v22, vcc_lo, v22, v20, vcc_lo
	s_delay_alu instid0(VALU_DEP_1) | instskip(SKIP_1) | instid1(VALU_DEP_1)
	v_cmp_lt_i64_e32 vcc_lo, -1, v[21:22]
	v_cmp_gt_i64_e64 s0, s[14:15], v[21:22]
	s_and_b32 s0, vcc_lo, s0
	s_delay_alu instid0(SALU_CYCLE_1) | instskip(NEXT) | instid1(SALU_CYCLE_1)
	s_and_b32 s0, s0, exec_lo
	s_or_b32 s1, s1, s0
	s_or_b32 exec_lo, exec_lo, s4
	s_and_saveexec_b32 s0, s1
	s_cbranch_execnz .LBB21_38
	s_branch .LBB21_39
.LBB21_53:
	s_nop 0
	s_sendmsg sendmsg(MSG_DEALLOC_VGPRS)
	s_endpgm
	.section	.rodata,"a",@progbits
	.p2align	6, 0x0
	.amdhsa_kernel _ZN2at6native12_GLOBAL__N_140reflection_pad2d_backward_det_out_kernelIN3c108BFloat16EEEvPT_PKS5_lliiiiiii
		.amdhsa_group_segment_fixed_size 0
		.amdhsa_private_segment_fixed_size 0
		.amdhsa_kernarg_size 320
		.amdhsa_user_sgpr_count 15
		.amdhsa_user_sgpr_dispatch_ptr 0
		.amdhsa_user_sgpr_queue_ptr 0
		.amdhsa_user_sgpr_kernarg_segment_ptr 1
		.amdhsa_user_sgpr_dispatch_id 0
		.amdhsa_user_sgpr_private_segment_size 0
		.amdhsa_wavefront_size32 1
		.amdhsa_uses_dynamic_stack 0
		.amdhsa_enable_private_segment 0
		.amdhsa_system_sgpr_workgroup_id_x 1
		.amdhsa_system_sgpr_workgroup_id_y 0
		.amdhsa_system_sgpr_workgroup_id_z 0
		.amdhsa_system_sgpr_workgroup_info 0
		.amdhsa_system_vgpr_workitem_id 0
		.amdhsa_next_free_vgpr 35
		.amdhsa_next_free_sgpr 63
		.amdhsa_reserve_vcc 1
		.amdhsa_float_round_mode_32 0
		.amdhsa_float_round_mode_16_64 0
		.amdhsa_float_denorm_mode_32 3
		.amdhsa_float_denorm_mode_16_64 3
		.amdhsa_dx10_clamp 1
		.amdhsa_ieee_mode 1
		.amdhsa_fp16_overflow 0
		.amdhsa_workgroup_processor_mode 1
		.amdhsa_memory_ordered 1
		.amdhsa_forward_progress 0
		.amdhsa_shared_vgpr_count 0
		.amdhsa_exception_fp_ieee_invalid_op 0
		.amdhsa_exception_fp_denorm_src 0
		.amdhsa_exception_fp_ieee_div_zero 0
		.amdhsa_exception_fp_ieee_overflow 0
		.amdhsa_exception_fp_ieee_underflow 0
		.amdhsa_exception_fp_ieee_inexact 0
		.amdhsa_exception_int_div_zero 0
	.end_amdhsa_kernel
	.section	.text._ZN2at6native12_GLOBAL__N_140reflection_pad2d_backward_det_out_kernelIN3c108BFloat16EEEvPT_PKS5_lliiiiiii,"axG",@progbits,_ZN2at6native12_GLOBAL__N_140reflection_pad2d_backward_det_out_kernelIN3c108BFloat16EEEvPT_PKS5_lliiiiiii,comdat
.Lfunc_end21:
	.size	_ZN2at6native12_GLOBAL__N_140reflection_pad2d_backward_det_out_kernelIN3c108BFloat16EEEvPT_PKS5_lliiiiiii, .Lfunc_end21-_ZN2at6native12_GLOBAL__N_140reflection_pad2d_backward_det_out_kernelIN3c108BFloat16EEEvPT_PKS5_lliiiiiii
                                        ; -- End function
	.section	.AMDGPU.csdata,"",@progbits
; Kernel info:
; codeLenInByte = 7888
; NumSgprs: 65
; NumVgprs: 35
; ScratchSize: 0
; MemoryBound: 0
; FloatMode: 240
; IeeeMode: 1
; LDSByteSize: 0 bytes/workgroup (compile time only)
; SGPRBlocks: 8
; VGPRBlocks: 4
; NumSGPRsForWavesPerEU: 65
; NumVGPRsForWavesPerEU: 35
; Occupancy: 16
; WaveLimiterHint : 0
; COMPUTE_PGM_RSRC2:SCRATCH_EN: 0
; COMPUTE_PGM_RSRC2:USER_SGPR: 15
; COMPUTE_PGM_RSRC2:TRAP_HANDLER: 0
; COMPUTE_PGM_RSRC2:TGID_X_EN: 1
; COMPUTE_PGM_RSRC2:TGID_Y_EN: 0
; COMPUTE_PGM_RSRC2:TGID_Z_EN: 0
; COMPUTE_PGM_RSRC2:TIDIG_COMP_CNT: 0
	.section	.text._ZN2at6native12_GLOBAL__N_136reflection_pad2d_backward_out_kernelIN3c108BFloat16EEEvPT_PKS5_lliiiiiii,"axG",@progbits,_ZN2at6native12_GLOBAL__N_136reflection_pad2d_backward_out_kernelIN3c108BFloat16EEEvPT_PKS5_lliiiiiii,comdat
	.globl	_ZN2at6native12_GLOBAL__N_136reflection_pad2d_backward_out_kernelIN3c108BFloat16EEEvPT_PKS5_lliiiiiii ; -- Begin function _ZN2at6native12_GLOBAL__N_136reflection_pad2d_backward_out_kernelIN3c108BFloat16EEEvPT_PKS5_lliiiiiii
	.p2align	8
	.type	_ZN2at6native12_GLOBAL__N_136reflection_pad2d_backward_out_kernelIN3c108BFloat16EEEvPT_PKS5_lliiiiiii,@function
_ZN2at6native12_GLOBAL__N_136reflection_pad2d_backward_out_kernelIN3c108BFloat16EEEvPT_PKS5_lliiiiiii: ; @_ZN2at6native12_GLOBAL__N_136reflection_pad2d_backward_out_kernelIN3c108BFloat16EEEvPT_PKS5_lliiiiiii
; %bb.0:
	s_clause 0x2
	s_load_b32 s2, s[0:1], 0x4c
	s_load_b128 s[16:19], s[0:1], 0x20
	s_load_b256 s[4:11], s[0:1], 0x0
	s_waitcnt lgkmcnt(0)
	s_and_b32 s2, s2, 0xffff
	s_ashr_i32 s3, s18, 31
	s_add_u32 s27, s18, s8
	v_mad_u64_u32 v[1:2], null, s13, s2, v[0:1]
	s_addc_u32 s28, s3, s9
	s_ashr_i32 s2, s19, 31
	s_add_u32 s26, s27, s19
	s_addc_u32 s13, s28, s2
	s_ashr_i32 s21, s16, 31
	s_add_u32 s31, s16, s10
	;; [unrolled: 3-line block ×3, first 2 shown]
	s_addc_u32 s29, s33, s2
	s_mul_hi_u32 s2, s26, s30
	s_mul_i32 s12, s26, s29
	v_mov_b32_e32 v2, 0
	s_mul_i32 s17, s13, s30
	s_add_i32 s2, s2, s12
	s_mul_i32 s22, s26, s30
	s_add_i32 s23, s2, s17
	s_mov_b32 s12, exec_lo
	v_cmpx_gt_i64_e64 s[22:23], v[1:2]
	s_cbranch_execz .LBB22_10
; %bb.1:
	s_mov_b32 s2, s18
	s_mov_b32 s20, s16
	s_load_b128 s[16:19], s[0:1], 0x30
	s_mov_b32 s12, 0
	s_delay_alu instid0(SALU_CYCLE_1)
	s_cmp_lg_u64 s[12:13], 0
	s_cbranch_scc0 .LBB22_11
; %bb.2:
	s_ashr_i32 s22, s13, 31
	s_delay_alu instid0(SALU_CYCLE_1) | instskip(SKIP_2) | instid1(SALU_CYCLE_1)
	s_add_u32 s0, s26, s22
	s_mov_b32 s23, s22
	s_addc_u32 s1, s13, s22
	s_xor_b64 s[24:25], s[0:1], s[22:23]
	s_delay_alu instid0(SALU_CYCLE_1) | instskip(SKIP_3) | instid1(VALU_DEP_1)
	v_cvt_f32_u32_e32 v0, s24
	v_cvt_f32_u32_e32 v2, s25
	s_sub_u32 s0, 0, s24
	s_subb_u32 s1, 0, s25
	v_fmamk_f32 v0, v2, 0x4f800000, v0
	s_delay_alu instid0(VALU_DEP_1) | instskip(SKIP_2) | instid1(VALU_DEP_1)
	v_rcp_f32_e32 v0, v0
	s_waitcnt_depctr 0xfff
	v_mul_f32_e32 v0, 0x5f7ffffc, v0
	v_mul_f32_e32 v2, 0x2f800000, v0
	s_delay_alu instid0(VALU_DEP_1) | instskip(NEXT) | instid1(VALU_DEP_1)
	v_trunc_f32_e32 v2, v2
	v_fmamk_f32 v0, v2, 0xcf800000, v0
	v_cvt_u32_f32_e32 v2, v2
	s_delay_alu instid0(VALU_DEP_2) | instskip(NEXT) | instid1(VALU_DEP_2)
	v_cvt_u32_f32_e32 v0, v0
	v_mul_lo_u32 v3, s0, v2
	s_delay_alu instid0(VALU_DEP_2) | instskip(SKIP_1) | instid1(VALU_DEP_2)
	v_mul_hi_u32 v4, s0, v0
	v_mul_lo_u32 v5, s1, v0
	v_add_nc_u32_e32 v3, v4, v3
	v_mul_lo_u32 v4, s0, v0
	s_delay_alu instid0(VALU_DEP_2) | instskip(NEXT) | instid1(VALU_DEP_2)
	v_add_nc_u32_e32 v3, v3, v5
	v_mul_hi_u32 v5, v0, v4
	s_delay_alu instid0(VALU_DEP_2)
	v_mul_lo_u32 v6, v0, v3
	v_mul_hi_u32 v7, v0, v3
	v_mul_hi_u32 v8, v2, v4
	v_mul_lo_u32 v4, v2, v4
	v_mul_hi_u32 v9, v2, v3
	v_mul_lo_u32 v3, v2, v3
	v_add_co_u32 v5, vcc_lo, v5, v6
	v_add_co_ci_u32_e32 v6, vcc_lo, 0, v7, vcc_lo
	s_delay_alu instid0(VALU_DEP_2) | instskip(NEXT) | instid1(VALU_DEP_2)
	v_add_co_u32 v4, vcc_lo, v5, v4
	v_add_co_ci_u32_e32 v4, vcc_lo, v6, v8, vcc_lo
	v_add_co_ci_u32_e32 v5, vcc_lo, 0, v9, vcc_lo
	v_ashrrev_i32_e64 v8, 31, 0
	s_delay_alu instid0(VALU_DEP_3) | instskip(NEXT) | instid1(VALU_DEP_3)
	v_add_co_u32 v3, vcc_lo, v4, v3
	v_add_co_ci_u32_e32 v4, vcc_lo, 0, v5, vcc_lo
	s_delay_alu instid0(VALU_DEP_2) | instskip(NEXT) | instid1(VALU_DEP_2)
	v_add_co_u32 v0, vcc_lo, v0, v3
	v_add_co_ci_u32_e32 v2, vcc_lo, v2, v4, vcc_lo
	s_delay_alu instid0(VALU_DEP_2) | instskip(SKIP_1) | instid1(VALU_DEP_3)
	v_mul_hi_u32 v3, s0, v0
	v_mul_lo_u32 v5, s1, v0
	v_mul_lo_u32 v4, s0, v2
	s_delay_alu instid0(VALU_DEP_1) | instskip(SKIP_1) | instid1(VALU_DEP_2)
	v_add_nc_u32_e32 v3, v3, v4
	v_mul_lo_u32 v4, s0, v0
	v_add_nc_u32_e32 v3, v3, v5
	s_delay_alu instid0(VALU_DEP_2) | instskip(NEXT) | instid1(VALU_DEP_2)
	v_mul_hi_u32 v5, v0, v4
	v_mul_lo_u32 v6, v0, v3
	v_mul_hi_u32 v7, v0, v3
	v_mul_hi_u32 v9, v2, v4
	v_mul_lo_u32 v4, v2, v4
	v_mul_hi_u32 v10, v2, v3
	v_mul_lo_u32 v3, v2, v3
	v_add_co_u32 v5, vcc_lo, v5, v6
	v_add_co_ci_u32_e32 v6, vcc_lo, 0, v7, vcc_lo
	s_delay_alu instid0(VALU_DEP_2) | instskip(NEXT) | instid1(VALU_DEP_2)
	v_add_co_u32 v4, vcc_lo, v5, v4
	v_add_co_ci_u32_e32 v4, vcc_lo, v6, v9, vcc_lo
	v_add_co_ci_u32_e32 v5, vcc_lo, 0, v10, vcc_lo
	v_add_co_u32 v6, vcc_lo, v1, v8
	v_add_co_ci_u32_e32 v7, vcc_lo, 0, v8, vcc_lo
	s_delay_alu instid0(VALU_DEP_4) | instskip(NEXT) | instid1(VALU_DEP_4)
	v_add_co_u32 v3, vcc_lo, v4, v3
	v_add_co_ci_u32_e32 v4, vcc_lo, 0, v5, vcc_lo
	s_delay_alu instid0(VALU_DEP_4) | instskip(NEXT) | instid1(VALU_DEP_3)
	v_xor_b32_e32 v9, v6, v8
	v_add_co_u32 v0, vcc_lo, v0, v3
	s_delay_alu instid0(VALU_DEP_3) | instskip(SKIP_1) | instid1(VALU_DEP_3)
	v_add_co_ci_u32_e32 v10, vcc_lo, v2, v4, vcc_lo
	v_xor_b32_e32 v11, v7, v8
	v_mul_hi_u32 v12, v9, v0
	s_delay_alu instid0(VALU_DEP_3) | instskip(NEXT) | instid1(VALU_DEP_3)
	v_mad_u64_u32 v[2:3], null, v9, v10, 0
	v_mad_u64_u32 v[4:5], null, v11, v0, 0
	;; [unrolled: 1-line block ×3, first 2 shown]
	s_delay_alu instid0(VALU_DEP_3) | instskip(NEXT) | instid1(VALU_DEP_4)
	v_add_co_u32 v0, vcc_lo, v12, v2
	v_add_co_ci_u32_e32 v2, vcc_lo, 0, v3, vcc_lo
	s_delay_alu instid0(VALU_DEP_2) | instskip(NEXT) | instid1(VALU_DEP_2)
	v_add_co_u32 v0, vcc_lo, v0, v4
	v_add_co_ci_u32_e32 v0, vcc_lo, v2, v5, vcc_lo
	v_add_co_ci_u32_e32 v2, vcc_lo, 0, v7, vcc_lo
	s_delay_alu instid0(VALU_DEP_2) | instskip(NEXT) | instid1(VALU_DEP_2)
	v_add_co_u32 v0, vcc_lo, v0, v6
	v_add_co_ci_u32_e32 v4, vcc_lo, 0, v2, vcc_lo
	s_delay_alu instid0(VALU_DEP_2) | instskip(SKIP_1) | instid1(VALU_DEP_3)
	v_mul_lo_u32 v5, s25, v0
	v_mad_u64_u32 v[2:3], null, s24, v0, 0
	v_mul_lo_u32 v6, s24, v4
	s_delay_alu instid0(VALU_DEP_2) | instskip(NEXT) | instid1(VALU_DEP_2)
	v_sub_co_u32 v2, vcc_lo, v9, v2
	v_add3_u32 v3, v3, v6, v5
	s_delay_alu instid0(VALU_DEP_1) | instskip(NEXT) | instid1(VALU_DEP_1)
	v_sub_nc_u32_e32 v5, v11, v3
	v_subrev_co_ci_u32_e64 v5, s0, s25, v5, vcc_lo
	v_add_co_u32 v6, s0, v0, 2
	s_delay_alu instid0(VALU_DEP_1) | instskip(SKIP_3) | instid1(VALU_DEP_3)
	v_add_co_ci_u32_e64 v7, s0, 0, v4, s0
	v_sub_co_u32 v9, s0, v2, s24
	v_sub_co_ci_u32_e32 v3, vcc_lo, v11, v3, vcc_lo
	v_subrev_co_ci_u32_e64 v5, s0, 0, v5, s0
	v_cmp_le_u32_e32 vcc_lo, s24, v9
	s_delay_alu instid0(VALU_DEP_3) | instskip(SKIP_1) | instid1(VALU_DEP_4)
	v_cmp_eq_u32_e64 s0, s25, v3
	v_cndmask_b32_e64 v9, 0, -1, vcc_lo
	v_cmp_le_u32_e32 vcc_lo, s25, v5
	v_cndmask_b32_e64 v10, 0, -1, vcc_lo
	v_cmp_le_u32_e32 vcc_lo, s24, v2
	;; [unrolled: 2-line block ×3, first 2 shown]
	v_cndmask_b32_e64 v11, 0, -1, vcc_lo
	v_cmp_eq_u32_e32 vcc_lo, s25, v5
	s_delay_alu instid0(VALU_DEP_2) | instskip(SKIP_3) | instid1(VALU_DEP_3)
	v_cndmask_b32_e64 v2, v11, v2, s0
	v_cndmask_b32_e32 v5, v10, v9, vcc_lo
	v_add_co_u32 v9, vcc_lo, v0, 1
	v_add_co_ci_u32_e32 v10, vcc_lo, 0, v4, vcc_lo
	v_cmp_ne_u32_e32 vcc_lo, 0, v5
	s_delay_alu instid0(VALU_DEP_3) | instskip(NEXT) | instid1(VALU_DEP_3)
	v_cndmask_b32_e32 v5, v9, v6, vcc_lo
	v_cndmask_b32_e32 v3, v10, v7, vcc_lo
	v_cmp_ne_u32_e32 vcc_lo, 0, v2
	v_xor_b32_e32 v6, s22, v8
	s_delay_alu instid0(VALU_DEP_4) | instskip(NEXT) | instid1(VALU_DEP_4)
	v_cndmask_b32_e32 v0, v0, v5, vcc_lo
	v_cndmask_b32_e32 v2, v4, v3, vcc_lo
	s_delay_alu instid0(VALU_DEP_2) | instskip(NEXT) | instid1(VALU_DEP_2)
	v_xor_b32_e32 v0, v0, v6
	v_xor_b32_e32 v3, v2, v6
	s_delay_alu instid0(VALU_DEP_2) | instskip(NEXT) | instid1(VALU_DEP_2)
	v_sub_co_u32 v2, vcc_lo, v0, v6
	v_sub_co_ci_u32_e32 v3, vcc_lo, v3, v6, vcc_lo
	s_and_not1_b32 vcc_lo, exec_lo, s12
	s_cbranch_vccnz .LBB22_4
.LBB22_3:
	v_cvt_f32_u32_e32 v0, s26
	s_sub_i32 s0, 0, s26
	s_delay_alu instid0(VALU_DEP_1) | instskip(SKIP_2) | instid1(VALU_DEP_1)
	v_rcp_iflag_f32_e32 v0, v0
	s_waitcnt_depctr 0xfff
	v_mul_f32_e32 v0, 0x4f7ffffe, v0
	v_cvt_u32_f32_e32 v0, v0
	s_delay_alu instid0(VALU_DEP_1) | instskip(NEXT) | instid1(VALU_DEP_1)
	v_mul_lo_u32 v2, s0, v0
	v_mul_hi_u32 v2, v0, v2
	s_delay_alu instid0(VALU_DEP_1) | instskip(NEXT) | instid1(VALU_DEP_1)
	v_add_nc_u32_e32 v0, v0, v2
	v_mul_hi_u32 v0, v1, v0
	s_delay_alu instid0(VALU_DEP_1) | instskip(SKIP_1) | instid1(VALU_DEP_2)
	v_mul_lo_u32 v2, v0, s26
	v_add_nc_u32_e32 v3, 1, v0
	v_sub_nc_u32_e32 v2, v1, v2
	s_delay_alu instid0(VALU_DEP_1) | instskip(SKIP_1) | instid1(VALU_DEP_2)
	v_subrev_nc_u32_e32 v4, s26, v2
	v_cmp_le_u32_e32 vcc_lo, s26, v2
	v_cndmask_b32_e32 v2, v2, v4, vcc_lo
	v_cndmask_b32_e32 v0, v0, v3, vcc_lo
	s_delay_alu instid0(VALU_DEP_2) | instskip(NEXT) | instid1(VALU_DEP_2)
	v_cmp_le_u32_e32 vcc_lo, s26, v2
	v_add_nc_u32_e32 v3, 1, v0
	s_delay_alu instid0(VALU_DEP_1)
	v_dual_cndmask_b32 v2, v0, v3 :: v_dual_mov_b32 v3, 0
.LBB22_4:
	s_delay_alu instid0(VALU_DEP_1) | instskip(NEXT) | instid1(VALU_DEP_2)
	v_mul_lo_u32 v0, v3, s26
	v_mul_lo_u32 v6, v2, s13
	v_mad_u64_u32 v[4:5], null, v2, s26, 0
	s_sub_u32 s0, 0, s20
	s_subb_u32 s1, 0, s21
	s_sub_u32 s22, 0, s2
	s_subb_u32 s23, 0, s3
	s_waitcnt lgkmcnt(0)
	s_add_i32 s12, s15, s17
	s_add_i32 s14, s14, s16
	v_add3_u32 v5, v5, v6, v0
	v_sub_co_u32 v0, vcc_lo, v1, v4
	s_mul_i32 s12, s12, s18
	s_delay_alu instid0(VALU_DEP_2) | instskip(NEXT) | instid1(VALU_DEP_2)
	v_sub_co_ci_u32_e32 v1, vcc_lo, 0, v5, vcc_lo
	v_sub_co_u32 v4, vcc_lo, v0, s2
	s_add_i32 s12, s14, s12
	s_delay_alu instid0(VALU_DEP_2) | instskip(SKIP_2) | instid1(VALU_DEP_3)
	v_subrev_co_ci_u32_e32 v5, vcc_lo, s3, v1, vcc_lo
	v_sub_co_u32 v6, vcc_lo, v0, s27
	v_subrev_co_ci_u32_e32 v7, vcc_lo, s28, v1, vcc_lo
	v_ashrrev_i32_e32 v10, 31, v5
	s_delay_alu instid0(VALU_DEP_3) | instskip(NEXT) | instid1(VALU_DEP_3)
	v_add_co_u32 v6, vcc_lo, v6, 1
	v_add_co_ci_u32_e32 v7, vcc_lo, 0, v7, vcc_lo
	v_sub_co_u32 v8, vcc_lo, v2, s31
	v_subrev_co_ci_u32_e32 v9, vcc_lo, s33, v3, vcc_lo
	v_sub_co_u32 v11, vcc_lo, v2, s20
	v_subrev_co_ci_u32_e32 v12, vcc_lo, s21, v3, vcc_lo
	s_mul_i32 s11, s12, s11
	s_mul_hi_u32 s14, s12, s10
	v_add_co_u32 v8, vcc_lo, v8, 1
	s_mul_i32 s15, s12, s10
	v_cmp_gt_i64_e64 s10, s[22:23], 0
	s_add_i32 s14, s14, s11
	v_cmp_gt_i64_e64 s11, s[0:1], 0
	v_add_co_ci_u32_e32 v9, vcc_lo, 0, v9, vcc_lo
	v_xor_b32_e32 v14, v5, v10
	v_ashrrev_i32_e32 v5, 31, v12
	s_and_b32 s10, s10, exec_lo
	v_xor_b32_e32 v15, v4, v10
	v_ashrrev_i32_e32 v4, 31, v9
	s_cselect_b32 s16, s23, 0
	v_cmp_gt_i64_e64 s10, s[2:3], 0
	s_cselect_b32 s17, s22, 0
	s_and_b32 s11, s11, exec_lo
	v_cmp_gt_i64_e64 s11, s[20:21], 0
	v_xor_b32_e32 v11, v11, v5
	v_xor_b32_e32 v12, v12, v5
	v_xor_b32_e32 v8, v8, v4
	s_cselect_b32 s18, s1, 0
	s_cselect_b32 s19, s0, 0
	s_and_b32 s0, s10, exec_lo
	v_xor_b32_e32 v9, v9, v4
	v_sub_co_u32 v11, vcc_lo, v11, v5
	s_cselect_b32 s1, s3, 0
	s_cselect_b32 s0, s2, 0
	s_and_b32 s10, s11, exec_lo
	s_cselect_b32 s11, s21, 0
	s_cselect_b32 s10, s20, 0
	v_sub_co_ci_u32_e32 v5, vcc_lo, v12, v5, vcc_lo
	v_sub_co_u32 v8, vcc_lo, v8, v4
	s_not_b64 s[0:1], s[0:1]
	s_not_b64 s[10:11], s[10:11]
	v_sub_co_ci_u32_e32 v4, vcc_lo, v9, v4, vcc_lo
	s_add_u32 s20, s31, s20
	s_addc_u32 s21, s33, s21
	s_add_u32 s10, s20, s10
	s_addc_u32 s11, s21, s11
	v_add_co_u32 v8, vcc_lo, v2, v8
	s_add_u32 s10, s10, s19
	s_addc_u32 s11, s11, s18
	v_add_co_ci_u32_e32 v4, vcc_lo, v3, v4, vcc_lo
	s_add_u32 s10, s10, s15
	s_addc_u32 s11, s11, s14
	v_sub_co_u32 v8, vcc_lo, s10, v8
	v_ashrrev_i32_e32 v13, 31, v7
	v_sub_co_ci_u32_e32 v4, vcc_lo, s11, v4, vcc_lo
	s_delay_alu instid0(VALU_DEP_3) | instskip(NEXT) | instid1(VALU_DEP_3)
	v_add_co_u32 v8, vcc_lo, v8, v11
	v_xor_b32_e32 v6, v6, v13
	s_delay_alu instid0(VALU_DEP_3) | instskip(SKIP_2) | instid1(VALU_DEP_4)
	v_add_co_ci_u32_e32 v9, vcc_lo, v4, v5, vcc_lo
	v_mad_u64_u32 v[4:5], null, s30, s12, v[2:3]
	v_xor_b32_e32 v7, v7, v13
	v_sub_co_u32 v11, vcc_lo, v6, v13
	s_add_u32 s2, s27, s2
	s_addc_u32 s3, s28, s3
	s_delay_alu instid0(VALU_DEP_2) | instskip(NEXT) | instid1(VALU_DEP_4)
	v_sub_co_ci_u32_e32 v12, vcc_lo, v7, v13, vcc_lo
	v_mad_u64_u32 v[6:7], null, s29, s12, v[5:6]
	v_add_co_u32 v5, vcc_lo, v0, v11
	s_add_u32 s0, s2, s0
	v_mul_lo_u32 v16, v8, s9
	v_mad_u64_u32 v[2:3], null, v8, s8, 0
	s_addc_u32 s1, s3, s1
	v_add_co_ci_u32_e32 v8, vcc_lo, v1, v12, vcc_lo
	s_add_u32 s0, s0, s17
	s_addc_u32 s1, s1, s16
	v_sub_co_u32 v7, vcc_lo, s0, v5
	s_delay_alu instid0(VALU_DEP_2)
	v_sub_co_ci_u32_e32 v8, vcc_lo, s1, v8, vcc_lo
	v_mul_lo_u32 v11, v6, s26
	v_mul_lo_u32 v12, v4, s13
	v_mad_u64_u32 v[5:6], null, v4, s26, 0
	v_mul_lo_u32 v13, v9, s8
	v_sub_co_u32 v9, vcc_lo, v15, v10
	v_sub_co_ci_u32_e32 v10, vcc_lo, v14, v10, vcc_lo
	v_lshlrev_b64 v[7:8], 1, v[7:8]
	v_add3_u32 v6, v6, v12, v11
	v_lshlrev_b64 v[0:1], 1, v[0:1]
	s_delay_alu instid0(VALU_DEP_4)
	v_lshlrev_b64 v[9:10], 1, v[9:10]
	v_add3_u32 v3, v3, v16, v13
	s_mov_b32 s2, 0
	v_add_co_u32 v7, vcc_lo, s4, v7
	v_add_co_ci_u32_e32 v8, vcc_lo, s5, v8, vcc_lo
	v_lshlrev_b64 v[4:5], 1, v[5:6]
	s_delay_alu instid0(VALU_DEP_3) | instskip(SKIP_1) | instid1(VALU_DEP_4)
	v_add_co_u32 v6, vcc_lo, v7, v9
	v_lshlrev_b64 v[2:3], 1, v[2:3]
	v_add_co_ci_u32_e32 v7, vcc_lo, v8, v10, vcc_lo
	s_delay_alu instid0(VALU_DEP_4) | instskip(SKIP_1) | instid1(VALU_DEP_4)
	v_add_co_u32 v4, vcc_lo, s6, v4
	v_add_co_ci_u32_e32 v5, vcc_lo, s7, v5, vcc_lo
	v_add_co_u32 v2, vcc_lo, v6, v2
	s_delay_alu instid0(VALU_DEP_3) | instskip(NEXT) | instid1(VALU_DEP_1)
	v_add_co_u32 v4, s0, v4, v0
	v_add_co_ci_u32_e64 v5, s0, v5, v1, s0
	v_add_co_ci_u32_e32 v1, vcc_lo, v7, v3, vcc_lo
	s_delay_alu instid0(VALU_DEP_4) | instskip(SKIP_3) | instid1(VALU_DEP_1)
	v_and_b32_e32 v0, -3, v2
	global_load_u16 v6, v[4:5], off
	global_load_b32 v3, v[0:1], off
	v_dual_mov_b32 v5, 0 :: v_dual_and_b32 v4, 2, v2
	v_cmp_eq_u64_e32 vcc_lo, 0, v[4:5]
	v_cmp_ne_u32_e64 s0, 0, v4
	s_waitcnt vmcnt(1)
	v_lshlrev_b32_e32 v4, 16, v6
	s_set_inst_prefetch_distance 0x1
	s_branch .LBB22_6
	.p2align	6
.LBB22_5:                               ;   in Loop: Header=BB22_6 Depth=1
	s_or_b32 exec_lo, exec_lo, s1
	global_atomic_cmpswap_b32 v2, v[0:1], v[2:3], off glc
	s_waitcnt vmcnt(0)
	v_cmp_eq_u32_e64 s1, v3, v2
	v_mov_b32_e32 v3, v2
	s_delay_alu instid0(VALU_DEP_2) | instskip(NEXT) | instid1(SALU_CYCLE_1)
	s_or_b32 s2, s1, s2
	s_and_not1_b32 exec_lo, exec_lo, s2
	s_cbranch_execz .LBB22_10
.LBB22_6:                               ; =>This Inner Loop Header: Depth=1
	s_waitcnt vmcnt(0)
	v_lshrrev_b32_e32 v2, 16, v3
	s_delay_alu instid0(VALU_DEP_1) | instskip(NEXT) | instid1(VALU_DEP_1)
	v_cndmask_b32_e32 v2, v2, v3, vcc_lo
	v_lshlrev_b32_e32 v2, 16, v2
	s_delay_alu instid0(VALU_DEP_1) | instskip(NEXT) | instid1(VALU_DEP_1)
	v_add_f32_e32 v2, v4, v2
	v_bfe_u32 v5, v2, 16, 1
	v_cmp_o_f32_e64 s1, v2, v2
	s_delay_alu instid0(VALU_DEP_2) | instskip(NEXT) | instid1(VALU_DEP_1)
	v_add3_u32 v5, v2, v5, 0x7fff
	v_lshrrev_b32_e32 v5, 16, v5
	s_delay_alu instid0(VALU_DEP_1) | instskip(SKIP_1) | instid1(SALU_CYCLE_1)
	v_cndmask_b32_e64 v5, 0x7fc0, v5, s1
	s_and_saveexec_b32 s1, s0
	s_xor_b32 s1, exec_lo, s1
; %bb.7:                                ;   in Loop: Header=BB22_6 Depth=1
	v_and_b32_e32 v2, 0xffff, v3
	s_delay_alu instid0(VALU_DEP_1)
	v_lshl_or_b32 v2, v5, 16, v2
                                        ; implicit-def: $vgpr5
; %bb.8:                                ;   in Loop: Header=BB22_6 Depth=1
	s_and_not1_saveexec_b32 s1, s1
	s_cbranch_execz .LBB22_5
; %bb.9:                                ;   in Loop: Header=BB22_6 Depth=1
	v_and_or_b32 v2, 0xffff0000, v3, v5
	s_branch .LBB22_5
.LBB22_10:
	s_set_inst_prefetch_distance 0x2
	s_endpgm
.LBB22_11:
                                        ; implicit-def: $vgpr2_vgpr3
	s_branch .LBB22_3
	.section	.rodata,"a",@progbits
	.p2align	6, 0x0
	.amdhsa_kernel _ZN2at6native12_GLOBAL__N_136reflection_pad2d_backward_out_kernelIN3c108BFloat16EEEvPT_PKS5_lliiiiiii
		.amdhsa_group_segment_fixed_size 0
		.amdhsa_private_segment_fixed_size 0
		.amdhsa_kernarg_size 320
		.amdhsa_user_sgpr_count 13
		.amdhsa_user_sgpr_dispatch_ptr 0
		.amdhsa_user_sgpr_queue_ptr 0
		.amdhsa_user_sgpr_kernarg_segment_ptr 1
		.amdhsa_user_sgpr_dispatch_id 0
		.amdhsa_user_sgpr_private_segment_size 0
		.amdhsa_wavefront_size32 1
		.amdhsa_uses_dynamic_stack 0
		.amdhsa_enable_private_segment 0
		.amdhsa_system_sgpr_workgroup_id_x 1
		.amdhsa_system_sgpr_workgroup_id_y 1
		.amdhsa_system_sgpr_workgroup_id_z 1
		.amdhsa_system_sgpr_workgroup_info 0
		.amdhsa_system_vgpr_workitem_id 0
		.amdhsa_next_free_vgpr 17
		.amdhsa_next_free_sgpr 34
		.amdhsa_reserve_vcc 1
		.amdhsa_float_round_mode_32 0
		.amdhsa_float_round_mode_16_64 0
		.amdhsa_float_denorm_mode_32 3
		.amdhsa_float_denorm_mode_16_64 3
		.amdhsa_dx10_clamp 1
		.amdhsa_ieee_mode 1
		.amdhsa_fp16_overflow 0
		.amdhsa_workgroup_processor_mode 1
		.amdhsa_memory_ordered 1
		.amdhsa_forward_progress 0
		.amdhsa_shared_vgpr_count 0
		.amdhsa_exception_fp_ieee_invalid_op 0
		.amdhsa_exception_fp_denorm_src 0
		.amdhsa_exception_fp_ieee_div_zero 0
		.amdhsa_exception_fp_ieee_overflow 0
		.amdhsa_exception_fp_ieee_underflow 0
		.amdhsa_exception_fp_ieee_inexact 0
		.amdhsa_exception_int_div_zero 0
	.end_amdhsa_kernel
	.section	.text._ZN2at6native12_GLOBAL__N_136reflection_pad2d_backward_out_kernelIN3c108BFloat16EEEvPT_PKS5_lliiiiiii,"axG",@progbits,_ZN2at6native12_GLOBAL__N_136reflection_pad2d_backward_out_kernelIN3c108BFloat16EEEvPT_PKS5_lliiiiiii,comdat
.Lfunc_end22:
	.size	_ZN2at6native12_GLOBAL__N_136reflection_pad2d_backward_out_kernelIN3c108BFloat16EEEvPT_PKS5_lliiiiiii, .Lfunc_end22-_ZN2at6native12_GLOBAL__N_136reflection_pad2d_backward_out_kernelIN3c108BFloat16EEEvPT_PKS5_lliiiiiii
                                        ; -- End function
	.section	.AMDGPU.csdata,"",@progbits
; Kernel info:
; codeLenInByte = 2096
; NumSgprs: 36
; NumVgprs: 17
; ScratchSize: 0
; MemoryBound: 0
; FloatMode: 240
; IeeeMode: 1
; LDSByteSize: 0 bytes/workgroup (compile time only)
; SGPRBlocks: 4
; VGPRBlocks: 2
; NumSGPRsForWavesPerEU: 36
; NumVGPRsForWavesPerEU: 17
; Occupancy: 16
; WaveLimiterHint : 0
; COMPUTE_PGM_RSRC2:SCRATCH_EN: 0
; COMPUTE_PGM_RSRC2:USER_SGPR: 13
; COMPUTE_PGM_RSRC2:TRAP_HANDLER: 0
; COMPUTE_PGM_RSRC2:TGID_X_EN: 1
; COMPUTE_PGM_RSRC2:TGID_Y_EN: 1
; COMPUTE_PGM_RSRC2:TGID_Z_EN: 1
; COMPUTE_PGM_RSRC2:TIDIG_COMP_CNT: 0
	.section	.text._ZN2at6native12_GLOBAL__N_127reflection_pad1d_out_kernelIhEEvPKT_PS3_lll,"axG",@progbits,_ZN2at6native12_GLOBAL__N_127reflection_pad1d_out_kernelIhEEvPKT_PS3_lll,comdat
	.globl	_ZN2at6native12_GLOBAL__N_127reflection_pad1d_out_kernelIhEEvPKT_PS3_lll ; -- Begin function _ZN2at6native12_GLOBAL__N_127reflection_pad1d_out_kernelIhEEvPKT_PS3_lll
	.p2align	8
	.type	_ZN2at6native12_GLOBAL__N_127reflection_pad1d_out_kernelIhEEvPKT_PS3_lll,@function
_ZN2at6native12_GLOBAL__N_127reflection_pad1d_out_kernelIhEEvPKT_PS3_lll: ; @_ZN2at6native12_GLOBAL__N_127reflection_pad1d_out_kernelIhEEvPKT_PS3_lll
; %bb.0:
	s_clause 0x2
	s_load_b32 s12, s[0:1], 0x34
	s_load_b256 s[4:11], s[0:1], 0x0
	s_load_b64 s[16:17], s[0:1], 0x20
	v_mov_b32_e32 v1, 0
	s_add_u32 s2, s0, 40
	s_addc_u32 s3, s1, 0
	s_waitcnt lgkmcnt(0)
	s_and_b32 s0, s12, 0xffff
	s_add_u32 s12, s10, s8
	v_mad_u64_u32 v[2:3], null, s0, s13, v[0:1]
	s_addc_u32 s13, s11, s9
	s_add_u32 s0, s12, s16
	s_addc_u32 s1, s13, s17
	s_mov_b32 s16, exec_lo
	s_delay_alu instid0(VALU_DEP_1)
	v_cmpx_gt_i64_e64 s[0:1], v[2:3]
	s_cbranch_execz .LBB23_2
; %bb.1:
	s_load_b32 s16, s[2:3], 0x4
	v_sub_co_u32 v0, vcc_lo, v2, s10
	v_subrev_co_ci_u32_e32 v1, vcc_lo, s11, v3, vcc_lo
	v_sub_co_u32 v4, vcc_lo, v2, s12
	v_subrev_co_ci_u32_e32 v5, vcc_lo, s13, v3, vcc_lo
	s_sub_u32 s2, 0, s10
	s_delay_alu instid0(VALU_DEP_2) | instskip(NEXT) | instid1(VALU_DEP_2)
	v_add_co_u32 v4, vcc_lo, v4, 1
	v_add_co_ci_u32_e32 v5, vcc_lo, 0, v5, vcc_lo
	s_subb_u32 s3, 0, s11
	v_cmp_gt_i64_e64 s17, s[10:11], 0
	v_cmp_gt_i64_e64 s18, s[2:3], 0
	s_delay_alu instid0(VALU_DEP_3) | instskip(SKIP_3) | instid1(VALU_DEP_2)
	v_ashrrev_i32_e32 v7, 31, v5
	v_ashrrev_i32_e32 v6, 31, v1
	s_waitcnt lgkmcnt(0)
	s_mul_i32 s15, s16, s15
	v_xor_b32_e32 v4, v4, v7
	s_add_i32 s15, s15, s14
	v_xor_b32_e32 v5, v5, v7
	s_mul_i32 s1, s1, s15
	s_mul_hi_u32 s14, s0, s15
	v_sub_co_u32 v4, vcc_lo, v4, v7
	s_add_i32 s14, s14, s1
	s_and_b32 s1, s18, exec_lo
	s_cselect_b32 s1, s3, 0
	s_cselect_b32 s16, s2, 0
	s_and_b32 s2, s17, exec_lo
	s_cselect_b32 s3, s11, 0
	s_cselect_b32 s2, s10, 0
	v_sub_co_ci_u32_e32 v5, vcc_lo, v5, v7, vcc_lo
	s_not_b64 s[2:3], s[2:3]
	s_add_u32 s10, s12, s10
	s_addc_u32 s11, s13, s11
	v_add_co_u32 v4, vcc_lo, v2, v4
	s_add_u32 s2, s10, s2
	s_addc_u32 s3, s11, s3
	v_add_co_ci_u32_e32 v5, vcc_lo, v3, v5, vcc_lo
	v_xor_b32_e32 v0, v0, v6
	s_add_u32 s2, s2, s16
	v_xor_b32_e32 v1, v1, v6
	s_addc_u32 s1, s3, s1
	v_sub_co_u32 v4, vcc_lo, s2, v4
	v_sub_co_ci_u32_e32 v5, vcc_lo, s1, v5, vcc_lo
	v_sub_co_u32 v0, vcc_lo, v0, v6
	v_sub_co_ci_u32_e32 v1, vcc_lo, v1, v6, vcc_lo
	s_delay_alu instid0(VALU_DEP_4) | instskip(NEXT) | instid1(VALU_DEP_4)
	v_add_co_u32 v4, vcc_lo, s4, v4
	v_add_co_ci_u32_e32 v5, vcc_lo, s5, v5, vcc_lo
	s_mul_i32 s0, s0, s15
	s_delay_alu instid0(VALU_DEP_2) | instskip(NEXT) | instid1(VALU_DEP_2)
	v_add_co_u32 v0, vcc_lo, v4, v0
	v_add_co_ci_u32_e32 v1, vcc_lo, v5, v1, vcc_lo
	s_add_u32 s0, s6, s0
	s_addc_u32 s1, s7, s14
	s_delay_alu instid0(VALU_DEP_1) | instskip(NEXT) | instid1(VALU_DEP_1)
	v_mad_u64_u32 v[4:5], null, s15, s8, v[0:1]
	v_mov_b32_e32 v0, v5
	s_delay_alu instid0(VALU_DEP_1)
	v_mad_u64_u32 v[5:6], null, s15, s9, v[0:1]
	v_add_co_u32 v0, vcc_lo, s0, v2
	v_add_co_ci_u32_e32 v1, vcc_lo, s1, v3, vcc_lo
	global_load_u8 v4, v[4:5], off
	s_waitcnt vmcnt(0)
	global_store_b8 v[0:1], v4, off
.LBB23_2:
	s_nop 0
	s_sendmsg sendmsg(MSG_DEALLOC_VGPRS)
	s_endpgm
	.section	.rodata,"a",@progbits
	.p2align	6, 0x0
	.amdhsa_kernel _ZN2at6native12_GLOBAL__N_127reflection_pad1d_out_kernelIhEEvPKT_PS3_lll
		.amdhsa_group_segment_fixed_size 0
		.amdhsa_private_segment_fixed_size 0
		.amdhsa_kernarg_size 296
		.amdhsa_user_sgpr_count 13
		.amdhsa_user_sgpr_dispatch_ptr 0
		.amdhsa_user_sgpr_queue_ptr 0
		.amdhsa_user_sgpr_kernarg_segment_ptr 1
		.amdhsa_user_sgpr_dispatch_id 0
		.amdhsa_user_sgpr_private_segment_size 0
		.amdhsa_wavefront_size32 1
		.amdhsa_uses_dynamic_stack 0
		.amdhsa_enable_private_segment 0
		.amdhsa_system_sgpr_workgroup_id_x 1
		.amdhsa_system_sgpr_workgroup_id_y 1
		.amdhsa_system_sgpr_workgroup_id_z 1
		.amdhsa_system_sgpr_workgroup_info 0
		.amdhsa_system_vgpr_workitem_id 0
		.amdhsa_next_free_vgpr 8
		.amdhsa_next_free_sgpr 19
		.amdhsa_reserve_vcc 1
		.amdhsa_float_round_mode_32 0
		.amdhsa_float_round_mode_16_64 0
		.amdhsa_float_denorm_mode_32 3
		.amdhsa_float_denorm_mode_16_64 3
		.amdhsa_dx10_clamp 1
		.amdhsa_ieee_mode 1
		.amdhsa_fp16_overflow 0
		.amdhsa_workgroup_processor_mode 1
		.amdhsa_memory_ordered 1
		.amdhsa_forward_progress 0
		.amdhsa_shared_vgpr_count 0
		.amdhsa_exception_fp_ieee_invalid_op 0
		.amdhsa_exception_fp_denorm_src 0
		.amdhsa_exception_fp_ieee_div_zero 0
		.amdhsa_exception_fp_ieee_overflow 0
		.amdhsa_exception_fp_ieee_underflow 0
		.amdhsa_exception_fp_ieee_inexact 0
		.amdhsa_exception_int_div_zero 0
	.end_amdhsa_kernel
	.section	.text._ZN2at6native12_GLOBAL__N_127reflection_pad1d_out_kernelIhEEvPKT_PS3_lll,"axG",@progbits,_ZN2at6native12_GLOBAL__N_127reflection_pad1d_out_kernelIhEEvPKT_PS3_lll,comdat
.Lfunc_end23:
	.size	_ZN2at6native12_GLOBAL__N_127reflection_pad1d_out_kernelIhEEvPKT_PS3_lll, .Lfunc_end23-_ZN2at6native12_GLOBAL__N_127reflection_pad1d_out_kernelIhEEvPKT_PS3_lll
                                        ; -- End function
	.section	.AMDGPU.csdata,"",@progbits
; Kernel info:
; codeLenInByte = 436
; NumSgprs: 21
; NumVgprs: 8
; ScratchSize: 0
; MemoryBound: 0
; FloatMode: 240
; IeeeMode: 1
; LDSByteSize: 0 bytes/workgroup (compile time only)
; SGPRBlocks: 2
; VGPRBlocks: 0
; NumSGPRsForWavesPerEU: 21
; NumVGPRsForWavesPerEU: 8
; Occupancy: 16
; WaveLimiterHint : 0
; COMPUTE_PGM_RSRC2:SCRATCH_EN: 0
; COMPUTE_PGM_RSRC2:USER_SGPR: 13
; COMPUTE_PGM_RSRC2:TRAP_HANDLER: 0
; COMPUTE_PGM_RSRC2:TGID_X_EN: 1
; COMPUTE_PGM_RSRC2:TGID_Y_EN: 1
; COMPUTE_PGM_RSRC2:TGID_Z_EN: 1
; COMPUTE_PGM_RSRC2:TIDIG_COMP_CNT: 0
	.section	.text._ZN2at6native12_GLOBAL__N_121reflection_pad1d_flatIhEEvPKT_PS3_lllll,"axG",@progbits,_ZN2at6native12_GLOBAL__N_121reflection_pad1d_flatIhEEvPKT_PS3_lllll,comdat
	.globl	_ZN2at6native12_GLOBAL__N_121reflection_pad1d_flatIhEEvPKT_PS3_lllll ; -- Begin function _ZN2at6native12_GLOBAL__N_121reflection_pad1d_flatIhEEvPKT_PS3_lllll
	.p2align	8
	.type	_ZN2at6native12_GLOBAL__N_121reflection_pad1d_flatIhEEvPKT_PS3_lllll,@function
_ZN2at6native12_GLOBAL__N_121reflection_pad1d_flatIhEEvPKT_PS3_lllll: ; @_ZN2at6native12_GLOBAL__N_121reflection_pad1d_flatIhEEvPKT_PS3_lllll
; %bb.0:
	s_clause 0x1
	s_load_b32 s8, s[0:1], 0x44
	s_load_b128 s[4:7], s[0:1], 0x28
	s_add_u32 s2, s0, 56
	s_addc_u32 s3, s1, 0
	v_mov_b32_e32 v3, 0
	s_mov_b32 s35, 0
	s_waitcnt lgkmcnt(0)
	s_and_b32 s55, s8, 0xffff
	s_mul_i32 s8, s6, s5
	s_mul_hi_u32 s9, s6, s4
	s_mul_i32 s59, s55, s15
	s_add_i32 s8, s9, s8
	s_mul_hi_u32 s60, s55, s15
	v_add_co_u32 v1, s9, s59, v0
	s_delay_alu instid0(VALU_DEP_1)
	v_add_co_ci_u32_e64 v2, null, s60, 0, s9
	s_mul_i32 s7, s7, s4
	s_mul_i32 s6, s6, s4
	s_add_i32 s7, s8, s7
	s_mov_b32 s8, exec_lo
	v_cmpx_gt_i64_e64 s[6:7], v[1:2]
	s_cbranch_execz .LBB24_64
; %bb.1:
	s_load_b32 s34, s[2:3], 0x0
	s_waitcnt lgkmcnt(0)
	s_add_u32 s2, s15, s34
	s_addc_u32 s3, 0, 0
	s_mul_hi_u32 s8, s2, s55
	s_mul_i32 s9, s3, s55
	s_mul_i32 s3, s2, s55
	s_add_i32 s66, s8, s9
	v_add_co_u32 v6, s2, s3, v0
	s_delay_alu instid0(VALU_DEP_1) | instskip(SKIP_2) | instid1(VALU_DEP_1)
	v_add_co_ci_u32_e64 v7, null, s66, 0, s2
	s_mul_hi_u32 s13, s55, s34
	s_mul_i32 s12, s55, s34
	v_cmp_gt_i64_e32 vcc_lo, s[6:7], v[6:7]
	v_cndmask_b32_e64 v5, 0, 1, vcc_lo
	v_cndmask_b32_e64 v4, v7, s7, vcc_lo
	;; [unrolled: 1-line block ×3, first 2 shown]
	s_delay_alu instid0(VALU_DEP_3) | instskip(SKIP_1) | instid1(VALU_DEP_2)
	v_add_co_u32 v6, vcc_lo, v6, v5
	v_add_co_ci_u32_e32 v7, vcc_lo, 0, v7, vcc_lo
	v_sub_co_u32 v6, vcc_lo, v8, v6
	s_delay_alu instid0(VALU_DEP_2) | instskip(NEXT) | instid1(VALU_DEP_1)
	v_sub_co_ci_u32_e32 v7, vcc_lo, v4, v7, vcc_lo
	v_or_b32_e32 v4, s13, v7
	s_delay_alu instid0(VALU_DEP_1) | instskip(SKIP_1) | instid1(SALU_CYCLE_1)
	v_cmp_ne_u64_e32 vcc_lo, 0, v[3:4]
                                        ; implicit-def: $vgpr3_vgpr4
	s_and_saveexec_b32 s2, vcc_lo
	s_xor_b32 s8, exec_lo, s2
	s_cbranch_execz .LBB24_3
; %bb.2:
	v_cvt_f32_u32_e32 v3, s12
	v_cvt_f32_u32_e32 v4, s13
	s_sub_u32 s2, 0, s12
	s_subb_u32 s9, 0, s13
	s_delay_alu instid0(VALU_DEP_1) | instskip(NEXT) | instid1(VALU_DEP_1)
	v_fmamk_f32 v3, v4, 0x4f800000, v3
	v_rcp_f32_e32 v3, v3
	s_waitcnt_depctr 0xfff
	v_mul_f32_e32 v3, 0x5f7ffffc, v3
	s_delay_alu instid0(VALU_DEP_1) | instskip(NEXT) | instid1(VALU_DEP_1)
	v_mul_f32_e32 v4, 0x2f800000, v3
	v_trunc_f32_e32 v4, v4
	s_delay_alu instid0(VALU_DEP_1) | instskip(SKIP_1) | instid1(VALU_DEP_2)
	v_fmamk_f32 v3, v4, 0xcf800000, v3
	v_cvt_u32_f32_e32 v4, v4
	v_cvt_u32_f32_e32 v3, v3
	s_delay_alu instid0(VALU_DEP_2) | instskip(NEXT) | instid1(VALU_DEP_2)
	v_mul_lo_u32 v8, s2, v4
	v_mul_hi_u32 v9, s2, v3
	v_mul_lo_u32 v10, s9, v3
	s_delay_alu instid0(VALU_DEP_2) | instskip(SKIP_1) | instid1(VALU_DEP_2)
	v_add_nc_u32_e32 v8, v9, v8
	v_mul_lo_u32 v9, s2, v3
	v_add_nc_u32_e32 v8, v8, v10
	s_delay_alu instid0(VALU_DEP_2) | instskip(NEXT) | instid1(VALU_DEP_2)
	v_mul_hi_u32 v10, v3, v9
	v_mul_lo_u32 v11, v3, v8
	v_mul_hi_u32 v12, v3, v8
	v_mul_hi_u32 v13, v4, v9
	v_mul_lo_u32 v9, v4, v9
	v_mul_hi_u32 v14, v4, v8
	v_mul_lo_u32 v8, v4, v8
	v_add_co_u32 v10, vcc_lo, v10, v11
	v_add_co_ci_u32_e32 v11, vcc_lo, 0, v12, vcc_lo
	s_delay_alu instid0(VALU_DEP_2) | instskip(NEXT) | instid1(VALU_DEP_2)
	v_add_co_u32 v9, vcc_lo, v10, v9
	v_add_co_ci_u32_e32 v9, vcc_lo, v11, v13, vcc_lo
	v_add_co_ci_u32_e32 v10, vcc_lo, 0, v14, vcc_lo
	s_delay_alu instid0(VALU_DEP_2) | instskip(NEXT) | instid1(VALU_DEP_2)
	v_add_co_u32 v8, vcc_lo, v9, v8
	v_add_co_ci_u32_e32 v9, vcc_lo, 0, v10, vcc_lo
	s_delay_alu instid0(VALU_DEP_2) | instskip(NEXT) | instid1(VALU_DEP_2)
	v_add_co_u32 v3, vcc_lo, v3, v8
	v_add_co_ci_u32_e32 v4, vcc_lo, v4, v9, vcc_lo
	s_delay_alu instid0(VALU_DEP_2) | instskip(SKIP_1) | instid1(VALU_DEP_3)
	v_mul_hi_u32 v8, s2, v3
	v_mul_lo_u32 v10, s9, v3
	v_mul_lo_u32 v9, s2, v4
	s_delay_alu instid0(VALU_DEP_1) | instskip(SKIP_1) | instid1(VALU_DEP_2)
	v_add_nc_u32_e32 v8, v8, v9
	v_mul_lo_u32 v9, s2, v3
	v_add_nc_u32_e32 v8, v8, v10
	s_delay_alu instid0(VALU_DEP_2) | instskip(NEXT) | instid1(VALU_DEP_2)
	v_mul_hi_u32 v10, v3, v9
	v_mul_lo_u32 v11, v3, v8
	v_mul_hi_u32 v12, v3, v8
	v_mul_hi_u32 v13, v4, v9
	v_mul_lo_u32 v9, v4, v9
	v_mul_hi_u32 v14, v4, v8
	v_mul_lo_u32 v8, v4, v8
	v_add_co_u32 v10, vcc_lo, v10, v11
	v_add_co_ci_u32_e32 v11, vcc_lo, 0, v12, vcc_lo
	s_delay_alu instid0(VALU_DEP_2) | instskip(NEXT) | instid1(VALU_DEP_2)
	v_add_co_u32 v9, vcc_lo, v10, v9
	v_add_co_ci_u32_e32 v9, vcc_lo, v11, v13, vcc_lo
	v_add_co_ci_u32_e32 v10, vcc_lo, 0, v14, vcc_lo
	s_delay_alu instid0(VALU_DEP_2) | instskip(NEXT) | instid1(VALU_DEP_2)
	v_add_co_u32 v8, vcc_lo, v9, v8
	v_add_co_ci_u32_e32 v9, vcc_lo, 0, v10, vcc_lo
	s_delay_alu instid0(VALU_DEP_2) | instskip(NEXT) | instid1(VALU_DEP_2)
	v_add_co_u32 v10, vcc_lo, v3, v8
	v_add_co_ci_u32_e32 v12, vcc_lo, v4, v9, vcc_lo
	s_delay_alu instid0(VALU_DEP_2) | instskip(SKIP_1) | instid1(VALU_DEP_3)
	v_mul_hi_u32 v13, v6, v10
	v_mad_u64_u32 v[8:9], null, v7, v10, 0
	v_mad_u64_u32 v[3:4], null, v6, v12, 0
	v_mad_u64_u32 v[10:11], null, v7, v12, 0
	s_delay_alu instid0(VALU_DEP_2) | instskip(NEXT) | instid1(VALU_DEP_3)
	v_add_co_u32 v3, vcc_lo, v13, v3
	v_add_co_ci_u32_e32 v4, vcc_lo, 0, v4, vcc_lo
	s_delay_alu instid0(VALU_DEP_2) | instskip(NEXT) | instid1(VALU_DEP_2)
	v_add_co_u32 v3, vcc_lo, v3, v8
	v_add_co_ci_u32_e32 v3, vcc_lo, v4, v9, vcc_lo
	v_add_co_ci_u32_e32 v4, vcc_lo, 0, v11, vcc_lo
	s_delay_alu instid0(VALU_DEP_2) | instskip(NEXT) | instid1(VALU_DEP_2)
	v_add_co_u32 v8, vcc_lo, v3, v10
	v_add_co_ci_u32_e32 v9, vcc_lo, 0, v4, vcc_lo
	s_delay_alu instid0(VALU_DEP_2) | instskip(SKIP_1) | instid1(VALU_DEP_3)
	v_mul_lo_u32 v10, s13, v8
	v_mad_u64_u32 v[3:4], null, s12, v8, 0
	v_mul_lo_u32 v11, s12, v9
	s_delay_alu instid0(VALU_DEP_2) | instskip(NEXT) | instid1(VALU_DEP_2)
	v_sub_co_u32 v3, vcc_lo, v6, v3
	v_add3_u32 v4, v4, v11, v10
	s_delay_alu instid0(VALU_DEP_1) | instskip(NEXT) | instid1(VALU_DEP_1)
	v_sub_nc_u32_e32 v10, v7, v4
	v_subrev_co_ci_u32_e64 v6, s2, s13, v10, vcc_lo
	v_add_co_u32 v10, s2, v8, 2
	s_delay_alu instid0(VALU_DEP_1) | instskip(SKIP_3) | instid1(VALU_DEP_3)
	v_add_co_ci_u32_e64 v11, s2, 0, v9, s2
	v_sub_co_u32 v12, s2, v3, s12
	v_sub_co_ci_u32_e32 v4, vcc_lo, v7, v4, vcc_lo
	v_subrev_co_ci_u32_e64 v6, s2, 0, v6, s2
	v_cmp_le_u32_e32 vcc_lo, s12, v12
	s_delay_alu instid0(VALU_DEP_3) | instskip(SKIP_1) | instid1(VALU_DEP_4)
	v_cmp_eq_u32_e64 s2, s13, v4
	v_cndmask_b32_e64 v7, 0, -1, vcc_lo
	v_cmp_le_u32_e32 vcc_lo, s13, v6
	v_cndmask_b32_e64 v12, 0, -1, vcc_lo
	v_cmp_le_u32_e32 vcc_lo, s12, v3
	;; [unrolled: 2-line block ×3, first 2 shown]
	v_cndmask_b32_e64 v13, 0, -1, vcc_lo
	v_cmp_eq_u32_e32 vcc_lo, s13, v6
	s_delay_alu instid0(VALU_DEP_2) | instskip(SKIP_3) | instid1(VALU_DEP_3)
	v_cndmask_b32_e64 v3, v13, v3, s2
	v_cndmask_b32_e32 v6, v12, v7, vcc_lo
	v_add_co_u32 v7, vcc_lo, v8, 1
	v_add_co_ci_u32_e32 v12, vcc_lo, 0, v9, vcc_lo
	v_cmp_ne_u32_e32 vcc_lo, 0, v6
	s_delay_alu instid0(VALU_DEP_3) | instskip(NEXT) | instid1(VALU_DEP_3)
	v_cndmask_b32_e32 v6, v7, v10, vcc_lo
	v_cndmask_b32_e32 v4, v12, v11, vcc_lo
	v_cmp_ne_u32_e32 vcc_lo, 0, v3
	s_delay_alu instid0(VALU_DEP_2)
	v_dual_cndmask_b32 v4, v9, v4 :: v_dual_cndmask_b32 v3, v8, v6
                                        ; implicit-def: $vgpr6
.LBB24_3:
	s_or_saveexec_b32 s2, s8
	s_load_b64 s[16:17], s[0:1], 0x8
	s_xor_b32 exec_lo, exec_lo, s2
	s_cbranch_execz .LBB24_5
; %bb.4:
	v_cvt_f32_u32_e32 v3, s12
	s_sub_i32 s8, 0, s12
	s_delay_alu instid0(VALU_DEP_1) | instskip(SKIP_2) | instid1(VALU_DEP_1)
	v_rcp_iflag_f32_e32 v3, v3
	s_waitcnt_depctr 0xfff
	v_mul_f32_e32 v3, 0x4f7ffffe, v3
	v_cvt_u32_f32_e32 v3, v3
	s_delay_alu instid0(VALU_DEP_1) | instskip(NEXT) | instid1(VALU_DEP_1)
	v_mul_lo_u32 v4, s8, v3
	v_mul_hi_u32 v4, v3, v4
	s_delay_alu instid0(VALU_DEP_1) | instskip(NEXT) | instid1(VALU_DEP_1)
	v_add_nc_u32_e32 v3, v3, v4
	v_mul_hi_u32 v3, v6, v3
	s_delay_alu instid0(VALU_DEP_1) | instskip(NEXT) | instid1(VALU_DEP_1)
	v_mul_lo_u32 v4, v3, s12
	v_sub_nc_u32_e32 v4, v6, v4
	v_add_nc_u32_e32 v6, 1, v3
	s_delay_alu instid0(VALU_DEP_2) | instskip(SKIP_1) | instid1(VALU_DEP_2)
	v_subrev_nc_u32_e32 v7, s12, v4
	v_cmp_le_u32_e32 vcc_lo, s12, v4
	v_dual_cndmask_b32 v4, v4, v7 :: v_dual_cndmask_b32 v3, v3, v6
	s_delay_alu instid0(VALU_DEP_1) | instskip(NEXT) | instid1(VALU_DEP_2)
	v_cmp_le_u32_e32 vcc_lo, s12, v4
	v_add_nc_u32_e32 v6, 1, v3
	s_delay_alu instid0(VALU_DEP_1)
	v_dual_mov_b32 v4, 0 :: v_dual_cndmask_b32 v3, v3, v6
.LBB24_5:
	s_or_b32 exec_lo, exec_lo, s2
	s_clause 0x1
	s_load_b128 s[8:11], s[0:1], 0x10
	s_load_b64 s[18:19], s[0:1], 0x0
	v_add_co_u32 v3, vcc_lo, v3, v5
	v_add_co_ci_u32_e32 v4, vcc_lo, 0, v4, vcc_lo
                                        ; implicit-def: $sgpr24_sgpr25
	s_delay_alu instid0(VALU_DEP_2) | instskip(NEXT) | instid1(VALU_DEP_2)
	v_add_co_u32 v19, vcc_lo, v3, 1
	v_add_co_ci_u32_e32 v20, vcc_lo, 0, v4, vcc_lo
                                        ; implicit-def: $vgpr3_vgpr4
	s_waitcnt lgkmcnt(0)
	s_lshl_b64 s[0:1], s[8:9], 1
	s_delay_alu instid0(SALU_CYCLE_1)
	s_add_u32 s20, s0, -2
	s_addc_u32 s21, s1, -1
	s_mov_b32 s0, 0
	v_cmp_lt_i64_e64 s37, s[20:21], 1
	v_cmp_gt_i64_e64 s33, s[20:21], 0
	s_mov_b32 s1, exec_lo
	v_cmpx_lt_u64_e32 3, v[19:20]
	s_xor_b32 s36, exec_lo, s1
	s_cbranch_execz .LBB24_49
; %bb.6:
	s_lshl_b64 s[22:23], s[12:13], 2
	s_xor_b32 s50, s37, -1
	s_sub_u32 s24, 0, s4
	s_subb_u32 s25, 0, s5
	s_sub_u32 s51, s59, s10
	s_mul_i32 s0, s34, 3
	s_subb_u32 s52, s60, s11
	s_mul_hi_u32 s1, s34, 3
	s_add_u32 s0, s0, s15
	v_mad_u64_u32 v[7:8], null, s12, 3, v[1:2]
	s_addc_u32 s1, s1, 0
	s_mul_hi_u32 s2, s0, s55
	s_mul_i32 s1, s1, s55
	s_mul_i32 s63, s0, s55
	s_add_i32 s2, s2, s1
	s_add_u32 s53, s16, s63
	s_addc_u32 s54, s17, s2
	s_lshl_b64 s[0:1], s[34:35], 1
	v_mad_u64_u32 v[9:10], null, s13, 3, v[8:9]
	s_add_u32 s0, s0, s15
	s_addc_u32 s1, s1, 0
	s_mul_hi_u32 s34, s0, s55
	s_mul_i32 s1, s1, s55
	v_mad_u64_u32 v[5:6], null, s12, 2, v[1:2]
	v_mad_u64_u32 v[3:4], null, s12, 1, v[1:2]
	s_mul_i32 s0, s0, s55
	s_add_i32 s34, s34, s1
	s_add_u32 s55, s16, s0
	s_addc_u32 s56, s17, s34
	v_mov_b32_e32 v8, v9
	s_add_u32 s57, s16, s3
	v_dual_mov_b32 v22, v20 :: v_dual_and_b32 v21, -4, v19
	s_addc_u32 s58, s17, s66
	s_add_u32 s59, s16, s59
	s_addc_u32 s60, s17, s60
	v_lshl_add_u32 v6, s13, 1, v6
	v_dual_mov_b32 v23, 0 :: v_dual_add_nc_u32 v4, s13, v4
	s_sub_u32 s61, s0, s10
	s_subb_u32 s62, s34, s11
	v_mov_b32_e32 v10, v8
	s_sub_u32 s63, s63, s10
	v_dual_mov_b32 v26, v22 :: v_dual_mov_b32 v25, v21
	v_dual_mov_b32 v9, v7 :: v_dual_mov_b32 v8, v6
	v_mov_b32_e32 v7, v5
	v_mov_b32_e32 v6, v4
	;; [unrolled: 1-line block ×5, first 2 shown]
	s_subb_u32 s64, s2, s11
	s_sub_u32 s65, s3, s10
	s_mov_b32 s38, s22
	s_mov_b32 s39, s23
	;; [unrolled: 1-line block ×20, first 2 shown]
	s_subb_u32 s67, s66, s11
	s_mov_b32 s66, 0
	s_branch .LBB24_9
.LBB24_7:                               ;   in Loop: Header=BB24_9 Depth=1
	s_or_b32 exec_lo, exec_lo, s0
.LBB24_8:                               ;   in Loop: Header=BB24_9 Depth=1
	v_ashrrev_i32_e32 v37, 31, v12
	v_ashrrev_i32_e32 v36, 31, v14
	;; [unrolled: 1-line block ×4, first 2 shown]
	v_mul_lo_u32 v32, v32, s30
	v_and_b32_e32 v40, s20, v37
	v_and_b32_e32 v37, s21, v37
	;; [unrolled: 1-line block ×5, first 2 shown]
	v_add_co_u32 v11, vcc_lo, v40, v11
	v_and_b32_e32 v24, s48, v24
	v_add_co_ci_u32_e32 v12, vcc_lo, v37, v12, vcc_lo
	v_add_co_u32 v13, vcc_lo, v36, v13
	v_add_co_ci_u32_e32 v14, vcc_lo, v41, v14, vcc_lo
	s_delay_alu instid0(VALU_DEP_4)
	v_add_co_u32 v17, vcc_lo, v24, v17
	v_add_co_ci_u32_e32 v18, vcc_lo, v38, v18, vcc_lo
	v_and_b32_e32 v39, s47, v35
	v_and_b32_e32 v35, s46, v35
	v_sub_co_u32 v38, s1, s20, v11
	v_sub_co_u32 v40, s2, s44, v13
	s_delay_alu instid0(VALU_DEP_3)
	v_add_co_u32 v15, vcc_lo, v35, v15
	v_add_co_ci_u32_e32 v16, vcc_lo, v39, v16, vcc_lo
	v_sub_co_u32 v24, vcc_lo, s48, v17
	v_sub_co_ci_u32_e32 v35, vcc_lo, s49, v18, vcc_lo
	v_sub_co_ci_u32_e64 v39, s1, s21, v12, s1
	v_cmp_gt_i64_e32 vcc_lo, s[14:15], v[17:18]
	v_sub_co_u32 v36, s0, s46, v15
	v_cmp_gt_i64_e64 s1, s[26:27], v[11:12]
	v_sub_co_ci_u32_e64 v37, s0, s47, v16, s0
	v_cmp_gt_i64_e64 s0, s[30:31], v[15:16]
	v_sub_co_ci_u32_e64 v41, s2, s45, v14, s2
	v_cmp_gt_i64_e64 s2, s[28:29], v[13:14]
	v_cndmask_b32_e64 v38, v38, v11, s1
	v_cndmask_b32_e64 v39, v39, v12, s1
	v_dual_cndmask_b32 v12, v35, v18 :: v_dual_cndmask_b32 v11, v24, v17
	v_cndmask_b32_e64 v17, v36, v15, s0
	v_cndmask_b32_e64 v15, v37, v16, s0
	;; [unrolled: 1-line block ×6, first 2 shown]
	v_mul_lo_u32 v40, v31, s31
	v_mad_u64_u32 v[11:12], null, v31, s30, 0
	v_mul_lo_u32 v28, v28, s26
	v_mul_lo_u32 v41, v27, s27
	v_mad_u64_u32 v[13:14], null, v27, s26, 0
	v_cndmask_b32_e64 v37, v15, 0, s37
	v_mul_lo_u32 v30, v30, s28
	v_mul_lo_u32 v31, v29, s29
	v_mad_u64_u32 v[15:16], null, v29, s28, 0
	v_add3_u32 v32, v12, v40, v32
	v_add3_u32 v12, v14, v41, v28
	v_cndmask_b32_e64 v29, v38, 0, s37
	v_cndmask_b32_e64 v27, v39, 0, s37
	;; [unrolled: 1-line block ×4, first 2 shown]
	v_add3_u32 v14, v16, v31, v30
	v_add_co_u32 v16, vcc_lo, s18, v13
	v_add_co_ci_u32_e32 v28, vcc_lo, s19, v12, vcc_lo
	v_mad_u64_u32 v[12:13], null, v33, s14, s[18:19]
	v_mul_lo_u32 v30, v33, s15
	v_mul_lo_u32 v31, v34, s14
	v_add_co_u32 v15, vcc_lo, s18, v15
	v_add_co_ci_u32_e32 v33, vcc_lo, s19, v14, vcc_lo
	v_add_co_u32 v11, vcc_lo, s18, v11
	v_add_co_ci_u32_e32 v32, vcc_lo, s19, v32, vcc_lo
	v_add3_u32 v30, v31, v13, v30
	v_add_co_u32 v13, vcc_lo, v16, v29
	v_cndmask_b32_e64 v17, v17, 0, s37
	v_add_co_ci_u32_e32 v14, vcc_lo, v28, v27, vcc_lo
	v_add_co_u32 v15, vcc_lo, v15, v18
	v_add_co_ci_u32_e32 v16, vcc_lo, v33, v24, vcc_lo
	s_delay_alu instid0(VALU_DEP_4)
	v_add_co_u32 v17, vcc_lo, v11, v17
	v_add_co_ci_u32_e32 v18, vcc_lo, v32, v37, vcc_lo
	v_add_co_u32 v11, vcc_lo, v12, v36
	v_add_co_ci_u32_e32 v12, vcc_lo, v30, v35, vcc_lo
	s_clause 0x3
	global_load_u8 v24, v[13:14], off
	global_load_u8 v27, v[15:16], off
	;; [unrolled: 1-line block ×4, first 2 shown]
	v_add_co_u32 v9, vcc_lo, v9, s42
	v_add_co_ci_u32_e32 v10, vcc_lo, s43, v10, vcc_lo
	v_add_co_u32 v7, vcc_lo, v7, s40
	v_add_co_u32 v11, s0, s59, v0
	v_add_co_ci_u32_e32 v8, vcc_lo, s41, v8, vcc_lo
	v_add_co_ci_u32_e64 v12, null, s60, 0, s0
	v_add_co_u32 v13, s0, s57, v0
	v_add_co_u32 v5, vcc_lo, v5, s38
	v_add_co_ci_u32_e64 v14, null, s58, 0, s0
	v_add_co_u32 v15, s0, s55, v0
	v_add_co_ci_u32_e32 v6, vcc_lo, s39, v6, vcc_lo
	v_add_co_u32 v3, vcc_lo, v3, s22
	s_add_u32 s51, s51, s22
	v_add_co_ci_u32_e64 v16, null, s56, 0, s0
	v_add_co_u32 v17, s0, s53, v0
	s_addc_u32 s52, s52, s23
	v_add_co_ci_u32_e32 v4, vcc_lo, s23, v4, vcc_lo
	s_add_u32 s53, s53, s22
	v_add_co_ci_u32_e64 v18, null, s54, 0, s0
	v_add_co_u32 v25, vcc_lo, v25, -4
	s_addc_u32 s54, s54, s23
	s_add_u32 s55, s55, s22
	v_add_co_ci_u32_e32 v26, vcc_lo, -1, v26, vcc_lo
	s_addc_u32 s56, s56, s23
	s_add_u32 s57, s57, s22
	s_addc_u32 s58, s58, s23
	s_add_u32 s59, s59, s22
	s_addc_u32 s60, s60, s23
	v_cmp_eq_u64_e32 vcc_lo, 0, v[25:26]
	s_add_u32 s61, s61, s22
	s_addc_u32 s62, s62, s23
	s_add_u32 s63, s63, s22
	s_addc_u32 s64, s64, s23
	;; [unrolled: 2-line block ×3, first 2 shown]
	s_or_b32 s66, vcc_lo, s66
	s_waitcnt vmcnt(3)
	global_store_b8 v[11:12], v24, off
	s_waitcnt vmcnt(2)
	global_store_b8 v[13:14], v27, off
	;; [unrolled: 2-line block ×4, first 2 shown]
	s_and_not1_b32 exec_lo, exec_lo, s66
	s_cbranch_execz .LBB24_48
.LBB24_9:                               ; =>This Inner Loop Header: Depth=1
	v_or_b32_e32 v24, s5, v4
                                        ; implicit-def: $vgpr27_vgpr28
	s_mov_b32 s0, exec_lo
	s_delay_alu instid0(VALU_DEP_1)
	v_cmpx_ne_u64_e32 0, v[23:24]
	s_xor_b32 s1, exec_lo, s0
	s_cbranch_execz .LBB24_11
; %bb.10:                               ;   in Loop: Header=BB24_9 Depth=1
	s_ashr_i32 s2, s5, 31
	s_delay_alu instid0(SALU_CYCLE_1) | instskip(SKIP_2) | instid1(SALU_CYCLE_1)
	s_add_u32 s34, s4, s2
	s_mov_b32 s3, s2
	s_addc_u32 s35, s5, s2
	s_xor_b64 s[34:35], s[34:35], s[2:3]
	s_delay_alu instid0(SALU_CYCLE_1) | instskip(SKIP_3) | instid1(VALU_DEP_1)
	v_cvt_f32_u32_e32 v11, s34
	v_cvt_f32_u32_e32 v12, s35
	s_sub_u32 s0, 0, s34
	s_subb_u32 s3, 0, s35
	v_fmac_f32_e32 v11, 0x4f800000, v12
	s_delay_alu instid0(VALU_DEP_1) | instskip(SKIP_2) | instid1(VALU_DEP_1)
	v_rcp_f32_e32 v11, v11
	s_waitcnt_depctr 0xfff
	v_mul_f32_e32 v11, 0x5f7ffffc, v11
	v_mul_f32_e32 v12, 0x2f800000, v11
	s_delay_alu instid0(VALU_DEP_1) | instskip(NEXT) | instid1(VALU_DEP_1)
	v_trunc_f32_e32 v12, v12
	v_fmac_f32_e32 v11, 0xcf800000, v12
	v_cvt_u32_f32_e32 v12, v12
	s_delay_alu instid0(VALU_DEP_2) | instskip(NEXT) | instid1(VALU_DEP_2)
	v_cvt_u32_f32_e32 v11, v11
	v_mul_lo_u32 v13, s0, v12
	s_delay_alu instid0(VALU_DEP_2) | instskip(SKIP_1) | instid1(VALU_DEP_2)
	v_mul_hi_u32 v14, s0, v11
	v_mul_lo_u32 v15, s3, v11
	v_add_nc_u32_e32 v13, v14, v13
	v_mul_lo_u32 v14, s0, v11
	s_delay_alu instid0(VALU_DEP_2) | instskip(NEXT) | instid1(VALU_DEP_2)
	v_add_nc_u32_e32 v13, v13, v15
	v_mul_hi_u32 v15, v11, v14
	s_delay_alu instid0(VALU_DEP_2)
	v_mul_lo_u32 v16, v11, v13
	v_mul_hi_u32 v17, v11, v13
	v_mul_hi_u32 v18, v12, v14
	v_mul_lo_u32 v14, v12, v14
	v_mul_hi_u32 v24, v12, v13
	v_mul_lo_u32 v13, v12, v13
	v_add_co_u32 v15, vcc_lo, v15, v16
	v_add_co_ci_u32_e32 v16, vcc_lo, 0, v17, vcc_lo
	s_delay_alu instid0(VALU_DEP_2) | instskip(NEXT) | instid1(VALU_DEP_2)
	v_add_co_u32 v14, vcc_lo, v15, v14
	v_add_co_ci_u32_e32 v14, vcc_lo, v16, v18, vcc_lo
	v_add_co_ci_u32_e32 v15, vcc_lo, 0, v24, vcc_lo
	v_ashrrev_i32_e32 v18, 31, v4
	s_delay_alu instid0(VALU_DEP_3) | instskip(NEXT) | instid1(VALU_DEP_3)
	v_add_co_u32 v13, vcc_lo, v14, v13
	v_add_co_ci_u32_e32 v14, vcc_lo, 0, v15, vcc_lo
	s_delay_alu instid0(VALU_DEP_2) | instskip(NEXT) | instid1(VALU_DEP_2)
	v_add_co_u32 v11, vcc_lo, v11, v13
	v_add_co_ci_u32_e32 v12, vcc_lo, v12, v14, vcc_lo
	s_delay_alu instid0(VALU_DEP_2) | instskip(SKIP_1) | instid1(VALU_DEP_3)
	v_mul_hi_u32 v13, s0, v11
	v_mul_lo_u32 v15, s3, v11
	v_mul_lo_u32 v14, s0, v12
	s_delay_alu instid0(VALU_DEP_1) | instskip(SKIP_1) | instid1(VALU_DEP_2)
	v_add_nc_u32_e32 v13, v13, v14
	v_mul_lo_u32 v14, s0, v11
	v_add_nc_u32_e32 v13, v13, v15
	s_delay_alu instid0(VALU_DEP_2) | instskip(NEXT) | instid1(VALU_DEP_2)
	v_mul_hi_u32 v15, v11, v14
	v_mul_lo_u32 v16, v11, v13
	v_mul_hi_u32 v17, v11, v13
	v_mul_hi_u32 v24, v12, v14
	v_mul_lo_u32 v14, v12, v14
	v_mul_hi_u32 v27, v12, v13
	v_mul_lo_u32 v13, v12, v13
	v_add_co_u32 v15, vcc_lo, v15, v16
	v_add_co_ci_u32_e32 v16, vcc_lo, 0, v17, vcc_lo
	s_delay_alu instid0(VALU_DEP_2) | instskip(NEXT) | instid1(VALU_DEP_2)
	v_add_co_u32 v14, vcc_lo, v15, v14
	v_add_co_ci_u32_e32 v14, vcc_lo, v16, v24, vcc_lo
	v_add_co_ci_u32_e32 v15, vcc_lo, 0, v27, vcc_lo
	v_add_co_u32 v16, vcc_lo, v3, v18
	v_add_co_ci_u32_e32 v17, vcc_lo, v4, v18, vcc_lo
	s_delay_alu instid0(VALU_DEP_4) | instskip(NEXT) | instid1(VALU_DEP_4)
	v_add_co_u32 v13, vcc_lo, v14, v13
	v_add_co_ci_u32_e32 v14, vcc_lo, 0, v15, vcc_lo
	s_delay_alu instid0(VALU_DEP_4) | instskip(NEXT) | instid1(VALU_DEP_3)
	v_xor_b32_e32 v24, v16, v18
	v_add_co_u32 v15, vcc_lo, v11, v13
	s_delay_alu instid0(VALU_DEP_3) | instskip(SKIP_1) | instid1(VALU_DEP_3)
	v_add_co_ci_u32_e32 v27, vcc_lo, v12, v14, vcc_lo
	v_xor_b32_e32 v17, v17, v18
	v_mul_hi_u32 v28, v24, v15
	s_delay_alu instid0(VALU_DEP_3) | instskip(NEXT) | instid1(VALU_DEP_3)
	v_mad_u64_u32 v[11:12], null, v24, v27, 0
	v_mad_u64_u32 v[13:14], null, v17, v15, 0
	;; [unrolled: 1-line block ×3, first 2 shown]
	s_delay_alu instid0(VALU_DEP_3) | instskip(NEXT) | instid1(VALU_DEP_4)
	v_add_co_u32 v11, vcc_lo, v28, v11
	v_add_co_ci_u32_e32 v12, vcc_lo, 0, v12, vcc_lo
	s_delay_alu instid0(VALU_DEP_2) | instskip(NEXT) | instid1(VALU_DEP_2)
	v_add_co_u32 v11, vcc_lo, v11, v13
	v_add_co_ci_u32_e32 v11, vcc_lo, v12, v14, vcc_lo
	v_add_co_ci_u32_e32 v12, vcc_lo, 0, v16, vcc_lo
	s_delay_alu instid0(VALU_DEP_2) | instskip(NEXT) | instid1(VALU_DEP_2)
	v_add_co_u32 v13, vcc_lo, v11, v15
	v_add_co_ci_u32_e32 v14, vcc_lo, 0, v12, vcc_lo
	s_delay_alu instid0(VALU_DEP_2) | instskip(SKIP_1) | instid1(VALU_DEP_3)
	v_mul_lo_u32 v15, s35, v13
	v_mad_u64_u32 v[11:12], null, s34, v13, 0
	v_mul_lo_u32 v16, s34, v14
	s_delay_alu instid0(VALU_DEP_2) | instskip(NEXT) | instid1(VALU_DEP_2)
	v_sub_co_u32 v11, vcc_lo, v24, v11
	v_add3_u32 v12, v12, v16, v15
	s_delay_alu instid0(VALU_DEP_1) | instskip(NEXT) | instid1(VALU_DEP_1)
	v_sub_nc_u32_e32 v15, v17, v12
	v_subrev_co_ci_u32_e64 v15, s0, s35, v15, vcc_lo
	v_add_co_u32 v16, s0, v13, 2
	s_delay_alu instid0(VALU_DEP_1) | instskip(SKIP_3) | instid1(VALU_DEP_3)
	v_add_co_ci_u32_e64 v24, s0, 0, v14, s0
	v_sub_co_u32 v27, s0, v11, s34
	v_sub_co_ci_u32_e32 v12, vcc_lo, v17, v12, vcc_lo
	v_subrev_co_ci_u32_e64 v15, s0, 0, v15, s0
	v_cmp_le_u32_e32 vcc_lo, s34, v27
	s_delay_alu instid0(VALU_DEP_3) | instskip(SKIP_1) | instid1(VALU_DEP_4)
	v_cmp_eq_u32_e64 s0, s35, v12
	v_cndmask_b32_e64 v17, 0, -1, vcc_lo
	v_cmp_le_u32_e32 vcc_lo, s35, v15
	v_cndmask_b32_e64 v27, 0, -1, vcc_lo
	v_cmp_le_u32_e32 vcc_lo, s34, v11
	;; [unrolled: 2-line block ×3, first 2 shown]
	v_cndmask_b32_e64 v28, 0, -1, vcc_lo
	v_cmp_eq_u32_e32 vcc_lo, s35, v15
	s_delay_alu instid0(VALU_DEP_2) | instskip(SKIP_3) | instid1(VALU_DEP_3)
	v_cndmask_b32_e64 v11, v28, v11, s0
	v_cndmask_b32_e32 v15, v27, v17, vcc_lo
	v_add_co_u32 v17, vcc_lo, v13, 1
	v_add_co_ci_u32_e32 v27, vcc_lo, 0, v14, vcc_lo
	v_cmp_ne_u32_e32 vcc_lo, 0, v15
	s_delay_alu instid0(VALU_DEP_2) | instskip(NEXT) | instid1(VALU_DEP_4)
	v_cndmask_b32_e32 v12, v27, v24, vcc_lo
	v_cndmask_b32_e32 v15, v17, v16, vcc_lo
	v_cmp_ne_u32_e32 vcc_lo, 0, v11
	v_xor_b32_e32 v11, s2, v18
	s_delay_alu instid0(VALU_DEP_3) | instskip(NEXT) | instid1(VALU_DEP_1)
	v_dual_cndmask_b32 v12, v14, v12 :: v_dual_cndmask_b32 v13, v13, v15
	v_xor_b32_e32 v12, v12, v11
	s_delay_alu instid0(VALU_DEP_2) | instskip(NEXT) | instid1(VALU_DEP_1)
	v_xor_b32_e32 v13, v13, v11
	v_sub_co_u32 v27, vcc_lo, v13, v11
	s_delay_alu instid0(VALU_DEP_3)
	v_sub_co_ci_u32_e32 v28, vcc_lo, v12, v11, vcc_lo
.LBB24_11:                              ;   in Loop: Header=BB24_9 Depth=1
	s_or_saveexec_b32 s0, s1
	v_cvt_f32_u32_e32 v11, s4
	s_delay_alu instid0(VALU_DEP_1)
	v_rcp_iflag_f32_e32 v11, v11
	s_xor_b32 exec_lo, exec_lo, s0
	s_cbranch_execz .LBB24_13
; %bb.12:                               ;   in Loop: Header=BB24_9 Depth=1
	s_waitcnt_depctr 0xfff
	v_mul_f32_e32 v12, 0x4f7ffffe, v11
	s_sub_i32 s1, 0, s4
	v_mov_b32_e32 v28, v23
	s_delay_alu instid0(VALU_DEP_2) | instskip(NEXT) | instid1(VALU_DEP_1)
	v_cvt_u32_f32_e32 v12, v12
	v_mul_lo_u32 v13, s1, v12
	s_delay_alu instid0(VALU_DEP_1) | instskip(NEXT) | instid1(VALU_DEP_1)
	v_mul_hi_u32 v13, v12, v13
	v_add_nc_u32_e32 v12, v12, v13
	s_delay_alu instid0(VALU_DEP_1) | instskip(NEXT) | instid1(VALU_DEP_1)
	v_mul_hi_u32 v12, v3, v12
	v_mul_lo_u32 v13, v12, s4
	v_add_nc_u32_e32 v14, 1, v12
	s_delay_alu instid0(VALU_DEP_2) | instskip(NEXT) | instid1(VALU_DEP_1)
	v_sub_nc_u32_e32 v13, v3, v13
	v_subrev_nc_u32_e32 v15, s4, v13
	v_cmp_le_u32_e32 vcc_lo, s4, v13
	s_delay_alu instid0(VALU_DEP_2) | instskip(NEXT) | instid1(VALU_DEP_1)
	v_dual_cndmask_b32 v13, v13, v15 :: v_dual_cndmask_b32 v12, v12, v14
	v_cmp_le_u32_e32 vcc_lo, s4, v13
	s_delay_alu instid0(VALU_DEP_2) | instskip(NEXT) | instid1(VALU_DEP_1)
	v_add_nc_u32_e32 v14, 1, v12
	v_cndmask_b32_e32 v27, v12, v14, vcc_lo
.LBB24_13:                              ;   in Loop: Header=BB24_9 Depth=1
	s_or_b32 exec_lo, exec_lo, s0
	v_or_b32_e32 v24, s5, v6
                                        ; implicit-def: $vgpr29_vgpr30
	s_mov_b32 s0, exec_lo
	s_delay_alu instid0(VALU_DEP_1)
	v_cmpx_ne_u64_e32 0, v[23:24]
	s_xor_b32 s1, exec_lo, s0
	s_cbranch_execz .LBB24_15
; %bb.14:                               ;   in Loop: Header=BB24_9 Depth=1
	s_ashr_i32 s2, s5, 31
	s_delay_alu instid0(SALU_CYCLE_1) | instskip(SKIP_2) | instid1(SALU_CYCLE_1)
	s_add_u32 s34, s4, s2
	s_mov_b32 s3, s2
	s_addc_u32 s35, s5, s2
	s_xor_b64 s[34:35], s[34:35], s[2:3]
	s_delay_alu instid0(SALU_CYCLE_1) | instskip(SKIP_3) | instid1(VALU_DEP_1)
	v_cvt_f32_u32_e32 v12, s34
	v_cvt_f32_u32_e32 v13, s35
	s_sub_u32 s0, 0, s34
	s_subb_u32 s3, 0, s35
	v_fmac_f32_e32 v12, 0x4f800000, v13
	s_delay_alu instid0(VALU_DEP_1) | instskip(SKIP_2) | instid1(VALU_DEP_1)
	v_rcp_f32_e32 v12, v12
	s_waitcnt_depctr 0xfff
	v_mul_f32_e32 v12, 0x5f7ffffc, v12
	v_mul_f32_e32 v13, 0x2f800000, v12
	s_delay_alu instid0(VALU_DEP_1) | instskip(NEXT) | instid1(VALU_DEP_1)
	v_trunc_f32_e32 v13, v13
	v_fmac_f32_e32 v12, 0xcf800000, v13
	v_cvt_u32_f32_e32 v13, v13
	s_delay_alu instid0(VALU_DEP_2) | instskip(NEXT) | instid1(VALU_DEP_2)
	v_cvt_u32_f32_e32 v12, v12
	v_mul_lo_u32 v14, s0, v13
	s_delay_alu instid0(VALU_DEP_2) | instskip(SKIP_1) | instid1(VALU_DEP_2)
	v_mul_hi_u32 v15, s0, v12
	v_mul_lo_u32 v16, s3, v12
	v_add_nc_u32_e32 v14, v15, v14
	v_mul_lo_u32 v15, s0, v12
	s_delay_alu instid0(VALU_DEP_2) | instskip(NEXT) | instid1(VALU_DEP_2)
	v_add_nc_u32_e32 v14, v14, v16
	v_mul_hi_u32 v16, v12, v15
	s_delay_alu instid0(VALU_DEP_2)
	v_mul_lo_u32 v17, v12, v14
	v_mul_hi_u32 v18, v12, v14
	v_mul_hi_u32 v24, v13, v15
	v_mul_lo_u32 v15, v13, v15
	v_mul_hi_u32 v29, v13, v14
	v_mul_lo_u32 v14, v13, v14
	v_add_co_u32 v16, vcc_lo, v16, v17
	v_add_co_ci_u32_e32 v17, vcc_lo, 0, v18, vcc_lo
	s_delay_alu instid0(VALU_DEP_2) | instskip(NEXT) | instid1(VALU_DEP_2)
	v_add_co_u32 v15, vcc_lo, v16, v15
	v_add_co_ci_u32_e32 v15, vcc_lo, v17, v24, vcc_lo
	v_add_co_ci_u32_e32 v16, vcc_lo, 0, v29, vcc_lo
	v_ashrrev_i32_e32 v24, 31, v6
	s_delay_alu instid0(VALU_DEP_3) | instskip(NEXT) | instid1(VALU_DEP_3)
	v_add_co_u32 v14, vcc_lo, v15, v14
	v_add_co_ci_u32_e32 v15, vcc_lo, 0, v16, vcc_lo
	s_delay_alu instid0(VALU_DEP_2) | instskip(NEXT) | instid1(VALU_DEP_2)
	v_add_co_u32 v12, vcc_lo, v12, v14
	v_add_co_ci_u32_e32 v13, vcc_lo, v13, v15, vcc_lo
	s_delay_alu instid0(VALU_DEP_2) | instskip(SKIP_1) | instid1(VALU_DEP_3)
	v_mul_hi_u32 v14, s0, v12
	v_mul_lo_u32 v16, s3, v12
	v_mul_lo_u32 v15, s0, v13
	s_delay_alu instid0(VALU_DEP_1) | instskip(SKIP_1) | instid1(VALU_DEP_2)
	v_add_nc_u32_e32 v14, v14, v15
	v_mul_lo_u32 v15, s0, v12
	v_add_nc_u32_e32 v14, v14, v16
	s_delay_alu instid0(VALU_DEP_2) | instskip(NEXT) | instid1(VALU_DEP_2)
	v_mul_hi_u32 v16, v12, v15
	v_mul_lo_u32 v17, v12, v14
	v_mul_hi_u32 v18, v12, v14
	v_mul_hi_u32 v29, v13, v15
	v_mul_lo_u32 v15, v13, v15
	v_mul_hi_u32 v30, v13, v14
	v_mul_lo_u32 v14, v13, v14
	v_add_co_u32 v16, vcc_lo, v16, v17
	v_add_co_ci_u32_e32 v17, vcc_lo, 0, v18, vcc_lo
	s_delay_alu instid0(VALU_DEP_2) | instskip(NEXT) | instid1(VALU_DEP_2)
	v_add_co_u32 v15, vcc_lo, v16, v15
	v_add_co_ci_u32_e32 v15, vcc_lo, v17, v29, vcc_lo
	v_add_co_ci_u32_e32 v16, vcc_lo, 0, v30, vcc_lo
	v_add_co_u32 v17, vcc_lo, v5, v24
	v_add_co_ci_u32_e32 v18, vcc_lo, v6, v24, vcc_lo
	s_delay_alu instid0(VALU_DEP_4) | instskip(NEXT) | instid1(VALU_DEP_4)
	v_add_co_u32 v14, vcc_lo, v15, v14
	v_add_co_ci_u32_e32 v15, vcc_lo, 0, v16, vcc_lo
	s_delay_alu instid0(VALU_DEP_4) | instskip(NEXT) | instid1(VALU_DEP_3)
	v_xor_b32_e32 v29, v17, v24
	v_add_co_u32 v16, vcc_lo, v12, v14
	s_delay_alu instid0(VALU_DEP_3) | instskip(SKIP_1) | instid1(VALU_DEP_3)
	v_add_co_ci_u32_e32 v30, vcc_lo, v13, v15, vcc_lo
	v_xor_b32_e32 v18, v18, v24
	v_mul_hi_u32 v31, v29, v16
	s_delay_alu instid0(VALU_DEP_3) | instskip(NEXT) | instid1(VALU_DEP_3)
	v_mad_u64_u32 v[12:13], null, v29, v30, 0
	v_mad_u64_u32 v[14:15], null, v18, v16, 0
	v_mad_u64_u32 v[16:17], null, v18, v30, 0
	s_delay_alu instid0(VALU_DEP_3) | instskip(NEXT) | instid1(VALU_DEP_4)
	v_add_co_u32 v12, vcc_lo, v31, v12
	v_add_co_ci_u32_e32 v13, vcc_lo, 0, v13, vcc_lo
	s_delay_alu instid0(VALU_DEP_2) | instskip(NEXT) | instid1(VALU_DEP_2)
	v_add_co_u32 v12, vcc_lo, v12, v14
	v_add_co_ci_u32_e32 v12, vcc_lo, v13, v15, vcc_lo
	v_add_co_ci_u32_e32 v13, vcc_lo, 0, v17, vcc_lo
	s_delay_alu instid0(VALU_DEP_2) | instskip(NEXT) | instid1(VALU_DEP_2)
	v_add_co_u32 v14, vcc_lo, v12, v16
	v_add_co_ci_u32_e32 v15, vcc_lo, 0, v13, vcc_lo
	s_delay_alu instid0(VALU_DEP_2) | instskip(SKIP_1) | instid1(VALU_DEP_3)
	v_mul_lo_u32 v16, s35, v14
	v_mad_u64_u32 v[12:13], null, s34, v14, 0
	v_mul_lo_u32 v17, s34, v15
	s_delay_alu instid0(VALU_DEP_2) | instskip(NEXT) | instid1(VALU_DEP_2)
	v_sub_co_u32 v12, vcc_lo, v29, v12
	v_add3_u32 v13, v13, v17, v16
	s_delay_alu instid0(VALU_DEP_1) | instskip(NEXT) | instid1(VALU_DEP_1)
	v_sub_nc_u32_e32 v16, v18, v13
	v_subrev_co_ci_u32_e64 v16, s0, s35, v16, vcc_lo
	v_add_co_u32 v17, s0, v14, 2
	s_delay_alu instid0(VALU_DEP_1) | instskip(SKIP_3) | instid1(VALU_DEP_3)
	v_add_co_ci_u32_e64 v29, s0, 0, v15, s0
	v_sub_co_u32 v30, s0, v12, s34
	v_sub_co_ci_u32_e32 v13, vcc_lo, v18, v13, vcc_lo
	v_subrev_co_ci_u32_e64 v16, s0, 0, v16, s0
	v_cmp_le_u32_e32 vcc_lo, s34, v30
	s_delay_alu instid0(VALU_DEP_3) | instskip(SKIP_1) | instid1(VALU_DEP_4)
	v_cmp_eq_u32_e64 s0, s35, v13
	v_cndmask_b32_e64 v18, 0, -1, vcc_lo
	v_cmp_le_u32_e32 vcc_lo, s35, v16
	v_cndmask_b32_e64 v30, 0, -1, vcc_lo
	v_cmp_le_u32_e32 vcc_lo, s34, v12
	;; [unrolled: 2-line block ×3, first 2 shown]
	v_cndmask_b32_e64 v31, 0, -1, vcc_lo
	v_cmp_eq_u32_e32 vcc_lo, s35, v16
	s_delay_alu instid0(VALU_DEP_2) | instskip(SKIP_3) | instid1(VALU_DEP_3)
	v_cndmask_b32_e64 v12, v31, v12, s0
	v_cndmask_b32_e32 v16, v30, v18, vcc_lo
	v_add_co_u32 v18, vcc_lo, v14, 1
	v_add_co_ci_u32_e32 v30, vcc_lo, 0, v15, vcc_lo
	v_cmp_ne_u32_e32 vcc_lo, 0, v16
	s_delay_alu instid0(VALU_DEP_2) | instskip(NEXT) | instid1(VALU_DEP_4)
	v_cndmask_b32_e32 v13, v30, v29, vcc_lo
	v_cndmask_b32_e32 v16, v18, v17, vcc_lo
	v_cmp_ne_u32_e32 vcc_lo, 0, v12
	v_xor_b32_e32 v12, s2, v24
	s_delay_alu instid0(VALU_DEP_3) | instskip(NEXT) | instid1(VALU_DEP_1)
	v_dual_cndmask_b32 v13, v15, v13 :: v_dual_cndmask_b32 v14, v14, v16
	v_xor_b32_e32 v13, v13, v12
	s_delay_alu instid0(VALU_DEP_2) | instskip(NEXT) | instid1(VALU_DEP_1)
	v_xor_b32_e32 v14, v14, v12
	v_sub_co_u32 v29, vcc_lo, v14, v12
	s_delay_alu instid0(VALU_DEP_3)
	v_sub_co_ci_u32_e32 v30, vcc_lo, v13, v12, vcc_lo
.LBB24_15:                              ;   in Loop: Header=BB24_9 Depth=1
	s_and_not1_saveexec_b32 s0, s1
	s_cbranch_execz .LBB24_17
; %bb.16:                               ;   in Loop: Header=BB24_9 Depth=1
	s_waitcnt_depctr 0xfff
	v_mul_f32_e32 v12, 0x4f7ffffe, v11
	s_sub_i32 s1, 0, s4
	v_mov_b32_e32 v30, v23
	s_delay_alu instid0(VALU_DEP_2) | instskip(NEXT) | instid1(VALU_DEP_1)
	v_cvt_u32_f32_e32 v12, v12
	v_mul_lo_u32 v13, s1, v12
	s_delay_alu instid0(VALU_DEP_1) | instskip(NEXT) | instid1(VALU_DEP_1)
	v_mul_hi_u32 v13, v12, v13
	v_add_nc_u32_e32 v12, v12, v13
	s_delay_alu instid0(VALU_DEP_1) | instskip(NEXT) | instid1(VALU_DEP_1)
	v_mul_hi_u32 v12, v5, v12
	v_mul_lo_u32 v13, v12, s4
	v_add_nc_u32_e32 v14, 1, v12
	s_delay_alu instid0(VALU_DEP_2) | instskip(NEXT) | instid1(VALU_DEP_1)
	v_sub_nc_u32_e32 v13, v5, v13
	v_subrev_nc_u32_e32 v15, s4, v13
	v_cmp_le_u32_e32 vcc_lo, s4, v13
	s_delay_alu instid0(VALU_DEP_2) | instskip(NEXT) | instid1(VALU_DEP_1)
	v_dual_cndmask_b32 v13, v13, v15 :: v_dual_cndmask_b32 v12, v12, v14
	v_cmp_le_u32_e32 vcc_lo, s4, v13
	s_delay_alu instid0(VALU_DEP_2) | instskip(NEXT) | instid1(VALU_DEP_1)
	v_add_nc_u32_e32 v14, 1, v12
	v_cndmask_b32_e32 v29, v12, v14, vcc_lo
.LBB24_17:                              ;   in Loop: Header=BB24_9 Depth=1
	s_or_b32 exec_lo, exec_lo, s0
	v_or_b32_e32 v24, s5, v8
                                        ; implicit-def: $vgpr31_vgpr32
	s_mov_b32 s0, exec_lo
	s_delay_alu instid0(VALU_DEP_1)
	v_cmpx_ne_u64_e32 0, v[23:24]
	s_xor_b32 s1, exec_lo, s0
	s_cbranch_execz .LBB24_19
; %bb.18:                               ;   in Loop: Header=BB24_9 Depth=1
	s_ashr_i32 s2, s5, 31
	s_delay_alu instid0(SALU_CYCLE_1) | instskip(SKIP_2) | instid1(SALU_CYCLE_1)
	s_add_u32 s34, s4, s2
	s_mov_b32 s3, s2
	s_addc_u32 s35, s5, s2
	s_xor_b64 s[34:35], s[34:35], s[2:3]
	s_delay_alu instid0(SALU_CYCLE_1) | instskip(SKIP_3) | instid1(VALU_DEP_1)
	v_cvt_f32_u32_e32 v12, s34
	v_cvt_f32_u32_e32 v13, s35
	s_sub_u32 s0, 0, s34
	s_subb_u32 s3, 0, s35
	v_fmac_f32_e32 v12, 0x4f800000, v13
	s_delay_alu instid0(VALU_DEP_1) | instskip(SKIP_2) | instid1(VALU_DEP_1)
	v_rcp_f32_e32 v12, v12
	s_waitcnt_depctr 0xfff
	v_mul_f32_e32 v12, 0x5f7ffffc, v12
	v_mul_f32_e32 v13, 0x2f800000, v12
	s_delay_alu instid0(VALU_DEP_1) | instskip(NEXT) | instid1(VALU_DEP_1)
	v_trunc_f32_e32 v13, v13
	v_fmac_f32_e32 v12, 0xcf800000, v13
	v_cvt_u32_f32_e32 v13, v13
	s_delay_alu instid0(VALU_DEP_2) | instskip(NEXT) | instid1(VALU_DEP_2)
	v_cvt_u32_f32_e32 v12, v12
	v_mul_lo_u32 v14, s0, v13
	s_delay_alu instid0(VALU_DEP_2) | instskip(SKIP_1) | instid1(VALU_DEP_2)
	v_mul_hi_u32 v15, s0, v12
	v_mul_lo_u32 v16, s3, v12
	v_add_nc_u32_e32 v14, v15, v14
	v_mul_lo_u32 v15, s0, v12
	s_delay_alu instid0(VALU_DEP_2) | instskip(NEXT) | instid1(VALU_DEP_2)
	v_add_nc_u32_e32 v14, v14, v16
	v_mul_hi_u32 v16, v12, v15
	s_delay_alu instid0(VALU_DEP_2)
	v_mul_lo_u32 v17, v12, v14
	v_mul_hi_u32 v18, v12, v14
	v_mul_hi_u32 v24, v13, v15
	v_mul_lo_u32 v15, v13, v15
	v_mul_hi_u32 v31, v13, v14
	v_mul_lo_u32 v14, v13, v14
	v_add_co_u32 v16, vcc_lo, v16, v17
	v_add_co_ci_u32_e32 v17, vcc_lo, 0, v18, vcc_lo
	s_delay_alu instid0(VALU_DEP_2) | instskip(NEXT) | instid1(VALU_DEP_2)
	v_add_co_u32 v15, vcc_lo, v16, v15
	v_add_co_ci_u32_e32 v15, vcc_lo, v17, v24, vcc_lo
	v_add_co_ci_u32_e32 v16, vcc_lo, 0, v31, vcc_lo
	v_ashrrev_i32_e32 v24, 31, v8
	s_delay_alu instid0(VALU_DEP_3) | instskip(NEXT) | instid1(VALU_DEP_3)
	v_add_co_u32 v14, vcc_lo, v15, v14
	v_add_co_ci_u32_e32 v15, vcc_lo, 0, v16, vcc_lo
	s_delay_alu instid0(VALU_DEP_2) | instskip(NEXT) | instid1(VALU_DEP_2)
	v_add_co_u32 v12, vcc_lo, v12, v14
	v_add_co_ci_u32_e32 v13, vcc_lo, v13, v15, vcc_lo
	s_delay_alu instid0(VALU_DEP_2) | instskip(SKIP_1) | instid1(VALU_DEP_3)
	v_mul_hi_u32 v14, s0, v12
	v_mul_lo_u32 v16, s3, v12
	v_mul_lo_u32 v15, s0, v13
	s_delay_alu instid0(VALU_DEP_1) | instskip(SKIP_1) | instid1(VALU_DEP_2)
	v_add_nc_u32_e32 v14, v14, v15
	v_mul_lo_u32 v15, s0, v12
	v_add_nc_u32_e32 v14, v14, v16
	s_delay_alu instid0(VALU_DEP_2) | instskip(NEXT) | instid1(VALU_DEP_2)
	v_mul_hi_u32 v16, v12, v15
	v_mul_lo_u32 v17, v12, v14
	v_mul_hi_u32 v18, v12, v14
	v_mul_hi_u32 v31, v13, v15
	v_mul_lo_u32 v15, v13, v15
	v_mul_hi_u32 v32, v13, v14
	v_mul_lo_u32 v14, v13, v14
	v_add_co_u32 v16, vcc_lo, v16, v17
	v_add_co_ci_u32_e32 v17, vcc_lo, 0, v18, vcc_lo
	s_delay_alu instid0(VALU_DEP_2) | instskip(NEXT) | instid1(VALU_DEP_2)
	v_add_co_u32 v15, vcc_lo, v16, v15
	v_add_co_ci_u32_e32 v15, vcc_lo, v17, v31, vcc_lo
	v_add_co_ci_u32_e32 v16, vcc_lo, 0, v32, vcc_lo
	v_add_co_u32 v17, vcc_lo, v7, v24
	v_add_co_ci_u32_e32 v18, vcc_lo, v8, v24, vcc_lo
	s_delay_alu instid0(VALU_DEP_4) | instskip(NEXT) | instid1(VALU_DEP_4)
	v_add_co_u32 v14, vcc_lo, v15, v14
	v_add_co_ci_u32_e32 v15, vcc_lo, 0, v16, vcc_lo
	s_delay_alu instid0(VALU_DEP_4) | instskip(NEXT) | instid1(VALU_DEP_3)
	v_xor_b32_e32 v31, v17, v24
	v_add_co_u32 v16, vcc_lo, v12, v14
	s_delay_alu instid0(VALU_DEP_3) | instskip(SKIP_1) | instid1(VALU_DEP_3)
	v_add_co_ci_u32_e32 v32, vcc_lo, v13, v15, vcc_lo
	v_xor_b32_e32 v18, v18, v24
	v_mul_hi_u32 v33, v31, v16
	s_delay_alu instid0(VALU_DEP_3) | instskip(NEXT) | instid1(VALU_DEP_3)
	v_mad_u64_u32 v[12:13], null, v31, v32, 0
	v_mad_u64_u32 v[14:15], null, v18, v16, 0
	;; [unrolled: 1-line block ×3, first 2 shown]
	s_delay_alu instid0(VALU_DEP_3) | instskip(NEXT) | instid1(VALU_DEP_4)
	v_add_co_u32 v12, vcc_lo, v33, v12
	v_add_co_ci_u32_e32 v13, vcc_lo, 0, v13, vcc_lo
	s_delay_alu instid0(VALU_DEP_2) | instskip(NEXT) | instid1(VALU_DEP_2)
	v_add_co_u32 v12, vcc_lo, v12, v14
	v_add_co_ci_u32_e32 v12, vcc_lo, v13, v15, vcc_lo
	v_add_co_ci_u32_e32 v13, vcc_lo, 0, v17, vcc_lo
	s_delay_alu instid0(VALU_DEP_2) | instskip(NEXT) | instid1(VALU_DEP_2)
	v_add_co_u32 v14, vcc_lo, v12, v16
	v_add_co_ci_u32_e32 v15, vcc_lo, 0, v13, vcc_lo
	s_delay_alu instid0(VALU_DEP_2) | instskip(SKIP_1) | instid1(VALU_DEP_3)
	v_mul_lo_u32 v16, s35, v14
	v_mad_u64_u32 v[12:13], null, s34, v14, 0
	v_mul_lo_u32 v17, s34, v15
	s_delay_alu instid0(VALU_DEP_2) | instskip(NEXT) | instid1(VALU_DEP_2)
	v_sub_co_u32 v12, vcc_lo, v31, v12
	v_add3_u32 v13, v13, v17, v16
	s_delay_alu instid0(VALU_DEP_1) | instskip(NEXT) | instid1(VALU_DEP_1)
	v_sub_nc_u32_e32 v16, v18, v13
	v_subrev_co_ci_u32_e64 v16, s0, s35, v16, vcc_lo
	v_add_co_u32 v17, s0, v14, 2
	s_delay_alu instid0(VALU_DEP_1) | instskip(SKIP_3) | instid1(VALU_DEP_3)
	v_add_co_ci_u32_e64 v31, s0, 0, v15, s0
	v_sub_co_u32 v32, s0, v12, s34
	v_sub_co_ci_u32_e32 v13, vcc_lo, v18, v13, vcc_lo
	v_subrev_co_ci_u32_e64 v16, s0, 0, v16, s0
	v_cmp_le_u32_e32 vcc_lo, s34, v32
	s_delay_alu instid0(VALU_DEP_3) | instskip(SKIP_1) | instid1(VALU_DEP_4)
	v_cmp_eq_u32_e64 s0, s35, v13
	v_cndmask_b32_e64 v18, 0, -1, vcc_lo
	v_cmp_le_u32_e32 vcc_lo, s35, v16
	v_cndmask_b32_e64 v32, 0, -1, vcc_lo
	v_cmp_le_u32_e32 vcc_lo, s34, v12
	;; [unrolled: 2-line block ×3, first 2 shown]
	v_cndmask_b32_e64 v33, 0, -1, vcc_lo
	v_cmp_eq_u32_e32 vcc_lo, s35, v16
	s_delay_alu instid0(VALU_DEP_2) | instskip(SKIP_3) | instid1(VALU_DEP_3)
	v_cndmask_b32_e64 v12, v33, v12, s0
	v_cndmask_b32_e32 v16, v32, v18, vcc_lo
	v_add_co_u32 v18, vcc_lo, v14, 1
	v_add_co_ci_u32_e32 v32, vcc_lo, 0, v15, vcc_lo
	v_cmp_ne_u32_e32 vcc_lo, 0, v16
	s_delay_alu instid0(VALU_DEP_2) | instskip(SKIP_2) | instid1(VALU_DEP_3)
	v_dual_cndmask_b32 v13, v32, v31 :: v_dual_cndmask_b32 v16, v18, v17
	v_cmp_ne_u32_e32 vcc_lo, 0, v12
	v_xor_b32_e32 v12, s2, v24
	v_dual_cndmask_b32 v14, v14, v16 :: v_dual_cndmask_b32 v13, v15, v13
	s_delay_alu instid0(VALU_DEP_1) | instskip(NEXT) | instid1(VALU_DEP_2)
	v_xor_b32_e32 v14, v14, v12
	v_xor_b32_e32 v13, v13, v12
	s_delay_alu instid0(VALU_DEP_2) | instskip(NEXT) | instid1(VALU_DEP_2)
	v_sub_co_u32 v31, vcc_lo, v14, v12
	v_sub_co_ci_u32_e32 v32, vcc_lo, v13, v12, vcc_lo
.LBB24_19:                              ;   in Loop: Header=BB24_9 Depth=1
	s_and_not1_saveexec_b32 s0, s1
	s_cbranch_execz .LBB24_21
; %bb.20:                               ;   in Loop: Header=BB24_9 Depth=1
	s_waitcnt_depctr 0xfff
	v_mul_f32_e32 v12, 0x4f7ffffe, v11
	s_sub_i32 s1, 0, s4
	v_mov_b32_e32 v32, v23
	s_delay_alu instid0(VALU_DEP_2) | instskip(NEXT) | instid1(VALU_DEP_1)
	v_cvt_u32_f32_e32 v12, v12
	v_mul_lo_u32 v13, s1, v12
	s_delay_alu instid0(VALU_DEP_1) | instskip(NEXT) | instid1(VALU_DEP_1)
	v_mul_hi_u32 v13, v12, v13
	v_add_nc_u32_e32 v12, v12, v13
	s_delay_alu instid0(VALU_DEP_1) | instskip(NEXT) | instid1(VALU_DEP_1)
	v_mul_hi_u32 v12, v7, v12
	v_mul_lo_u32 v13, v12, s4
	v_add_nc_u32_e32 v14, 1, v12
	s_delay_alu instid0(VALU_DEP_2) | instskip(NEXT) | instid1(VALU_DEP_1)
	v_sub_nc_u32_e32 v13, v7, v13
	v_subrev_nc_u32_e32 v15, s4, v13
	v_cmp_le_u32_e32 vcc_lo, s4, v13
	s_delay_alu instid0(VALU_DEP_2) | instskip(NEXT) | instid1(VALU_DEP_1)
	v_dual_cndmask_b32 v13, v13, v15 :: v_dual_cndmask_b32 v12, v12, v14
	v_cmp_le_u32_e32 vcc_lo, s4, v13
	s_delay_alu instid0(VALU_DEP_2) | instskip(NEXT) | instid1(VALU_DEP_1)
	v_add_nc_u32_e32 v14, 1, v12
	v_cndmask_b32_e32 v31, v12, v14, vcc_lo
.LBB24_21:                              ;   in Loop: Header=BB24_9 Depth=1
	s_or_b32 exec_lo, exec_lo, s0
	v_or_b32_e32 v24, s5, v10
                                        ; implicit-def: $vgpr33_vgpr34
	s_mov_b32 s0, exec_lo
	s_delay_alu instid0(VALU_DEP_1)
	v_cmpx_ne_u64_e32 0, v[23:24]
	s_xor_b32 s1, exec_lo, s0
	s_cbranch_execnz .LBB24_27
; %bb.22:                               ;   in Loop: Header=BB24_9 Depth=1
	s_and_not1_saveexec_b32 s0, s1
	s_cbranch_execnz .LBB24_28
.LBB24_23:                              ;   in Loop: Header=BB24_9 Depth=1
	s_or_b32 exec_lo, exec_lo, s0
	s_delay_alu instid0(SALU_CYCLE_1)
	s_and_not1_b32 vcc_lo, exec_lo, s50
                                        ; implicit-def: $vgpr11_vgpr12_vgpr13_vgpr14_vgpr15_vgpr16_vgpr17_vgpr18
	s_cbranch_vccz .LBB24_29
.LBB24_24:                              ;   in Loop: Header=BB24_9 Depth=1
	s_and_not1_b32 vcc_lo, exec_lo, s50
	s_cbranch_vccz .LBB24_34
.LBB24_25:                              ;   in Loop: Header=BB24_9 Depth=1
	s_and_not1_b32 vcc_lo, exec_lo, s50
	s_cbranch_vccz .LBB24_39
.LBB24_26:                              ;   in Loop: Header=BB24_9 Depth=1
	s_and_not1_b32 vcc_lo, exec_lo, s50
	s_cbranch_vccnz .LBB24_8
	s_branch .LBB24_44
.LBB24_27:                              ;   in Loop: Header=BB24_9 Depth=1
	s_ashr_i32 s2, s5, 31
	s_delay_alu instid0(SALU_CYCLE_1) | instskip(SKIP_2) | instid1(SALU_CYCLE_1)
	s_add_u32 s34, s4, s2
	s_mov_b32 s3, s2
	s_addc_u32 s35, s5, s2
	s_xor_b64 s[34:35], s[34:35], s[2:3]
	s_delay_alu instid0(SALU_CYCLE_1) | instskip(SKIP_3) | instid1(VALU_DEP_1)
	v_cvt_f32_u32_e32 v11, s34
	v_cvt_f32_u32_e32 v12, s35
	s_sub_u32 s0, 0, s34
	s_subb_u32 s3, 0, s35
	v_fmac_f32_e32 v11, 0x4f800000, v12
	s_delay_alu instid0(VALU_DEP_1) | instskip(SKIP_2) | instid1(VALU_DEP_1)
	v_rcp_f32_e32 v11, v11
	s_waitcnt_depctr 0xfff
	v_mul_f32_e32 v11, 0x5f7ffffc, v11
	v_mul_f32_e32 v12, 0x2f800000, v11
	s_delay_alu instid0(VALU_DEP_1) | instskip(NEXT) | instid1(VALU_DEP_1)
	v_trunc_f32_e32 v12, v12
	v_fmac_f32_e32 v11, 0xcf800000, v12
	v_cvt_u32_f32_e32 v12, v12
	s_delay_alu instid0(VALU_DEP_2) | instskip(NEXT) | instid1(VALU_DEP_2)
	v_cvt_u32_f32_e32 v11, v11
	v_mul_lo_u32 v13, s0, v12
	s_delay_alu instid0(VALU_DEP_2) | instskip(SKIP_1) | instid1(VALU_DEP_2)
	v_mul_hi_u32 v14, s0, v11
	v_mul_lo_u32 v15, s3, v11
	v_add_nc_u32_e32 v13, v14, v13
	v_mul_lo_u32 v14, s0, v11
	s_delay_alu instid0(VALU_DEP_2) | instskip(NEXT) | instid1(VALU_DEP_2)
	v_add_nc_u32_e32 v13, v13, v15
	v_mul_hi_u32 v15, v11, v14
	s_delay_alu instid0(VALU_DEP_2)
	v_mul_lo_u32 v16, v11, v13
	v_mul_hi_u32 v17, v11, v13
	v_mul_hi_u32 v18, v12, v14
	v_mul_lo_u32 v14, v12, v14
	v_mul_hi_u32 v24, v12, v13
	v_mul_lo_u32 v13, v12, v13
	v_add_co_u32 v15, vcc_lo, v15, v16
	v_add_co_ci_u32_e32 v16, vcc_lo, 0, v17, vcc_lo
	s_delay_alu instid0(VALU_DEP_2) | instskip(NEXT) | instid1(VALU_DEP_2)
	v_add_co_u32 v14, vcc_lo, v15, v14
	v_add_co_ci_u32_e32 v14, vcc_lo, v16, v18, vcc_lo
	v_add_co_ci_u32_e32 v15, vcc_lo, 0, v24, vcc_lo
	v_ashrrev_i32_e32 v18, 31, v10
	s_delay_alu instid0(VALU_DEP_3) | instskip(NEXT) | instid1(VALU_DEP_3)
	v_add_co_u32 v13, vcc_lo, v14, v13
	v_add_co_ci_u32_e32 v14, vcc_lo, 0, v15, vcc_lo
	s_delay_alu instid0(VALU_DEP_2) | instskip(NEXT) | instid1(VALU_DEP_2)
	v_add_co_u32 v11, vcc_lo, v11, v13
	v_add_co_ci_u32_e32 v12, vcc_lo, v12, v14, vcc_lo
	s_delay_alu instid0(VALU_DEP_2) | instskip(SKIP_1) | instid1(VALU_DEP_3)
	v_mul_hi_u32 v13, s0, v11
	v_mul_lo_u32 v15, s3, v11
	v_mul_lo_u32 v14, s0, v12
	s_delay_alu instid0(VALU_DEP_1) | instskip(SKIP_1) | instid1(VALU_DEP_2)
	v_add_nc_u32_e32 v13, v13, v14
	v_mul_lo_u32 v14, s0, v11
	v_add_nc_u32_e32 v13, v13, v15
	s_delay_alu instid0(VALU_DEP_2) | instskip(NEXT) | instid1(VALU_DEP_2)
	v_mul_hi_u32 v15, v11, v14
	v_mul_lo_u32 v16, v11, v13
	v_mul_hi_u32 v17, v11, v13
	v_mul_hi_u32 v24, v12, v14
	v_mul_lo_u32 v14, v12, v14
	v_mul_hi_u32 v33, v12, v13
	v_mul_lo_u32 v13, v12, v13
	v_add_co_u32 v15, vcc_lo, v15, v16
	v_add_co_ci_u32_e32 v16, vcc_lo, 0, v17, vcc_lo
	s_delay_alu instid0(VALU_DEP_2) | instskip(NEXT) | instid1(VALU_DEP_2)
	v_add_co_u32 v14, vcc_lo, v15, v14
	v_add_co_ci_u32_e32 v14, vcc_lo, v16, v24, vcc_lo
	v_add_co_ci_u32_e32 v15, vcc_lo, 0, v33, vcc_lo
	v_add_co_u32 v16, vcc_lo, v9, v18
	v_add_co_ci_u32_e32 v17, vcc_lo, v10, v18, vcc_lo
	s_delay_alu instid0(VALU_DEP_4) | instskip(NEXT) | instid1(VALU_DEP_4)
	v_add_co_u32 v13, vcc_lo, v14, v13
	v_add_co_ci_u32_e32 v14, vcc_lo, 0, v15, vcc_lo
	s_delay_alu instid0(VALU_DEP_4) | instskip(NEXT) | instid1(VALU_DEP_3)
	v_xor_b32_e32 v24, v16, v18
	v_add_co_u32 v15, vcc_lo, v11, v13
	s_delay_alu instid0(VALU_DEP_3) | instskip(SKIP_1) | instid1(VALU_DEP_3)
	v_add_co_ci_u32_e32 v33, vcc_lo, v12, v14, vcc_lo
	v_xor_b32_e32 v17, v17, v18
	v_mul_hi_u32 v34, v24, v15
	s_delay_alu instid0(VALU_DEP_3) | instskip(NEXT) | instid1(VALU_DEP_3)
	v_mad_u64_u32 v[11:12], null, v24, v33, 0
	v_mad_u64_u32 v[13:14], null, v17, v15, 0
	;; [unrolled: 1-line block ×3, first 2 shown]
	s_delay_alu instid0(VALU_DEP_3) | instskip(NEXT) | instid1(VALU_DEP_4)
	v_add_co_u32 v11, vcc_lo, v34, v11
	v_add_co_ci_u32_e32 v12, vcc_lo, 0, v12, vcc_lo
	s_delay_alu instid0(VALU_DEP_2) | instskip(NEXT) | instid1(VALU_DEP_2)
	v_add_co_u32 v11, vcc_lo, v11, v13
	v_add_co_ci_u32_e32 v11, vcc_lo, v12, v14, vcc_lo
	v_add_co_ci_u32_e32 v12, vcc_lo, 0, v16, vcc_lo
	s_delay_alu instid0(VALU_DEP_2) | instskip(NEXT) | instid1(VALU_DEP_2)
	v_add_co_u32 v13, vcc_lo, v11, v15
	v_add_co_ci_u32_e32 v14, vcc_lo, 0, v12, vcc_lo
	s_delay_alu instid0(VALU_DEP_2) | instskip(SKIP_1) | instid1(VALU_DEP_3)
	v_mul_lo_u32 v15, s35, v13
	v_mad_u64_u32 v[11:12], null, s34, v13, 0
	v_mul_lo_u32 v16, s34, v14
	s_delay_alu instid0(VALU_DEP_2) | instskip(NEXT) | instid1(VALU_DEP_2)
	v_sub_co_u32 v11, vcc_lo, v24, v11
	v_add3_u32 v12, v12, v16, v15
	s_delay_alu instid0(VALU_DEP_1) | instskip(NEXT) | instid1(VALU_DEP_1)
	v_sub_nc_u32_e32 v15, v17, v12
	v_subrev_co_ci_u32_e64 v15, s0, s35, v15, vcc_lo
	v_add_co_u32 v16, s0, v13, 2
	s_delay_alu instid0(VALU_DEP_1) | instskip(SKIP_3) | instid1(VALU_DEP_3)
	v_add_co_ci_u32_e64 v24, s0, 0, v14, s0
	v_sub_co_u32 v33, s0, v11, s34
	v_sub_co_ci_u32_e32 v12, vcc_lo, v17, v12, vcc_lo
	v_subrev_co_ci_u32_e64 v15, s0, 0, v15, s0
	v_cmp_le_u32_e32 vcc_lo, s34, v33
	s_delay_alu instid0(VALU_DEP_3) | instskip(SKIP_1) | instid1(VALU_DEP_4)
	v_cmp_eq_u32_e64 s0, s35, v12
	v_cndmask_b32_e64 v17, 0, -1, vcc_lo
	v_cmp_le_u32_e32 vcc_lo, s35, v15
	v_cndmask_b32_e64 v33, 0, -1, vcc_lo
	v_cmp_le_u32_e32 vcc_lo, s34, v11
	;; [unrolled: 2-line block ×3, first 2 shown]
	v_cndmask_b32_e64 v34, 0, -1, vcc_lo
	v_cmp_eq_u32_e32 vcc_lo, s35, v15
	s_delay_alu instid0(VALU_DEP_2) | instskip(SKIP_3) | instid1(VALU_DEP_3)
	v_cndmask_b32_e64 v11, v34, v11, s0
	v_cndmask_b32_e32 v15, v33, v17, vcc_lo
	v_add_co_u32 v17, vcc_lo, v13, 1
	v_add_co_ci_u32_e32 v33, vcc_lo, 0, v14, vcc_lo
	v_cmp_ne_u32_e32 vcc_lo, 0, v15
	s_delay_alu instid0(VALU_DEP_2) | instskip(NEXT) | instid1(VALU_DEP_4)
	v_cndmask_b32_e32 v12, v33, v24, vcc_lo
	v_cndmask_b32_e32 v15, v17, v16, vcc_lo
	v_cmp_ne_u32_e32 vcc_lo, 0, v11
	v_xor_b32_e32 v11, s2, v18
	s_delay_alu instid0(VALU_DEP_3) | instskip(NEXT) | instid1(VALU_DEP_1)
	v_dual_cndmask_b32 v12, v14, v12 :: v_dual_cndmask_b32 v13, v13, v15
	v_xor_b32_e32 v12, v12, v11
	s_delay_alu instid0(VALU_DEP_2) | instskip(NEXT) | instid1(VALU_DEP_1)
	v_xor_b32_e32 v13, v13, v11
	v_sub_co_u32 v33, vcc_lo, v13, v11
	s_delay_alu instid0(VALU_DEP_3)
	v_sub_co_ci_u32_e32 v34, vcc_lo, v12, v11, vcc_lo
                                        ; implicit-def: $vgpr11
	s_and_not1_saveexec_b32 s0, s1
	s_cbranch_execz .LBB24_23
.LBB24_28:                              ;   in Loop: Header=BB24_9 Depth=1
	v_mul_f32_e32 v11, 0x4f7ffffe, v11
	s_sub_i32 s1, 0, s4
	v_mov_b32_e32 v34, v23
	s_delay_alu instid0(VALU_DEP_2) | instskip(NEXT) | instid1(VALU_DEP_1)
	v_cvt_u32_f32_e32 v11, v11
	v_mul_lo_u32 v12, s1, v11
	s_delay_alu instid0(VALU_DEP_1) | instskip(NEXT) | instid1(VALU_DEP_1)
	v_mul_hi_u32 v12, v11, v12
	v_add_nc_u32_e32 v11, v11, v12
	s_delay_alu instid0(VALU_DEP_1) | instskip(NEXT) | instid1(VALU_DEP_1)
	v_mul_hi_u32 v11, v9, v11
	v_mul_lo_u32 v12, v11, s4
	v_add_nc_u32_e32 v13, 1, v11
	s_delay_alu instid0(VALU_DEP_2) | instskip(NEXT) | instid1(VALU_DEP_1)
	v_sub_nc_u32_e32 v12, v9, v12
	v_subrev_nc_u32_e32 v14, s4, v12
	v_cmp_le_u32_e32 vcc_lo, s4, v12
	s_delay_alu instid0(VALU_DEP_2) | instskip(NEXT) | instid1(VALU_DEP_1)
	v_dual_cndmask_b32 v12, v12, v14 :: v_dual_cndmask_b32 v11, v11, v13
	v_cmp_le_u32_e32 vcc_lo, s4, v12
	s_delay_alu instid0(VALU_DEP_2) | instskip(NEXT) | instid1(VALU_DEP_1)
	v_add_nc_u32_e32 v13, 1, v11
	v_cndmask_b32_e32 v33, v11, v13, vcc_lo
	s_or_b32 exec_lo, exec_lo, s0
	s_delay_alu instid0(SALU_CYCLE_1)
	s_and_not1_b32 vcc_lo, exec_lo, s50
                                        ; implicit-def: $vgpr11_vgpr12_vgpr13_vgpr14_vgpr15_vgpr16_vgpr17_vgpr18
	s_cbranch_vccnz .LBB24_24
.LBB24_29:                              ;   in Loop: Header=BB24_9 Depth=1
	v_add_co_u32 v11, s0, v0, s51
	s_delay_alu instid0(VALU_DEP_1) | instskip(SKIP_3) | instid1(VALU_DEP_3)
	v_add_co_ci_u32_e64 v12, null, 0, s52, s0
	v_mul_lo_u32 v15, s24, v28
	v_mul_lo_u32 v16, s25, v27
	s_mov_b32 s0, exec_lo
	v_mad_u64_u32 v[13:14], null, s24, v27, v[11:12]
                                        ; implicit-def: $vgpr11_vgpr12
	s_delay_alu instid0(VALU_DEP_1) | instskip(NEXT) | instid1(VALU_DEP_1)
	v_add3_u32 v14, v16, v14, v15
	v_or_b32_e32 v24, s21, v14
	s_delay_alu instid0(VALU_DEP_1)
	v_cmpx_ne_u64_e32 0, v[23:24]
	s_xor_b32 s1, exec_lo, s0
	s_cbranch_execz .LBB24_31
; %bb.30:                               ;   in Loop: Header=BB24_9 Depth=1
	s_ashr_i32 s2, s21, 31
	s_delay_alu instid0(SALU_CYCLE_1) | instskip(SKIP_2) | instid1(SALU_CYCLE_1)
	s_add_u32 s34, s20, s2
	s_mov_b32 s3, s2
	s_addc_u32 s35, s21, s2
	s_xor_b64 s[2:3], s[34:35], s[2:3]
	s_delay_alu instid0(SALU_CYCLE_1) | instskip(SKIP_3) | instid1(VALU_DEP_1)
	v_cvt_f32_u32_e32 v11, s2
	v_cvt_f32_u32_e32 v12, s3
	s_sub_u32 s0, 0, s2
	s_subb_u32 s34, 0, s3
	v_fmac_f32_e32 v11, 0x4f800000, v12
	s_delay_alu instid0(VALU_DEP_1) | instskip(SKIP_2) | instid1(VALU_DEP_1)
	v_rcp_f32_e32 v11, v11
	s_waitcnt_depctr 0xfff
	v_mul_f32_e32 v11, 0x5f7ffffc, v11
	v_mul_f32_e32 v12, 0x2f800000, v11
	s_delay_alu instid0(VALU_DEP_1) | instskip(NEXT) | instid1(VALU_DEP_1)
	v_trunc_f32_e32 v12, v12
	v_fmac_f32_e32 v11, 0xcf800000, v12
	v_cvt_u32_f32_e32 v12, v12
	s_delay_alu instid0(VALU_DEP_2) | instskip(NEXT) | instid1(VALU_DEP_2)
	v_cvt_u32_f32_e32 v11, v11
	v_mul_lo_u32 v15, s0, v12
	s_delay_alu instid0(VALU_DEP_2) | instskip(SKIP_1) | instid1(VALU_DEP_2)
	v_mul_hi_u32 v16, s0, v11
	v_mul_lo_u32 v17, s34, v11
	v_add_nc_u32_e32 v15, v16, v15
	v_mul_lo_u32 v16, s0, v11
	s_delay_alu instid0(VALU_DEP_2) | instskip(NEXT) | instid1(VALU_DEP_2)
	v_add_nc_u32_e32 v15, v15, v17
	v_mul_hi_u32 v17, v11, v16
	s_delay_alu instid0(VALU_DEP_2)
	v_mul_lo_u32 v18, v11, v15
	v_mul_hi_u32 v24, v11, v15
	v_mul_hi_u32 v35, v12, v16
	v_mul_lo_u32 v16, v12, v16
	v_mul_hi_u32 v36, v12, v15
	v_mul_lo_u32 v15, v12, v15
	v_add_co_u32 v17, vcc_lo, v17, v18
	v_add_co_ci_u32_e32 v18, vcc_lo, 0, v24, vcc_lo
	s_delay_alu instid0(VALU_DEP_2) | instskip(NEXT) | instid1(VALU_DEP_2)
	v_add_co_u32 v16, vcc_lo, v17, v16
	v_add_co_ci_u32_e32 v16, vcc_lo, v18, v35, vcc_lo
	v_add_co_ci_u32_e32 v17, vcc_lo, 0, v36, vcc_lo
	v_ashrrev_i32_e32 v35, 31, v14
	s_delay_alu instid0(VALU_DEP_3) | instskip(NEXT) | instid1(VALU_DEP_3)
	v_add_co_u32 v15, vcc_lo, v16, v15
	v_add_co_ci_u32_e32 v16, vcc_lo, 0, v17, vcc_lo
	s_delay_alu instid0(VALU_DEP_2) | instskip(NEXT) | instid1(VALU_DEP_2)
	v_add_co_u32 v11, vcc_lo, v11, v15
	v_add_co_ci_u32_e32 v12, vcc_lo, v12, v16, vcc_lo
	s_delay_alu instid0(VALU_DEP_2) | instskip(SKIP_1) | instid1(VALU_DEP_3)
	v_mul_hi_u32 v15, s0, v11
	v_mul_lo_u32 v17, s34, v11
	v_mul_lo_u32 v16, s0, v12
	s_delay_alu instid0(VALU_DEP_1) | instskip(SKIP_1) | instid1(VALU_DEP_2)
	v_add_nc_u32_e32 v15, v15, v16
	v_mul_lo_u32 v16, s0, v11
	v_add_nc_u32_e32 v15, v15, v17
	s_delay_alu instid0(VALU_DEP_2) | instskip(NEXT) | instid1(VALU_DEP_2)
	v_mul_hi_u32 v17, v11, v16
	v_mul_lo_u32 v18, v11, v15
	v_mul_hi_u32 v24, v11, v15
	v_mul_hi_u32 v36, v12, v16
	v_mul_lo_u32 v16, v12, v16
	v_mul_hi_u32 v37, v12, v15
	v_mul_lo_u32 v15, v12, v15
	v_add_co_u32 v17, vcc_lo, v17, v18
	v_add_co_ci_u32_e32 v18, vcc_lo, 0, v24, vcc_lo
	s_delay_alu instid0(VALU_DEP_2) | instskip(NEXT) | instid1(VALU_DEP_2)
	v_add_co_u32 v16, vcc_lo, v17, v16
	v_add_co_ci_u32_e32 v16, vcc_lo, v18, v36, vcc_lo
	v_add_co_ci_u32_e32 v17, vcc_lo, 0, v37, vcc_lo
	v_add_co_u32 v13, vcc_lo, v13, v35
	v_add_co_ci_u32_e32 v14, vcc_lo, v14, v35, vcc_lo
	s_delay_alu instid0(VALU_DEP_4) | instskip(NEXT) | instid1(VALU_DEP_4)
	v_add_co_u32 v15, vcc_lo, v16, v15
	v_add_co_ci_u32_e32 v16, vcc_lo, 0, v17, vcc_lo
	s_delay_alu instid0(VALU_DEP_4) | instskip(NEXT) | instid1(VALU_DEP_3)
	v_xor_b32_e32 v17, v13, v35
	v_add_co_u32 v15, vcc_lo, v11, v15
	s_delay_alu instid0(VALU_DEP_3) | instskip(SKIP_1) | instid1(VALU_DEP_3)
	v_add_co_ci_u32_e32 v18, vcc_lo, v12, v16, vcc_lo
	v_xor_b32_e32 v24, v14, v35
	v_mul_hi_u32 v36, v17, v15
	s_delay_alu instid0(VALU_DEP_3) | instskip(NEXT) | instid1(VALU_DEP_3)
	v_mad_u64_u32 v[11:12], null, v17, v18, 0
	v_mad_u64_u32 v[13:14], null, v24, v15, 0
	;; [unrolled: 1-line block ×3, first 2 shown]
	s_delay_alu instid0(VALU_DEP_3) | instskip(NEXT) | instid1(VALU_DEP_4)
	v_add_co_u32 v11, vcc_lo, v36, v11
	v_add_co_ci_u32_e32 v12, vcc_lo, 0, v12, vcc_lo
	s_delay_alu instid0(VALU_DEP_2) | instskip(NEXT) | instid1(VALU_DEP_2)
	v_add_co_u32 v11, vcc_lo, v11, v13
	v_add_co_ci_u32_e32 v11, vcc_lo, v12, v14, vcc_lo
	v_add_co_ci_u32_e32 v12, vcc_lo, 0, v16, vcc_lo
	s_delay_alu instid0(VALU_DEP_2) | instskip(NEXT) | instid1(VALU_DEP_2)
	v_add_co_u32 v13, vcc_lo, v11, v15
	v_add_co_ci_u32_e32 v14, vcc_lo, 0, v12, vcc_lo
	s_delay_alu instid0(VALU_DEP_2) | instskip(SKIP_1) | instid1(VALU_DEP_3)
	v_mul_lo_u32 v15, s3, v13
	v_mad_u64_u32 v[11:12], null, s2, v13, 0
	v_mul_lo_u32 v13, s2, v14
	s_delay_alu instid0(VALU_DEP_2) | instskip(NEXT) | instid1(VALU_DEP_2)
	v_sub_co_u32 v11, vcc_lo, v17, v11
	v_add3_u32 v12, v12, v13, v15
	s_delay_alu instid0(VALU_DEP_1) | instskip(NEXT) | instid1(VALU_DEP_1)
	v_sub_nc_u32_e32 v13, v24, v12
	v_subrev_co_ci_u32_e64 v13, s0, s3, v13, vcc_lo
	v_sub_co_ci_u32_e32 v12, vcc_lo, v24, v12, vcc_lo
	v_sub_co_u32 v14, vcc_lo, v11, s2
	s_delay_alu instid0(VALU_DEP_1) | instskip(SKIP_3) | instid1(VALU_DEP_3)
	v_subrev_co_ci_u32_e64 v15, s0, 0, v13, vcc_lo
	v_cmp_le_u32_e64 s0, s2, v11
	v_subrev_co_ci_u32_e32 v13, vcc_lo, s3, v13, vcc_lo
	v_cmp_le_u32_e32 vcc_lo, s3, v12
	v_cndmask_b32_e64 v16, 0, -1, s0
	v_cmp_le_u32_e64 s0, s2, v14
	v_cndmask_b32_e64 v24, 0, -1, vcc_lo
	v_cmp_eq_u32_e32 vcc_lo, s3, v15
	s_delay_alu instid0(VALU_DEP_3) | instskip(SKIP_1) | instid1(VALU_DEP_1)
	v_cndmask_b32_e64 v17, 0, -1, s0
	v_cmp_le_u32_e64 s0, s3, v15
	v_cndmask_b32_e64 v18, 0, -1, s0
	v_cmp_eq_u32_e64 s0, s3, v12
	s_delay_alu instid0(VALU_DEP_2) | instskip(SKIP_2) | instid1(VALU_DEP_3)
	v_cndmask_b32_e32 v17, v18, v17, vcc_lo
	v_sub_co_u32 v18, vcc_lo, v14, s2
	v_subrev_co_ci_u32_e32 v13, vcc_lo, 0, v13, vcc_lo
	v_cmp_ne_u32_e32 vcc_lo, 0, v17
	v_cndmask_b32_e64 v16, v24, v16, s0
	s_delay_alu instid0(VALU_DEP_3) | instskip(NEXT) | instid1(VALU_DEP_2)
	v_dual_cndmask_b32 v13, v15, v13 :: v_dual_cndmask_b32 v14, v14, v18
	v_cmp_ne_u32_e32 vcc_lo, 0, v16
	s_delay_alu instid0(VALU_DEP_2) | instskip(NEXT) | instid1(VALU_DEP_1)
	v_dual_cndmask_b32 v11, v11, v14 :: v_dual_cndmask_b32 v12, v12, v13
                                        ; implicit-def: $vgpr13_vgpr14
	v_xor_b32_e32 v11, v11, v35
	s_delay_alu instid0(VALU_DEP_2) | instskip(NEXT) | instid1(VALU_DEP_2)
	v_xor_b32_e32 v12, v12, v35
	v_sub_co_u32 v11, vcc_lo, v11, v35
	s_delay_alu instid0(VALU_DEP_2)
	v_sub_co_ci_u32_e32 v12, vcc_lo, v12, v35, vcc_lo
.LBB24_31:                              ;   in Loop: Header=BB24_9 Depth=1
	s_and_not1_saveexec_b32 s0, s1
	s_cbranch_execz .LBB24_33
; %bb.32:                               ;   in Loop: Header=BB24_9 Depth=1
	v_cvt_f32_u32_e32 v11, s20
	s_sub_i32 s1, 0, s20
	s_delay_alu instid0(VALU_DEP_1) | instskip(SKIP_2) | instid1(VALU_DEP_1)
	v_rcp_iflag_f32_e32 v11, v11
	s_waitcnt_depctr 0xfff
	v_mul_f32_e32 v11, 0x4f7ffffe, v11
	v_cvt_u32_f32_e32 v11, v11
	s_delay_alu instid0(VALU_DEP_1) | instskip(NEXT) | instid1(VALU_DEP_1)
	v_mul_lo_u32 v12, s1, v11
	v_mul_hi_u32 v12, v11, v12
	s_delay_alu instid0(VALU_DEP_1) | instskip(NEXT) | instid1(VALU_DEP_1)
	v_add_nc_u32_e32 v11, v11, v12
	v_mul_hi_u32 v11, v13, v11
	s_delay_alu instid0(VALU_DEP_1) | instskip(NEXT) | instid1(VALU_DEP_1)
	v_mul_lo_u32 v11, v11, s20
	v_sub_nc_u32_e32 v11, v13, v11
	s_delay_alu instid0(VALU_DEP_1) | instskip(SKIP_1) | instid1(VALU_DEP_2)
	v_subrev_nc_u32_e32 v12, s20, v11
	v_cmp_le_u32_e32 vcc_lo, s20, v11
	v_cndmask_b32_e32 v11, v11, v12, vcc_lo
	s_delay_alu instid0(VALU_DEP_1) | instskip(SKIP_1) | instid1(VALU_DEP_2)
	v_subrev_nc_u32_e32 v12, s20, v11
	v_cmp_le_u32_e32 vcc_lo, s20, v11
	v_cndmask_b32_e32 v11, v11, v12, vcc_lo
	v_mov_b32_e32 v12, v23
.LBB24_33:                              ;   in Loop: Header=BB24_9 Depth=1
	s_or_b32 exec_lo, exec_lo, s0
                                        ; kill: def $vgpr13 killed $sgpr0 killed $exec
	s_delay_alu instid0(SALU_CYCLE_1)
	s_and_not1_b32 vcc_lo, exec_lo, s50
	s_cbranch_vccnz .LBB24_25
.LBB24_34:                              ;   in Loop: Header=BB24_9 Depth=1
	v_add_co_u32 v13, s0, v0, s65
	s_delay_alu instid0(VALU_DEP_1) | instskip(SKIP_2) | instid1(VALU_DEP_3)
	v_add_co_ci_u32_e64 v14, null, 0, s67, s0
	v_mul_lo_u32 v24, s24, v30
	v_mul_lo_u32 v37, s25, v29
	v_mad_u64_u32 v[35:36], null, s24, v29, v[13:14]
                                        ; kill: def $vgpr13_vgpr14 killed $sgpr0_sgpr1 killed $exec
	s_mov_b32 s0, exec_lo
	s_delay_alu instid0(VALU_DEP_1) | instskip(NEXT) | instid1(VALU_DEP_1)
	v_add3_u32 v36, v37, v36, v24
	v_or_b32_e32 v24, s21, v36
	s_delay_alu instid0(VALU_DEP_1)
	v_cmpx_ne_u64_e32 0, v[23:24]
	s_xor_b32 s1, exec_lo, s0
	s_cbranch_execz .LBB24_36
; %bb.35:                               ;   in Loop: Header=BB24_9 Depth=1
	s_ashr_i32 s2, s21, 31
	s_delay_alu instid0(SALU_CYCLE_1) | instskip(SKIP_2) | instid1(SALU_CYCLE_1)
	s_add_u32 s34, s20, s2
	s_mov_b32 s3, s2
	s_addc_u32 s35, s21, s2
	s_xor_b64 s[2:3], s[34:35], s[2:3]
	s_delay_alu instid0(SALU_CYCLE_1) | instskip(SKIP_3) | instid1(VALU_DEP_1)
	v_cvt_f32_u32_e32 v13, s2
	v_cvt_f32_u32_e32 v14, s3
	s_sub_u32 s0, 0, s2
	s_subb_u32 s34, 0, s3
	v_fmac_f32_e32 v13, 0x4f800000, v14
	s_delay_alu instid0(VALU_DEP_1) | instskip(SKIP_2) | instid1(VALU_DEP_1)
	v_rcp_f32_e32 v13, v13
	s_waitcnt_depctr 0xfff
	v_mul_f32_e32 v13, 0x5f7ffffc, v13
	v_mul_f32_e32 v14, 0x2f800000, v13
	s_delay_alu instid0(VALU_DEP_1) | instskip(NEXT) | instid1(VALU_DEP_1)
	v_trunc_f32_e32 v14, v14
	v_fmac_f32_e32 v13, 0xcf800000, v14
	v_cvt_u32_f32_e32 v14, v14
	s_delay_alu instid0(VALU_DEP_2) | instskip(NEXT) | instid1(VALU_DEP_2)
	v_cvt_u32_f32_e32 v13, v13
	v_mul_lo_u32 v24, s0, v14
	s_delay_alu instid0(VALU_DEP_2) | instskip(SKIP_1) | instid1(VALU_DEP_2)
	v_mul_hi_u32 v37, s0, v13
	v_mul_lo_u32 v38, s34, v13
	v_add_nc_u32_e32 v24, v37, v24
	v_mul_lo_u32 v37, s0, v13
	s_delay_alu instid0(VALU_DEP_2) | instskip(NEXT) | instid1(VALU_DEP_2)
	v_add_nc_u32_e32 v24, v24, v38
	v_mul_hi_u32 v38, v13, v37
	s_delay_alu instid0(VALU_DEP_2)
	v_mul_lo_u32 v39, v13, v24
	v_mul_hi_u32 v40, v13, v24
	v_mul_hi_u32 v41, v14, v37
	v_mul_lo_u32 v37, v14, v37
	v_mul_hi_u32 v42, v14, v24
	v_mul_lo_u32 v24, v14, v24
	v_add_co_u32 v38, vcc_lo, v38, v39
	v_add_co_ci_u32_e32 v39, vcc_lo, 0, v40, vcc_lo
	s_delay_alu instid0(VALU_DEP_2) | instskip(NEXT) | instid1(VALU_DEP_2)
	v_add_co_u32 v37, vcc_lo, v38, v37
	v_add_co_ci_u32_e32 v37, vcc_lo, v39, v41, vcc_lo
	v_add_co_ci_u32_e32 v38, vcc_lo, 0, v42, vcc_lo
	v_ashrrev_i32_e32 v41, 31, v36
	s_delay_alu instid0(VALU_DEP_3) | instskip(NEXT) | instid1(VALU_DEP_3)
	v_add_co_u32 v24, vcc_lo, v37, v24
	v_add_co_ci_u32_e32 v37, vcc_lo, 0, v38, vcc_lo
	s_delay_alu instid0(VALU_DEP_2) | instskip(NEXT) | instid1(VALU_DEP_2)
	v_add_co_u32 v13, vcc_lo, v13, v24
	v_add_co_ci_u32_e32 v14, vcc_lo, v14, v37, vcc_lo
	s_delay_alu instid0(VALU_DEP_2) | instskip(SKIP_1) | instid1(VALU_DEP_3)
	v_mul_hi_u32 v24, s0, v13
	v_mul_lo_u32 v38, s34, v13
	v_mul_lo_u32 v37, s0, v14
	s_delay_alu instid0(VALU_DEP_1) | instskip(SKIP_1) | instid1(VALU_DEP_2)
	v_add_nc_u32_e32 v24, v24, v37
	v_mul_lo_u32 v37, s0, v13
	v_add_nc_u32_e32 v24, v24, v38
	s_delay_alu instid0(VALU_DEP_2) | instskip(NEXT) | instid1(VALU_DEP_2)
	v_mul_hi_u32 v38, v13, v37
	v_mul_lo_u32 v39, v13, v24
	v_mul_hi_u32 v40, v13, v24
	v_mul_hi_u32 v42, v14, v37
	v_mul_lo_u32 v37, v14, v37
	v_mul_hi_u32 v43, v14, v24
	v_mul_lo_u32 v24, v14, v24
	v_add_co_u32 v38, vcc_lo, v38, v39
	v_add_co_ci_u32_e32 v39, vcc_lo, 0, v40, vcc_lo
	s_delay_alu instid0(VALU_DEP_2) | instskip(NEXT) | instid1(VALU_DEP_2)
	v_add_co_u32 v37, vcc_lo, v38, v37
	v_add_co_ci_u32_e32 v37, vcc_lo, v39, v42, vcc_lo
	v_add_co_ci_u32_e32 v38, vcc_lo, 0, v43, vcc_lo
	v_add_co_u32 v35, vcc_lo, v35, v41
	v_add_co_ci_u32_e32 v36, vcc_lo, v36, v41, vcc_lo
	s_delay_alu instid0(VALU_DEP_4) | instskip(NEXT) | instid1(VALU_DEP_4)
	v_add_co_u32 v24, vcc_lo, v37, v24
	v_add_co_ci_u32_e32 v37, vcc_lo, 0, v38, vcc_lo
	s_delay_alu instid0(VALU_DEP_4) | instskip(NEXT) | instid1(VALU_DEP_3)
	v_xor_b32_e32 v39, v35, v41
	v_add_co_u32 v24, vcc_lo, v13, v24
	s_delay_alu instid0(VALU_DEP_3) | instskip(SKIP_1) | instid1(VALU_DEP_3)
	v_add_co_ci_u32_e32 v40, vcc_lo, v14, v37, vcc_lo
	v_xor_b32_e32 v42, v36, v41
	v_mul_hi_u32 v43, v39, v24
	s_delay_alu instid0(VALU_DEP_3) | instskip(NEXT) | instid1(VALU_DEP_3)
	v_mad_u64_u32 v[13:14], null, v39, v40, 0
	v_mad_u64_u32 v[35:36], null, v42, v24, 0
	;; [unrolled: 1-line block ×3, first 2 shown]
	s_delay_alu instid0(VALU_DEP_3) | instskip(NEXT) | instid1(VALU_DEP_4)
	v_add_co_u32 v13, vcc_lo, v43, v13
	v_add_co_ci_u32_e32 v14, vcc_lo, 0, v14, vcc_lo
	s_delay_alu instid0(VALU_DEP_2) | instskip(NEXT) | instid1(VALU_DEP_2)
	v_add_co_u32 v13, vcc_lo, v13, v35
	v_add_co_ci_u32_e32 v13, vcc_lo, v14, v36, vcc_lo
	v_add_co_ci_u32_e32 v14, vcc_lo, 0, v38, vcc_lo
	s_delay_alu instid0(VALU_DEP_2) | instskip(NEXT) | instid1(VALU_DEP_2)
	v_add_co_u32 v24, vcc_lo, v13, v37
	v_add_co_ci_u32_e32 v35, vcc_lo, 0, v14, vcc_lo
	s_delay_alu instid0(VALU_DEP_2) | instskip(SKIP_1) | instid1(VALU_DEP_3)
	v_mul_lo_u32 v36, s3, v24
	v_mad_u64_u32 v[13:14], null, s2, v24, 0
	v_mul_lo_u32 v24, s2, v35
	s_delay_alu instid0(VALU_DEP_2) | instskip(NEXT) | instid1(VALU_DEP_2)
	v_sub_co_u32 v13, vcc_lo, v39, v13
	v_add3_u32 v14, v14, v24, v36
	s_delay_alu instid0(VALU_DEP_1) | instskip(NEXT) | instid1(VALU_DEP_1)
	v_sub_nc_u32_e32 v24, v42, v14
	v_subrev_co_ci_u32_e64 v24, s0, s3, v24, vcc_lo
	v_sub_co_ci_u32_e32 v14, vcc_lo, v42, v14, vcc_lo
	v_sub_co_u32 v35, vcc_lo, v13, s2
	s_delay_alu instid0(VALU_DEP_1) | instskip(SKIP_3) | instid1(VALU_DEP_3)
	v_subrev_co_ci_u32_e64 v36, s0, 0, v24, vcc_lo
	v_cmp_le_u32_e64 s0, s2, v13
	v_subrev_co_ci_u32_e32 v24, vcc_lo, s3, v24, vcc_lo
	v_cmp_le_u32_e32 vcc_lo, s3, v14
	v_cndmask_b32_e64 v37, 0, -1, s0
	v_cmp_le_u32_e64 s0, s2, v35
	v_cndmask_b32_e64 v40, 0, -1, vcc_lo
	v_cmp_eq_u32_e32 vcc_lo, s3, v36
	s_delay_alu instid0(VALU_DEP_3) | instskip(SKIP_1) | instid1(VALU_DEP_1)
	v_cndmask_b32_e64 v38, 0, -1, s0
	v_cmp_le_u32_e64 s0, s3, v36
	v_cndmask_b32_e64 v39, 0, -1, s0
	v_cmp_eq_u32_e64 s0, s3, v14
	s_delay_alu instid0(VALU_DEP_2) | instskip(SKIP_2) | instid1(VALU_DEP_3)
	v_cndmask_b32_e32 v38, v39, v38, vcc_lo
	v_sub_co_u32 v39, vcc_lo, v35, s2
	v_subrev_co_ci_u32_e32 v24, vcc_lo, 0, v24, vcc_lo
	v_cmp_ne_u32_e32 vcc_lo, 0, v38
	v_cndmask_b32_e64 v37, v40, v37, s0
	s_delay_alu instid0(VALU_DEP_3) | instskip(NEXT) | instid1(VALU_DEP_2)
	v_dual_cndmask_b32 v24, v36, v24 :: v_dual_cndmask_b32 v35, v35, v39
	v_cmp_ne_u32_e32 vcc_lo, 0, v37
	s_delay_alu instid0(VALU_DEP_2) | instskip(NEXT) | instid1(VALU_DEP_1)
	v_dual_cndmask_b32 v13, v13, v35 :: v_dual_cndmask_b32 v14, v14, v24
                                        ; implicit-def: $vgpr35_vgpr36
	v_xor_b32_e32 v13, v13, v41
	s_delay_alu instid0(VALU_DEP_2) | instskip(NEXT) | instid1(VALU_DEP_2)
	v_xor_b32_e32 v14, v14, v41
	v_sub_co_u32 v13, vcc_lo, v13, v41
	s_delay_alu instid0(VALU_DEP_2)
	v_sub_co_ci_u32_e32 v14, vcc_lo, v14, v41, vcc_lo
.LBB24_36:                              ;   in Loop: Header=BB24_9 Depth=1
	s_and_not1_saveexec_b32 s0, s1
	s_cbranch_execz .LBB24_38
; %bb.37:                               ;   in Loop: Header=BB24_9 Depth=1
	v_cvt_f32_u32_e32 v13, s20
	s_sub_i32 s1, 0, s20
	s_delay_alu instid0(VALU_DEP_1) | instskip(SKIP_2) | instid1(VALU_DEP_1)
	v_rcp_iflag_f32_e32 v13, v13
	s_waitcnt_depctr 0xfff
	v_mul_f32_e32 v13, 0x4f7ffffe, v13
	v_cvt_u32_f32_e32 v13, v13
	s_delay_alu instid0(VALU_DEP_1) | instskip(NEXT) | instid1(VALU_DEP_1)
	v_mul_lo_u32 v14, s1, v13
	v_mul_hi_u32 v14, v13, v14
	s_delay_alu instid0(VALU_DEP_1) | instskip(NEXT) | instid1(VALU_DEP_1)
	v_add_nc_u32_e32 v13, v13, v14
	v_mul_hi_u32 v13, v35, v13
	s_delay_alu instid0(VALU_DEP_1) | instskip(NEXT) | instid1(VALU_DEP_1)
	v_mul_lo_u32 v13, v13, s20
	v_sub_nc_u32_e32 v13, v35, v13
	s_delay_alu instid0(VALU_DEP_1) | instskip(SKIP_1) | instid1(VALU_DEP_2)
	v_subrev_nc_u32_e32 v14, s20, v13
	v_cmp_le_u32_e32 vcc_lo, s20, v13
	v_cndmask_b32_e32 v13, v13, v14, vcc_lo
	s_delay_alu instid0(VALU_DEP_1) | instskip(SKIP_1) | instid1(VALU_DEP_2)
	v_subrev_nc_u32_e32 v14, s20, v13
	v_cmp_le_u32_e32 vcc_lo, s20, v13
	v_dual_cndmask_b32 v13, v13, v14 :: v_dual_mov_b32 v14, v23
.LBB24_38:                              ;   in Loop: Header=BB24_9 Depth=1
	s_or_b32 exec_lo, exec_lo, s0
	s_delay_alu instid0(SALU_CYCLE_1)
	s_and_not1_b32 vcc_lo, exec_lo, s50
	s_cbranch_vccnz .LBB24_26
.LBB24_39:                              ;   in Loop: Header=BB24_9 Depth=1
	v_add_co_u32 v15, s0, v0, s61
	s_delay_alu instid0(VALU_DEP_1) | instskip(SKIP_2) | instid1(VALU_DEP_3)
	v_add_co_ci_u32_e64 v16, null, 0, s62, s0
	v_mul_lo_u32 v24, s24, v32
	v_mul_lo_u32 v37, s25, v31
	v_mad_u64_u32 v[35:36], null, s24, v31, v[15:16]
                                        ; kill: def $vgpr15_vgpr16 killed $sgpr0_sgpr1 killed $exec
	s_mov_b32 s0, exec_lo
	s_delay_alu instid0(VALU_DEP_1) | instskip(NEXT) | instid1(VALU_DEP_1)
	v_add3_u32 v36, v37, v36, v24
	v_or_b32_e32 v24, s21, v36
	s_delay_alu instid0(VALU_DEP_1)
	v_cmpx_ne_u64_e32 0, v[23:24]
	s_xor_b32 s1, exec_lo, s0
	s_cbranch_execz .LBB24_41
; %bb.40:                               ;   in Loop: Header=BB24_9 Depth=1
	s_ashr_i32 s2, s21, 31
	s_delay_alu instid0(SALU_CYCLE_1) | instskip(SKIP_2) | instid1(SALU_CYCLE_1)
	s_add_u32 s34, s20, s2
	s_mov_b32 s3, s2
	s_addc_u32 s35, s21, s2
	s_xor_b64 s[2:3], s[34:35], s[2:3]
	s_delay_alu instid0(SALU_CYCLE_1) | instskip(SKIP_3) | instid1(VALU_DEP_1)
	v_cvt_f32_u32_e32 v15, s2
	v_cvt_f32_u32_e32 v16, s3
	s_sub_u32 s0, 0, s2
	s_subb_u32 s34, 0, s3
	v_fmac_f32_e32 v15, 0x4f800000, v16
	s_delay_alu instid0(VALU_DEP_1) | instskip(SKIP_2) | instid1(VALU_DEP_1)
	v_rcp_f32_e32 v15, v15
	s_waitcnt_depctr 0xfff
	v_mul_f32_e32 v15, 0x5f7ffffc, v15
	v_mul_f32_e32 v16, 0x2f800000, v15
	s_delay_alu instid0(VALU_DEP_1) | instskip(NEXT) | instid1(VALU_DEP_1)
	v_trunc_f32_e32 v16, v16
	v_fmac_f32_e32 v15, 0xcf800000, v16
	v_cvt_u32_f32_e32 v16, v16
	s_delay_alu instid0(VALU_DEP_2) | instskip(NEXT) | instid1(VALU_DEP_2)
	v_cvt_u32_f32_e32 v15, v15
	v_mul_lo_u32 v24, s0, v16
	s_delay_alu instid0(VALU_DEP_2) | instskip(SKIP_1) | instid1(VALU_DEP_2)
	v_mul_hi_u32 v37, s0, v15
	v_mul_lo_u32 v38, s34, v15
	v_add_nc_u32_e32 v24, v37, v24
	v_mul_lo_u32 v37, s0, v15
	s_delay_alu instid0(VALU_DEP_2) | instskip(NEXT) | instid1(VALU_DEP_2)
	v_add_nc_u32_e32 v24, v24, v38
	v_mul_hi_u32 v38, v15, v37
	s_delay_alu instid0(VALU_DEP_2)
	v_mul_lo_u32 v39, v15, v24
	v_mul_hi_u32 v40, v15, v24
	v_mul_hi_u32 v41, v16, v37
	v_mul_lo_u32 v37, v16, v37
	v_mul_hi_u32 v42, v16, v24
	v_mul_lo_u32 v24, v16, v24
	v_add_co_u32 v38, vcc_lo, v38, v39
	v_add_co_ci_u32_e32 v39, vcc_lo, 0, v40, vcc_lo
	s_delay_alu instid0(VALU_DEP_2) | instskip(NEXT) | instid1(VALU_DEP_2)
	v_add_co_u32 v37, vcc_lo, v38, v37
	v_add_co_ci_u32_e32 v37, vcc_lo, v39, v41, vcc_lo
	v_add_co_ci_u32_e32 v38, vcc_lo, 0, v42, vcc_lo
	v_ashrrev_i32_e32 v41, 31, v36
	s_delay_alu instid0(VALU_DEP_3) | instskip(NEXT) | instid1(VALU_DEP_3)
	v_add_co_u32 v24, vcc_lo, v37, v24
	v_add_co_ci_u32_e32 v37, vcc_lo, 0, v38, vcc_lo
	s_delay_alu instid0(VALU_DEP_2) | instskip(NEXT) | instid1(VALU_DEP_2)
	v_add_co_u32 v15, vcc_lo, v15, v24
	v_add_co_ci_u32_e32 v16, vcc_lo, v16, v37, vcc_lo
	s_delay_alu instid0(VALU_DEP_2) | instskip(SKIP_1) | instid1(VALU_DEP_3)
	v_mul_hi_u32 v24, s0, v15
	v_mul_lo_u32 v38, s34, v15
	v_mul_lo_u32 v37, s0, v16
	s_delay_alu instid0(VALU_DEP_1) | instskip(SKIP_1) | instid1(VALU_DEP_2)
	v_add_nc_u32_e32 v24, v24, v37
	v_mul_lo_u32 v37, s0, v15
	v_add_nc_u32_e32 v24, v24, v38
	s_delay_alu instid0(VALU_DEP_2) | instskip(NEXT) | instid1(VALU_DEP_2)
	v_mul_hi_u32 v38, v15, v37
	v_mul_lo_u32 v39, v15, v24
	v_mul_hi_u32 v40, v15, v24
	v_mul_hi_u32 v42, v16, v37
	v_mul_lo_u32 v37, v16, v37
	v_mul_hi_u32 v43, v16, v24
	v_mul_lo_u32 v24, v16, v24
	v_add_co_u32 v38, vcc_lo, v38, v39
	v_add_co_ci_u32_e32 v39, vcc_lo, 0, v40, vcc_lo
	s_delay_alu instid0(VALU_DEP_2) | instskip(NEXT) | instid1(VALU_DEP_2)
	v_add_co_u32 v37, vcc_lo, v38, v37
	v_add_co_ci_u32_e32 v37, vcc_lo, v39, v42, vcc_lo
	v_add_co_ci_u32_e32 v38, vcc_lo, 0, v43, vcc_lo
	v_add_co_u32 v35, vcc_lo, v35, v41
	v_add_co_ci_u32_e32 v36, vcc_lo, v36, v41, vcc_lo
	s_delay_alu instid0(VALU_DEP_4) | instskip(NEXT) | instid1(VALU_DEP_4)
	v_add_co_u32 v24, vcc_lo, v37, v24
	v_add_co_ci_u32_e32 v37, vcc_lo, 0, v38, vcc_lo
	s_delay_alu instid0(VALU_DEP_4) | instskip(NEXT) | instid1(VALU_DEP_3)
	v_xor_b32_e32 v39, v35, v41
	v_add_co_u32 v24, vcc_lo, v15, v24
	s_delay_alu instid0(VALU_DEP_3) | instskip(SKIP_1) | instid1(VALU_DEP_3)
	v_add_co_ci_u32_e32 v40, vcc_lo, v16, v37, vcc_lo
	v_xor_b32_e32 v42, v36, v41
	v_mul_hi_u32 v43, v39, v24
	s_delay_alu instid0(VALU_DEP_3) | instskip(NEXT) | instid1(VALU_DEP_3)
	v_mad_u64_u32 v[15:16], null, v39, v40, 0
	v_mad_u64_u32 v[35:36], null, v42, v24, 0
	;; [unrolled: 1-line block ×3, first 2 shown]
	s_delay_alu instid0(VALU_DEP_3) | instskip(NEXT) | instid1(VALU_DEP_4)
	v_add_co_u32 v15, vcc_lo, v43, v15
	v_add_co_ci_u32_e32 v16, vcc_lo, 0, v16, vcc_lo
	s_delay_alu instid0(VALU_DEP_2) | instskip(NEXT) | instid1(VALU_DEP_2)
	v_add_co_u32 v15, vcc_lo, v15, v35
	v_add_co_ci_u32_e32 v15, vcc_lo, v16, v36, vcc_lo
	v_add_co_ci_u32_e32 v16, vcc_lo, 0, v38, vcc_lo
	s_delay_alu instid0(VALU_DEP_2) | instskip(NEXT) | instid1(VALU_DEP_2)
	v_add_co_u32 v24, vcc_lo, v15, v37
	v_add_co_ci_u32_e32 v35, vcc_lo, 0, v16, vcc_lo
	s_delay_alu instid0(VALU_DEP_2) | instskip(SKIP_1) | instid1(VALU_DEP_3)
	v_mul_lo_u32 v36, s3, v24
	v_mad_u64_u32 v[15:16], null, s2, v24, 0
	v_mul_lo_u32 v24, s2, v35
	s_delay_alu instid0(VALU_DEP_2) | instskip(NEXT) | instid1(VALU_DEP_2)
	v_sub_co_u32 v15, vcc_lo, v39, v15
	v_add3_u32 v16, v16, v24, v36
	s_delay_alu instid0(VALU_DEP_1) | instskip(NEXT) | instid1(VALU_DEP_1)
	v_sub_nc_u32_e32 v24, v42, v16
	v_subrev_co_ci_u32_e64 v24, s0, s3, v24, vcc_lo
	v_sub_co_ci_u32_e32 v16, vcc_lo, v42, v16, vcc_lo
	v_sub_co_u32 v35, vcc_lo, v15, s2
	s_delay_alu instid0(VALU_DEP_1) | instskip(SKIP_3) | instid1(VALU_DEP_3)
	v_subrev_co_ci_u32_e64 v36, s0, 0, v24, vcc_lo
	v_cmp_le_u32_e64 s0, s2, v15
	v_subrev_co_ci_u32_e32 v24, vcc_lo, s3, v24, vcc_lo
	v_cmp_le_u32_e32 vcc_lo, s3, v16
	v_cndmask_b32_e64 v37, 0, -1, s0
	v_cmp_le_u32_e64 s0, s2, v35
	v_cndmask_b32_e64 v40, 0, -1, vcc_lo
	v_cmp_eq_u32_e32 vcc_lo, s3, v36
	s_delay_alu instid0(VALU_DEP_3) | instskip(SKIP_1) | instid1(VALU_DEP_1)
	v_cndmask_b32_e64 v38, 0, -1, s0
	v_cmp_le_u32_e64 s0, s3, v36
	v_cndmask_b32_e64 v39, 0, -1, s0
	v_cmp_eq_u32_e64 s0, s3, v16
	s_delay_alu instid0(VALU_DEP_2) | instskip(SKIP_2) | instid1(VALU_DEP_3)
	v_cndmask_b32_e32 v38, v39, v38, vcc_lo
	v_sub_co_u32 v39, vcc_lo, v35, s2
	v_subrev_co_ci_u32_e32 v24, vcc_lo, 0, v24, vcc_lo
	v_cmp_ne_u32_e32 vcc_lo, 0, v38
	v_cndmask_b32_e64 v37, v40, v37, s0
	s_delay_alu instid0(VALU_DEP_3) | instskip(NEXT) | instid1(VALU_DEP_2)
	v_dual_cndmask_b32 v35, v35, v39 :: v_dual_cndmask_b32 v24, v36, v24
	v_cmp_ne_u32_e32 vcc_lo, 0, v37
	s_delay_alu instid0(VALU_DEP_2) | instskip(NEXT) | instid1(VALU_DEP_1)
	v_dual_cndmask_b32 v15, v15, v35 :: v_dual_cndmask_b32 v16, v16, v24
                                        ; implicit-def: $vgpr35_vgpr36
	v_xor_b32_e32 v15, v15, v41
	s_delay_alu instid0(VALU_DEP_2) | instskip(NEXT) | instid1(VALU_DEP_2)
	v_xor_b32_e32 v16, v16, v41
	v_sub_co_u32 v15, vcc_lo, v15, v41
	s_delay_alu instid0(VALU_DEP_2)
	v_sub_co_ci_u32_e32 v16, vcc_lo, v16, v41, vcc_lo
.LBB24_41:                              ;   in Loop: Header=BB24_9 Depth=1
	s_and_not1_saveexec_b32 s0, s1
	s_cbranch_execz .LBB24_43
; %bb.42:                               ;   in Loop: Header=BB24_9 Depth=1
	v_cvt_f32_u32_e32 v15, s20
	s_sub_i32 s1, 0, s20
	s_delay_alu instid0(VALU_DEP_1) | instskip(SKIP_2) | instid1(VALU_DEP_1)
	v_rcp_iflag_f32_e32 v15, v15
	s_waitcnt_depctr 0xfff
	v_mul_f32_e32 v15, 0x4f7ffffe, v15
	v_cvt_u32_f32_e32 v15, v15
	s_delay_alu instid0(VALU_DEP_1) | instskip(NEXT) | instid1(VALU_DEP_1)
	v_mul_lo_u32 v16, s1, v15
	v_mul_hi_u32 v16, v15, v16
	s_delay_alu instid0(VALU_DEP_1) | instskip(NEXT) | instid1(VALU_DEP_1)
	v_add_nc_u32_e32 v15, v15, v16
	v_mul_hi_u32 v15, v35, v15
	s_delay_alu instid0(VALU_DEP_1) | instskip(NEXT) | instid1(VALU_DEP_1)
	v_mul_lo_u32 v15, v15, s20
	v_sub_nc_u32_e32 v15, v35, v15
	s_delay_alu instid0(VALU_DEP_1) | instskip(SKIP_1) | instid1(VALU_DEP_2)
	v_subrev_nc_u32_e32 v16, s20, v15
	v_cmp_le_u32_e32 vcc_lo, s20, v15
	v_cndmask_b32_e32 v15, v15, v16, vcc_lo
	s_delay_alu instid0(VALU_DEP_1) | instskip(SKIP_1) | instid1(VALU_DEP_2)
	v_subrev_nc_u32_e32 v16, s20, v15
	v_cmp_le_u32_e32 vcc_lo, s20, v15
	v_cndmask_b32_e32 v15, v15, v16, vcc_lo
	v_mov_b32_e32 v16, v23
.LBB24_43:                              ;   in Loop: Header=BB24_9 Depth=1
	s_or_b32 exec_lo, exec_lo, s0
	s_delay_alu instid0(SALU_CYCLE_1)
	s_and_not1_b32 vcc_lo, exec_lo, s50
	s_cbranch_vccnz .LBB24_8
.LBB24_44:                              ;   in Loop: Header=BB24_9 Depth=1
	v_add_co_u32 v17, s0, v0, s63
	s_delay_alu instid0(VALU_DEP_1) | instskip(SKIP_2) | instid1(VALU_DEP_3)
	v_add_co_ci_u32_e64 v18, null, 0, s64, s0
	v_mul_lo_u32 v24, s24, v34
	v_mul_lo_u32 v37, s25, v33
	v_mad_u64_u32 v[35:36], null, s24, v33, v[17:18]
                                        ; kill: def $vgpr17_vgpr18 killed $sgpr0_sgpr1 killed $exec
	s_mov_b32 s0, exec_lo
	s_delay_alu instid0(VALU_DEP_1) | instskip(NEXT) | instid1(VALU_DEP_1)
	v_add3_u32 v36, v37, v36, v24
	v_or_b32_e32 v24, s21, v36
	s_delay_alu instid0(VALU_DEP_1)
	v_cmpx_ne_u64_e32 0, v[23:24]
	s_xor_b32 s1, exec_lo, s0
	s_cbranch_execz .LBB24_46
; %bb.45:                               ;   in Loop: Header=BB24_9 Depth=1
	s_ashr_i32 s2, s21, 31
	s_delay_alu instid0(SALU_CYCLE_1) | instskip(SKIP_2) | instid1(SALU_CYCLE_1)
	s_add_u32 s34, s20, s2
	s_mov_b32 s3, s2
	s_addc_u32 s35, s21, s2
	s_xor_b64 s[2:3], s[34:35], s[2:3]
	s_delay_alu instid0(SALU_CYCLE_1) | instskip(SKIP_3) | instid1(VALU_DEP_1)
	v_cvt_f32_u32_e32 v17, s2
	v_cvt_f32_u32_e32 v18, s3
	s_sub_u32 s0, 0, s2
	s_subb_u32 s34, 0, s3
	v_fmac_f32_e32 v17, 0x4f800000, v18
	s_delay_alu instid0(VALU_DEP_1) | instskip(SKIP_2) | instid1(VALU_DEP_1)
	v_rcp_f32_e32 v17, v17
	s_waitcnt_depctr 0xfff
	v_mul_f32_e32 v17, 0x5f7ffffc, v17
	v_mul_f32_e32 v18, 0x2f800000, v17
	s_delay_alu instid0(VALU_DEP_1) | instskip(NEXT) | instid1(VALU_DEP_1)
	v_trunc_f32_e32 v18, v18
	v_fmac_f32_e32 v17, 0xcf800000, v18
	v_cvt_u32_f32_e32 v18, v18
	s_delay_alu instid0(VALU_DEP_2) | instskip(NEXT) | instid1(VALU_DEP_2)
	v_cvt_u32_f32_e32 v17, v17
	v_mul_lo_u32 v24, s0, v18
	s_delay_alu instid0(VALU_DEP_2) | instskip(SKIP_1) | instid1(VALU_DEP_2)
	v_mul_hi_u32 v37, s0, v17
	v_mul_lo_u32 v38, s34, v17
	v_add_nc_u32_e32 v24, v37, v24
	v_mul_lo_u32 v37, s0, v17
	s_delay_alu instid0(VALU_DEP_2) | instskip(NEXT) | instid1(VALU_DEP_2)
	v_add_nc_u32_e32 v24, v24, v38
	v_mul_hi_u32 v38, v17, v37
	s_delay_alu instid0(VALU_DEP_2)
	v_mul_lo_u32 v39, v17, v24
	v_mul_hi_u32 v40, v17, v24
	v_mul_hi_u32 v41, v18, v37
	v_mul_lo_u32 v37, v18, v37
	v_mul_hi_u32 v42, v18, v24
	v_mul_lo_u32 v24, v18, v24
	v_add_co_u32 v38, vcc_lo, v38, v39
	v_add_co_ci_u32_e32 v39, vcc_lo, 0, v40, vcc_lo
	s_delay_alu instid0(VALU_DEP_2) | instskip(NEXT) | instid1(VALU_DEP_2)
	v_add_co_u32 v37, vcc_lo, v38, v37
	v_add_co_ci_u32_e32 v37, vcc_lo, v39, v41, vcc_lo
	v_add_co_ci_u32_e32 v38, vcc_lo, 0, v42, vcc_lo
	v_ashrrev_i32_e32 v41, 31, v36
	s_delay_alu instid0(VALU_DEP_3) | instskip(NEXT) | instid1(VALU_DEP_3)
	v_add_co_u32 v24, vcc_lo, v37, v24
	v_add_co_ci_u32_e32 v37, vcc_lo, 0, v38, vcc_lo
	s_delay_alu instid0(VALU_DEP_2) | instskip(NEXT) | instid1(VALU_DEP_2)
	v_add_co_u32 v17, vcc_lo, v17, v24
	v_add_co_ci_u32_e32 v18, vcc_lo, v18, v37, vcc_lo
	s_delay_alu instid0(VALU_DEP_2) | instskip(SKIP_1) | instid1(VALU_DEP_3)
	v_mul_hi_u32 v24, s0, v17
	v_mul_lo_u32 v38, s34, v17
	v_mul_lo_u32 v37, s0, v18
	s_delay_alu instid0(VALU_DEP_1) | instskip(SKIP_1) | instid1(VALU_DEP_2)
	v_add_nc_u32_e32 v24, v24, v37
	v_mul_lo_u32 v37, s0, v17
	v_add_nc_u32_e32 v24, v24, v38
	s_delay_alu instid0(VALU_DEP_2) | instskip(NEXT) | instid1(VALU_DEP_2)
	v_mul_hi_u32 v38, v17, v37
	v_mul_lo_u32 v39, v17, v24
	v_mul_hi_u32 v40, v17, v24
	v_mul_hi_u32 v42, v18, v37
	v_mul_lo_u32 v37, v18, v37
	v_mul_hi_u32 v43, v18, v24
	v_mul_lo_u32 v24, v18, v24
	v_add_co_u32 v38, vcc_lo, v38, v39
	v_add_co_ci_u32_e32 v39, vcc_lo, 0, v40, vcc_lo
	s_delay_alu instid0(VALU_DEP_2) | instskip(NEXT) | instid1(VALU_DEP_2)
	v_add_co_u32 v37, vcc_lo, v38, v37
	v_add_co_ci_u32_e32 v37, vcc_lo, v39, v42, vcc_lo
	v_add_co_ci_u32_e32 v38, vcc_lo, 0, v43, vcc_lo
	v_add_co_u32 v35, vcc_lo, v35, v41
	v_add_co_ci_u32_e32 v36, vcc_lo, v36, v41, vcc_lo
	s_delay_alu instid0(VALU_DEP_4) | instskip(NEXT) | instid1(VALU_DEP_4)
	v_add_co_u32 v24, vcc_lo, v37, v24
	v_add_co_ci_u32_e32 v37, vcc_lo, 0, v38, vcc_lo
	s_delay_alu instid0(VALU_DEP_4) | instskip(NEXT) | instid1(VALU_DEP_3)
	v_xor_b32_e32 v39, v35, v41
	v_add_co_u32 v24, vcc_lo, v17, v24
	s_delay_alu instid0(VALU_DEP_3) | instskip(SKIP_1) | instid1(VALU_DEP_3)
	v_add_co_ci_u32_e32 v40, vcc_lo, v18, v37, vcc_lo
	v_xor_b32_e32 v42, v36, v41
	v_mul_hi_u32 v43, v39, v24
	s_delay_alu instid0(VALU_DEP_3) | instskip(NEXT) | instid1(VALU_DEP_3)
	v_mad_u64_u32 v[17:18], null, v39, v40, 0
	v_mad_u64_u32 v[35:36], null, v42, v24, 0
	;; [unrolled: 1-line block ×3, first 2 shown]
	s_delay_alu instid0(VALU_DEP_3) | instskip(NEXT) | instid1(VALU_DEP_4)
	v_add_co_u32 v17, vcc_lo, v43, v17
	v_add_co_ci_u32_e32 v18, vcc_lo, 0, v18, vcc_lo
	s_delay_alu instid0(VALU_DEP_2) | instskip(NEXT) | instid1(VALU_DEP_2)
	v_add_co_u32 v17, vcc_lo, v17, v35
	v_add_co_ci_u32_e32 v17, vcc_lo, v18, v36, vcc_lo
	v_add_co_ci_u32_e32 v18, vcc_lo, 0, v38, vcc_lo
	s_delay_alu instid0(VALU_DEP_2) | instskip(NEXT) | instid1(VALU_DEP_2)
	v_add_co_u32 v24, vcc_lo, v17, v37
	v_add_co_ci_u32_e32 v35, vcc_lo, 0, v18, vcc_lo
	s_delay_alu instid0(VALU_DEP_2) | instskip(SKIP_1) | instid1(VALU_DEP_3)
	v_mul_lo_u32 v36, s3, v24
	v_mad_u64_u32 v[17:18], null, s2, v24, 0
	v_mul_lo_u32 v24, s2, v35
	s_delay_alu instid0(VALU_DEP_2) | instskip(NEXT) | instid1(VALU_DEP_2)
	v_sub_co_u32 v17, vcc_lo, v39, v17
	v_add3_u32 v18, v18, v24, v36
	s_delay_alu instid0(VALU_DEP_1) | instskip(NEXT) | instid1(VALU_DEP_1)
	v_sub_nc_u32_e32 v24, v42, v18
	v_subrev_co_ci_u32_e64 v24, s0, s3, v24, vcc_lo
	v_sub_co_ci_u32_e32 v18, vcc_lo, v42, v18, vcc_lo
	v_sub_co_u32 v35, vcc_lo, v17, s2
	s_delay_alu instid0(VALU_DEP_1) | instskip(SKIP_3) | instid1(VALU_DEP_3)
	v_subrev_co_ci_u32_e64 v36, s0, 0, v24, vcc_lo
	v_cmp_le_u32_e64 s0, s2, v17
	v_subrev_co_ci_u32_e32 v24, vcc_lo, s3, v24, vcc_lo
	v_cmp_le_u32_e32 vcc_lo, s3, v18
	v_cndmask_b32_e64 v37, 0, -1, s0
	v_cmp_le_u32_e64 s0, s2, v35
	v_cndmask_b32_e64 v40, 0, -1, vcc_lo
	v_cmp_eq_u32_e32 vcc_lo, s3, v36
	s_delay_alu instid0(VALU_DEP_3) | instskip(SKIP_1) | instid1(VALU_DEP_1)
	v_cndmask_b32_e64 v38, 0, -1, s0
	v_cmp_le_u32_e64 s0, s3, v36
	v_cndmask_b32_e64 v39, 0, -1, s0
	v_cmp_eq_u32_e64 s0, s3, v18
	s_delay_alu instid0(VALU_DEP_2) | instskip(SKIP_2) | instid1(VALU_DEP_3)
	v_cndmask_b32_e32 v38, v39, v38, vcc_lo
	v_sub_co_u32 v39, vcc_lo, v35, s2
	v_subrev_co_ci_u32_e32 v24, vcc_lo, 0, v24, vcc_lo
	v_cmp_ne_u32_e32 vcc_lo, 0, v38
	v_cndmask_b32_e64 v37, v40, v37, s0
	s_delay_alu instid0(VALU_DEP_3) | instskip(NEXT) | instid1(VALU_DEP_2)
	v_dual_cndmask_b32 v24, v36, v24 :: v_dual_cndmask_b32 v35, v35, v39
	v_cmp_ne_u32_e32 vcc_lo, 0, v37
	s_delay_alu instid0(VALU_DEP_2) | instskip(NEXT) | instid1(VALU_DEP_1)
	v_dual_cndmask_b32 v17, v17, v35 :: v_dual_cndmask_b32 v18, v18, v24
                                        ; implicit-def: $vgpr35_vgpr36
	v_xor_b32_e32 v17, v17, v41
	s_delay_alu instid0(VALU_DEP_2) | instskip(NEXT) | instid1(VALU_DEP_2)
	v_xor_b32_e32 v18, v18, v41
	v_sub_co_u32 v17, vcc_lo, v17, v41
	s_delay_alu instid0(VALU_DEP_2)
	v_sub_co_ci_u32_e32 v18, vcc_lo, v18, v41, vcc_lo
.LBB24_46:                              ;   in Loop: Header=BB24_9 Depth=1
	s_and_not1_saveexec_b32 s0, s1
	s_cbranch_execz .LBB24_7
; %bb.47:                               ;   in Loop: Header=BB24_9 Depth=1
	v_cvt_f32_u32_e32 v17, s20
	s_sub_i32 s1, 0, s20
	s_delay_alu instid0(VALU_DEP_1) | instskip(SKIP_2) | instid1(VALU_DEP_1)
	v_rcp_iflag_f32_e32 v17, v17
	s_waitcnt_depctr 0xfff
	v_mul_f32_e32 v17, 0x4f7ffffe, v17
	v_cvt_u32_f32_e32 v17, v17
	s_delay_alu instid0(VALU_DEP_1) | instskip(NEXT) | instid1(VALU_DEP_1)
	v_mul_lo_u32 v18, s1, v17
	v_mul_hi_u32 v18, v17, v18
	s_delay_alu instid0(VALU_DEP_1) | instskip(NEXT) | instid1(VALU_DEP_1)
	v_add_nc_u32_e32 v17, v17, v18
	v_mul_hi_u32 v17, v35, v17
	s_delay_alu instid0(VALU_DEP_1) | instskip(NEXT) | instid1(VALU_DEP_1)
	v_mul_lo_u32 v17, v17, s20
	v_sub_nc_u32_e32 v17, v35, v17
	s_delay_alu instid0(VALU_DEP_1) | instskip(SKIP_1) | instid1(VALU_DEP_2)
	v_subrev_nc_u32_e32 v18, s20, v17
	v_cmp_le_u32_e32 vcc_lo, s20, v17
	v_cndmask_b32_e32 v17, v17, v18, vcc_lo
	s_delay_alu instid0(VALU_DEP_1) | instskip(SKIP_1) | instid1(VALU_DEP_2)
	v_subrev_nc_u32_e32 v18, s20, v17
	v_cmp_le_u32_e32 vcc_lo, s20, v17
	v_dual_cndmask_b32 v17, v17, v18 :: v_dual_mov_b32 v18, v23
	s_branch .LBB24_7
.LBB24_48:
	s_or_b32 exec_lo, exec_lo, s66
	v_mad_u64_u32 v[3:4], null, v21, s12, v[1:2]
	v_mul_lo_u32 v0, v21, s13
	v_mul_lo_u32 v1, v22, s12
	v_cmp_ne_u64_e32 vcc_lo, v[19:20], v[21:22]
	s_and_b32 s0, vcc_lo, exec_lo
	s_delay_alu instid0(VALU_DEP_2)
	v_add3_u32 v4, v1, v4, v0
                                        ; implicit-def: $vgpr1_vgpr2
.LBB24_49:
	s_or_saveexec_b32 s1, s36
	v_dual_mov_b32 v5, s24 :: v_dual_mov_b32 v6, s25
	s_xor_b32 exec_lo, exec_lo, s1
; %bb.50:
	s_sub_u32 s2, 0, s4
	s_subb_u32 s3, 0, s5
	v_dual_mov_b32 v4, v2 :: v_dual_mov_b32 v3, v1
	v_dual_mov_b32 v6, s3 :: v_dual_mov_b32 v5, s2
	s_or_b32 s0, s0, exec_lo
; %bb.51:
	s_or_b32 exec_lo, exec_lo, s1
	s_delay_alu instid0(SALU_CYCLE_1)
	s_and_b32 exec_lo, exec_lo, s0
	s_cbranch_execz .LBB24_64
; %bb.52:
	v_cvt_f32_u32_e32 v0, s4
	s_sub_u32 s1, 0, s10
	s_subb_u32 s22, 0, s11
	s_sub_i32 s0, 0, s4
	s_mov_b32 s23, 0
	v_rcp_iflag_f32_e32 v0, v0
	s_ashr_i32 s2, s5, 31
	s_ashr_i32 s10, s21, 31
	s_sub_i32 s24, 0, s20
	s_waitcnt_depctr 0xfff
	v_mul_f32_e32 v0, 0x4f7ffffe, v0
	s_delay_alu instid0(VALU_DEP_1) | instskip(NEXT) | instid1(VALU_DEP_1)
	v_cvt_u32_f32_e32 v1, v0
	v_mul_lo_u32 v0, s0, v1
	s_delay_alu instid0(VALU_DEP_1) | instskip(NEXT) | instid1(VALU_DEP_1)
	v_mul_hi_u32 v2, v1, v0
	v_dual_mov_b32 v0, 0 :: v_dual_add_nc_u32 v11, v1, v2
	s_branch .LBB24_55
.LBB24_53:                              ;   in Loop: Header=BB24_55 Depth=1
	s_or_b32 exec_lo, exec_lo, s0
	s_delay_alu instid0(VALU_DEP_1) | instskip(NEXT) | instid1(VALU_DEP_1)
	v_ashrrev_i32_e32 v9, 31, v2
	v_and_b32_e32 v10, s20, v9
	v_and_b32_e32 v9, s21, v9
	s_delay_alu instid0(VALU_DEP_2) | instskip(NEXT) | instid1(VALU_DEP_2)
	v_add_co_u32 v1, vcc_lo, v10, v1
	v_add_co_ci_u32_e32 v2, vcc_lo, v9, v2, vcc_lo
	s_delay_alu instid0(VALU_DEP_2) | instskip(NEXT) | instid1(VALU_DEP_2)
	v_sub_co_u32 v9, vcc_lo, s20, v1
	v_sub_co_ci_u32_e32 v10, vcc_lo, s21, v2, vcc_lo
	v_cmp_gt_i64_e32 vcc_lo, s[8:9], v[1:2]
	s_delay_alu instid0(VALU_DEP_2)
	v_dual_cndmask_b32 v2, v10, v2 :: v_dual_cndmask_b32 v1, v9, v1
.LBB24_54:                              ;   in Loop: Header=BB24_55 Depth=1
	v_mad_u64_u32 v[9:10], null, v7, s8, s[18:19]
	v_mul_lo_u32 v7, v7, s9
	v_mul_lo_u32 v8, v8, s8
	s_delay_alu instid0(VALU_DEP_3) | instskip(NEXT) | instid1(VALU_DEP_2)
	v_add_co_u32 v1, vcc_lo, v9, v1
	v_add3_u32 v7, v8, v10, v7
	s_delay_alu instid0(VALU_DEP_1)
	v_add_co_ci_u32_e32 v2, vcc_lo, v7, v2, vcc_lo
	global_load_u8 v7, v[1:2], off
	v_add_co_u32 v1, vcc_lo, s16, v3
	v_add_co_ci_u32_e32 v2, vcc_lo, s17, v4, vcc_lo
	v_add_co_u32 v3, vcc_lo, v3, s12
	v_add_co_ci_u32_e32 v4, vcc_lo, s13, v4, vcc_lo
	s_delay_alu instid0(VALU_DEP_1)
	v_cmp_le_i64_e32 vcc_lo, s[6:7], v[3:4]
	s_or_b32 s23, vcc_lo, s23
	s_waitcnt vmcnt(0)
	global_store_b8 v[1:2], v7, off
	s_and_not1_b32 exec_lo, exec_lo, s23
	s_cbranch_execz .LBB24_64
.LBB24_55:                              ; =>This Inner Loop Header: Depth=1
	v_or_b32_e32 v1, s5, v4
                                        ; implicit-def: $vgpr7_vgpr8
	s_delay_alu instid0(VALU_DEP_1) | instskip(SKIP_1) | instid1(SALU_CYCLE_1)
	v_cmp_ne_u64_e32 vcc_lo, 0, v[0:1]
                                        ; kill: def $vgpr1_vgpr2 killed $sgpr0_sgpr1 killed $exec
	s_and_saveexec_b32 s0, vcc_lo
	s_xor_b32 s11, exec_lo, s0
	s_cbranch_execz .LBB24_57
; %bb.56:                               ;   in Loop: Header=BB24_55 Depth=1
	s_add_u32 s14, s4, s2
	s_mov_b32 s3, s2
	s_addc_u32 s15, s5, s2
	s_delay_alu instid0(SALU_CYCLE_1) | instskip(NEXT) | instid1(SALU_CYCLE_1)
	s_xor_b64 s[14:15], s[14:15], s[2:3]
	v_cvt_f32_u32_e32 v1, s14
	v_cvt_f32_u32_e32 v2, s15
	s_sub_u32 s0, 0, s14
	s_subb_u32 s3, 0, s15
	s_delay_alu instid0(VALU_DEP_1) | instskip(NEXT) | instid1(VALU_DEP_1)
	v_fmac_f32_e32 v1, 0x4f800000, v2
	v_rcp_f32_e32 v1, v1
	s_waitcnt_depctr 0xfff
	v_mul_f32_e32 v1, 0x5f7ffffc, v1
	s_delay_alu instid0(VALU_DEP_1) | instskip(NEXT) | instid1(VALU_DEP_1)
	v_mul_f32_e32 v2, 0x2f800000, v1
	v_trunc_f32_e32 v2, v2
	s_delay_alu instid0(VALU_DEP_1) | instskip(SKIP_1) | instid1(VALU_DEP_2)
	v_fmac_f32_e32 v1, 0xcf800000, v2
	v_cvt_u32_f32_e32 v2, v2
	v_cvt_u32_f32_e32 v1, v1
	s_delay_alu instid0(VALU_DEP_2) | instskip(NEXT) | instid1(VALU_DEP_2)
	v_mul_lo_u32 v7, s0, v2
	v_mul_hi_u32 v8, s0, v1
	v_mul_lo_u32 v9, s3, v1
	s_delay_alu instid0(VALU_DEP_2) | instskip(SKIP_1) | instid1(VALU_DEP_2)
	v_add_nc_u32_e32 v7, v8, v7
	v_mul_lo_u32 v8, s0, v1
	v_add_nc_u32_e32 v7, v7, v9
	s_delay_alu instid0(VALU_DEP_2) | instskip(NEXT) | instid1(VALU_DEP_2)
	v_mul_hi_u32 v9, v1, v8
	v_mul_lo_u32 v10, v1, v7
	v_mul_hi_u32 v12, v1, v7
	v_mul_hi_u32 v13, v2, v8
	v_mul_lo_u32 v8, v2, v8
	v_mul_hi_u32 v14, v2, v7
	v_mul_lo_u32 v7, v2, v7
	v_add_co_u32 v9, vcc_lo, v9, v10
	v_add_co_ci_u32_e32 v10, vcc_lo, 0, v12, vcc_lo
	s_delay_alu instid0(VALU_DEP_2) | instskip(NEXT) | instid1(VALU_DEP_2)
	v_add_co_u32 v8, vcc_lo, v9, v8
	v_add_co_ci_u32_e32 v8, vcc_lo, v10, v13, vcc_lo
	v_add_co_ci_u32_e32 v9, vcc_lo, 0, v14, vcc_lo
	v_ashrrev_i32_e32 v13, 31, v4
	s_delay_alu instid0(VALU_DEP_3) | instskip(NEXT) | instid1(VALU_DEP_3)
	v_add_co_u32 v7, vcc_lo, v8, v7
	v_add_co_ci_u32_e32 v8, vcc_lo, 0, v9, vcc_lo
	s_delay_alu instid0(VALU_DEP_2) | instskip(NEXT) | instid1(VALU_DEP_2)
	v_add_co_u32 v1, vcc_lo, v1, v7
	v_add_co_ci_u32_e32 v2, vcc_lo, v2, v8, vcc_lo
	s_delay_alu instid0(VALU_DEP_2) | instskip(SKIP_1) | instid1(VALU_DEP_3)
	v_mul_hi_u32 v7, s0, v1
	v_mul_lo_u32 v9, s3, v1
	v_mul_lo_u32 v8, s0, v2
	s_delay_alu instid0(VALU_DEP_1) | instskip(SKIP_1) | instid1(VALU_DEP_2)
	v_add_nc_u32_e32 v7, v7, v8
	v_mul_lo_u32 v8, s0, v1
	v_add_nc_u32_e32 v7, v7, v9
	s_delay_alu instid0(VALU_DEP_2) | instskip(NEXT) | instid1(VALU_DEP_2)
	v_mul_hi_u32 v9, v1, v8
	v_mul_lo_u32 v10, v1, v7
	v_mul_hi_u32 v12, v1, v7
	v_mul_hi_u32 v14, v2, v8
	v_mul_lo_u32 v8, v2, v8
	v_mul_hi_u32 v15, v2, v7
	v_mul_lo_u32 v7, v2, v7
	v_add_co_u32 v9, vcc_lo, v9, v10
	v_add_co_ci_u32_e32 v10, vcc_lo, 0, v12, vcc_lo
	s_delay_alu instid0(VALU_DEP_2) | instskip(NEXT) | instid1(VALU_DEP_2)
	v_add_co_u32 v8, vcc_lo, v9, v8
	v_add_co_ci_u32_e32 v8, vcc_lo, v10, v14, vcc_lo
	v_add_co_ci_u32_e32 v9, vcc_lo, 0, v15, vcc_lo
	v_add_co_u32 v10, vcc_lo, v3, v13
	v_add_co_ci_u32_e32 v12, vcc_lo, v4, v13, vcc_lo
	s_delay_alu instid0(VALU_DEP_4) | instskip(NEXT) | instid1(VALU_DEP_4)
	v_add_co_u32 v7, vcc_lo, v8, v7
	v_add_co_ci_u32_e32 v8, vcc_lo, 0, v9, vcc_lo
	s_delay_alu instid0(VALU_DEP_4) | instskip(NEXT) | instid1(VALU_DEP_3)
	v_xor_b32_e32 v14, v10, v13
	v_add_co_u32 v9, vcc_lo, v1, v7
	s_delay_alu instid0(VALU_DEP_3) | instskip(SKIP_1) | instid1(VALU_DEP_3)
	v_add_co_ci_u32_e32 v15, vcc_lo, v2, v8, vcc_lo
	v_xor_b32_e32 v12, v12, v13
	v_mul_hi_u32 v16, v14, v9
	s_delay_alu instid0(VALU_DEP_3) | instskip(NEXT) | instid1(VALU_DEP_3)
	v_mad_u64_u32 v[1:2], null, v14, v15, 0
	v_mad_u64_u32 v[7:8], null, v12, v9, 0
	;; [unrolled: 1-line block ×3, first 2 shown]
	s_delay_alu instid0(VALU_DEP_3) | instskip(NEXT) | instid1(VALU_DEP_4)
	v_add_co_u32 v1, vcc_lo, v16, v1
	v_add_co_ci_u32_e32 v2, vcc_lo, 0, v2, vcc_lo
	s_delay_alu instid0(VALU_DEP_2) | instskip(NEXT) | instid1(VALU_DEP_2)
	v_add_co_u32 v1, vcc_lo, v1, v7
	v_add_co_ci_u32_e32 v1, vcc_lo, v2, v8, vcc_lo
	v_add_co_ci_u32_e32 v2, vcc_lo, 0, v10, vcc_lo
	s_delay_alu instid0(VALU_DEP_2) | instskip(NEXT) | instid1(VALU_DEP_2)
	v_add_co_u32 v7, vcc_lo, v1, v9
	v_add_co_ci_u32_e32 v8, vcc_lo, 0, v2, vcc_lo
	s_delay_alu instid0(VALU_DEP_2) | instskip(SKIP_1) | instid1(VALU_DEP_3)
	v_mul_lo_u32 v9, s15, v7
	v_mad_u64_u32 v[1:2], null, s14, v7, 0
	v_mul_lo_u32 v10, s14, v8
	s_delay_alu instid0(VALU_DEP_2) | instskip(NEXT) | instid1(VALU_DEP_2)
	v_sub_co_u32 v1, vcc_lo, v14, v1
	v_add3_u32 v2, v2, v10, v9
	s_delay_alu instid0(VALU_DEP_1) | instskip(NEXT) | instid1(VALU_DEP_1)
	v_sub_nc_u32_e32 v9, v12, v2
	v_subrev_co_ci_u32_e64 v9, s0, s15, v9, vcc_lo
	v_add_co_u32 v10, s0, v7, 2
	s_delay_alu instid0(VALU_DEP_1) | instskip(SKIP_3) | instid1(VALU_DEP_3)
	v_add_co_ci_u32_e64 v14, s0, 0, v8, s0
	v_sub_co_u32 v15, s0, v1, s14
	v_sub_co_ci_u32_e32 v2, vcc_lo, v12, v2, vcc_lo
	v_subrev_co_ci_u32_e64 v9, s0, 0, v9, s0
	v_cmp_le_u32_e32 vcc_lo, s14, v15
	s_delay_alu instid0(VALU_DEP_3) | instskip(SKIP_1) | instid1(VALU_DEP_4)
	v_cmp_eq_u32_e64 s0, s15, v2
	v_cndmask_b32_e64 v12, 0, -1, vcc_lo
	v_cmp_le_u32_e32 vcc_lo, s15, v9
	v_cndmask_b32_e64 v15, 0, -1, vcc_lo
	v_cmp_le_u32_e32 vcc_lo, s14, v1
	;; [unrolled: 2-line block ×3, first 2 shown]
	v_cndmask_b32_e64 v16, 0, -1, vcc_lo
	v_cmp_eq_u32_e32 vcc_lo, s15, v9
	s_delay_alu instid0(VALU_DEP_2) | instskip(SKIP_3) | instid1(VALU_DEP_3)
	v_cndmask_b32_e64 v1, v16, v1, s0
	v_cndmask_b32_e32 v9, v15, v12, vcc_lo
	v_add_co_u32 v12, vcc_lo, v7, 1
	v_add_co_ci_u32_e32 v15, vcc_lo, 0, v8, vcc_lo
	v_cmp_ne_u32_e32 vcc_lo, 0, v9
	s_delay_alu instid0(VALU_DEP_2) | instskip(NEXT) | instid1(VALU_DEP_4)
	v_cndmask_b32_e32 v2, v15, v14, vcc_lo
	v_cndmask_b32_e32 v9, v12, v10, vcc_lo
	v_cmp_ne_u32_e32 vcc_lo, 0, v1
	v_xor_b32_e32 v1, s2, v13
	s_delay_alu instid0(VALU_DEP_3) | instskip(NEXT) | instid1(VALU_DEP_1)
	v_dual_cndmask_b32 v2, v8, v2 :: v_dual_cndmask_b32 v7, v7, v9
	v_xor_b32_e32 v2, v2, v1
	s_delay_alu instid0(VALU_DEP_2) | instskip(NEXT) | instid1(VALU_DEP_1)
	v_xor_b32_e32 v7, v7, v1
	v_sub_co_u32 v7, vcc_lo, v7, v1
	s_delay_alu instid0(VALU_DEP_3)
	v_sub_co_ci_u32_e32 v8, vcc_lo, v2, v1, vcc_lo
.LBB24_57:                              ;   in Loop: Header=BB24_55 Depth=1
	s_and_not1_saveexec_b32 s0, s11
; %bb.58:                               ;   in Loop: Header=BB24_55 Depth=1
	v_mul_hi_u32 v1, v3, v11
	s_delay_alu instid0(VALU_DEP_1) | instskip(NEXT) | instid1(VALU_DEP_1)
	v_mul_lo_u32 v2, v1, s4
	v_sub_nc_u32_e32 v2, v3, v2
	s_delay_alu instid0(VALU_DEP_1) | instskip(SKIP_1) | instid1(VALU_DEP_2)
	v_subrev_nc_u32_e32 v8, s4, v2
	v_cmp_le_u32_e32 vcc_lo, s4, v2
	v_dual_cndmask_b32 v2, v2, v8 :: v_dual_add_nc_u32 v7, 1, v1
	s_delay_alu instid0(VALU_DEP_1) | instskip(NEXT) | instid1(VALU_DEP_2)
	v_dual_cndmask_b32 v1, v1, v7 :: v_dual_mov_b32 v8, v0
	v_cmp_le_u32_e32 vcc_lo, s4, v2
	s_delay_alu instid0(VALU_DEP_2) | instskip(NEXT) | instid1(VALU_DEP_1)
	v_add_nc_u32_e32 v7, 1, v1
	v_cndmask_b32_e32 v7, v1, v7, vcc_lo
; %bb.59:                               ;   in Loop: Header=BB24_55 Depth=1
	s_or_b32 exec_lo, exec_lo, s0
	v_mov_b32_e32 v1, 0
	v_mov_b32_e32 v2, 0
	s_and_not1_b32 vcc_lo, exec_lo, s33
	s_cbranch_vccnz .LBB24_54
; %bb.60:                               ;   in Loop: Header=BB24_55 Depth=1
	v_add_co_u32 v1, vcc_lo, s1, v3
	v_add_co_ci_u32_e32 v2, vcc_lo, s22, v4, vcc_lo
	v_mul_lo_u32 v12, v5, v8
	v_mul_lo_u32 v13, v6, v7
	s_delay_alu instid0(VALU_DEP_3) | instskip(NEXT) | instid1(VALU_DEP_1)
	v_mad_u64_u32 v[9:10], null, v5, v7, v[1:2]
	v_add3_u32 v10, v13, v10, v12
	s_delay_alu instid0(VALU_DEP_1) | instskip(NEXT) | instid1(VALU_DEP_1)
	v_or_b32_e32 v1, s21, v10
	v_cmp_ne_u64_e32 vcc_lo, 0, v[0:1]
                                        ; implicit-def: $vgpr1_vgpr2
	s_and_saveexec_b32 s0, vcc_lo
	s_delay_alu instid0(SALU_CYCLE_1)
	s_xor_b32 s3, exec_lo, s0
	s_cbranch_execz .LBB24_62
; %bb.61:                               ;   in Loop: Header=BB24_55 Depth=1
	s_add_u32 s14, s20, s10
	s_mov_b32 s11, s10
	s_addc_u32 s15, s21, s10
	s_delay_alu instid0(SALU_CYCLE_1) | instskip(NEXT) | instid1(SALU_CYCLE_1)
	s_xor_b64 s[14:15], s[14:15], s[10:11]
	v_cvt_f32_u32_e32 v1, s14
	v_cvt_f32_u32_e32 v2, s15
	s_sub_u32 s0, 0, s14
	s_subb_u32 s11, 0, s15
	s_delay_alu instid0(VALU_DEP_1) | instskip(NEXT) | instid1(VALU_DEP_1)
	v_fmac_f32_e32 v1, 0x4f800000, v2
	v_rcp_f32_e32 v1, v1
	s_waitcnt_depctr 0xfff
	v_mul_f32_e32 v1, 0x5f7ffffc, v1
	s_delay_alu instid0(VALU_DEP_1) | instskip(NEXT) | instid1(VALU_DEP_1)
	v_mul_f32_e32 v2, 0x2f800000, v1
	v_trunc_f32_e32 v2, v2
	s_delay_alu instid0(VALU_DEP_1) | instskip(SKIP_1) | instid1(VALU_DEP_2)
	v_fmac_f32_e32 v1, 0xcf800000, v2
	v_cvt_u32_f32_e32 v2, v2
	v_cvt_u32_f32_e32 v1, v1
	s_delay_alu instid0(VALU_DEP_2) | instskip(NEXT) | instid1(VALU_DEP_2)
	v_mul_lo_u32 v12, s0, v2
	v_mul_hi_u32 v13, s0, v1
	v_mul_lo_u32 v14, s11, v1
	s_delay_alu instid0(VALU_DEP_2) | instskip(SKIP_1) | instid1(VALU_DEP_2)
	v_add_nc_u32_e32 v12, v13, v12
	v_mul_lo_u32 v13, s0, v1
	v_add_nc_u32_e32 v12, v12, v14
	s_delay_alu instid0(VALU_DEP_2) | instskip(NEXT) | instid1(VALU_DEP_2)
	v_mul_hi_u32 v14, v1, v13
	v_mul_lo_u32 v15, v1, v12
	v_mul_hi_u32 v16, v1, v12
	v_mul_hi_u32 v17, v2, v13
	v_mul_lo_u32 v13, v2, v13
	v_mul_hi_u32 v18, v2, v12
	v_mul_lo_u32 v12, v2, v12
	v_add_co_u32 v14, vcc_lo, v14, v15
	v_add_co_ci_u32_e32 v15, vcc_lo, 0, v16, vcc_lo
	s_delay_alu instid0(VALU_DEP_2) | instskip(NEXT) | instid1(VALU_DEP_2)
	v_add_co_u32 v13, vcc_lo, v14, v13
	v_add_co_ci_u32_e32 v13, vcc_lo, v15, v17, vcc_lo
	v_add_co_ci_u32_e32 v14, vcc_lo, 0, v18, vcc_lo
	v_ashrrev_i32_e32 v17, 31, v10
	s_delay_alu instid0(VALU_DEP_3) | instskip(NEXT) | instid1(VALU_DEP_3)
	v_add_co_u32 v12, vcc_lo, v13, v12
	v_add_co_ci_u32_e32 v13, vcc_lo, 0, v14, vcc_lo
	s_delay_alu instid0(VALU_DEP_2) | instskip(NEXT) | instid1(VALU_DEP_2)
	v_add_co_u32 v1, vcc_lo, v1, v12
	v_add_co_ci_u32_e32 v2, vcc_lo, v2, v13, vcc_lo
	s_delay_alu instid0(VALU_DEP_2) | instskip(SKIP_1) | instid1(VALU_DEP_3)
	v_mul_hi_u32 v12, s0, v1
	v_mul_lo_u32 v14, s11, v1
	v_mul_lo_u32 v13, s0, v2
	s_delay_alu instid0(VALU_DEP_1) | instskip(SKIP_1) | instid1(VALU_DEP_2)
	v_add_nc_u32_e32 v12, v12, v13
	v_mul_lo_u32 v13, s0, v1
	v_add_nc_u32_e32 v12, v12, v14
	s_delay_alu instid0(VALU_DEP_2) | instskip(NEXT) | instid1(VALU_DEP_2)
	v_mul_hi_u32 v14, v1, v13
	v_mul_lo_u32 v15, v1, v12
	v_mul_hi_u32 v16, v1, v12
	v_mul_hi_u32 v18, v2, v13
	v_mul_lo_u32 v13, v2, v13
	v_mul_hi_u32 v19, v2, v12
	v_mul_lo_u32 v12, v2, v12
	v_add_co_u32 v14, vcc_lo, v14, v15
	v_add_co_ci_u32_e32 v15, vcc_lo, 0, v16, vcc_lo
	s_delay_alu instid0(VALU_DEP_2) | instskip(NEXT) | instid1(VALU_DEP_2)
	v_add_co_u32 v13, vcc_lo, v14, v13
	v_add_co_ci_u32_e32 v13, vcc_lo, v15, v18, vcc_lo
	v_add_co_ci_u32_e32 v14, vcc_lo, 0, v19, vcc_lo
	v_add_co_u32 v9, vcc_lo, v9, v17
	v_add_co_ci_u32_e32 v10, vcc_lo, v10, v17, vcc_lo
	s_delay_alu instid0(VALU_DEP_4) | instskip(NEXT) | instid1(VALU_DEP_4)
	v_add_co_u32 v12, vcc_lo, v13, v12
	v_add_co_ci_u32_e32 v13, vcc_lo, 0, v14, vcc_lo
	s_delay_alu instid0(VALU_DEP_4) | instskip(NEXT) | instid1(VALU_DEP_3)
	v_xor_b32_e32 v14, v9, v17
	v_add_co_u32 v12, vcc_lo, v1, v12
	s_delay_alu instid0(VALU_DEP_3) | instskip(SKIP_1) | instid1(VALU_DEP_3)
	v_add_co_ci_u32_e32 v15, vcc_lo, v2, v13, vcc_lo
	v_xor_b32_e32 v16, v10, v17
	v_mul_hi_u32 v18, v14, v12
	s_delay_alu instid0(VALU_DEP_3) | instskip(NEXT) | instid1(VALU_DEP_3)
	v_mad_u64_u32 v[1:2], null, v14, v15, 0
	v_mad_u64_u32 v[9:10], null, v16, v12, 0
	;; [unrolled: 1-line block ×3, first 2 shown]
	s_delay_alu instid0(VALU_DEP_3) | instskip(NEXT) | instid1(VALU_DEP_4)
	v_add_co_u32 v1, vcc_lo, v18, v1
	v_add_co_ci_u32_e32 v2, vcc_lo, 0, v2, vcc_lo
	s_delay_alu instid0(VALU_DEP_2) | instskip(NEXT) | instid1(VALU_DEP_2)
	v_add_co_u32 v1, vcc_lo, v1, v9
	v_add_co_ci_u32_e32 v1, vcc_lo, v2, v10, vcc_lo
	v_add_co_ci_u32_e32 v2, vcc_lo, 0, v13, vcc_lo
	s_delay_alu instid0(VALU_DEP_2) | instskip(NEXT) | instid1(VALU_DEP_2)
	v_add_co_u32 v9, vcc_lo, v1, v12
	v_add_co_ci_u32_e32 v10, vcc_lo, 0, v2, vcc_lo
	s_delay_alu instid0(VALU_DEP_2) | instskip(SKIP_1) | instid1(VALU_DEP_3)
	v_mul_lo_u32 v12, s15, v9
	v_mad_u64_u32 v[1:2], null, s14, v9, 0
	v_mul_lo_u32 v9, s14, v10
	s_delay_alu instid0(VALU_DEP_2) | instskip(NEXT) | instid1(VALU_DEP_2)
	v_sub_co_u32 v1, vcc_lo, v14, v1
	v_add3_u32 v2, v2, v9, v12
	s_delay_alu instid0(VALU_DEP_1) | instskip(NEXT) | instid1(VALU_DEP_1)
	v_sub_nc_u32_e32 v9, v16, v2
	v_subrev_co_ci_u32_e64 v9, s0, s15, v9, vcc_lo
	v_sub_co_ci_u32_e32 v2, vcc_lo, v16, v2, vcc_lo
	v_sub_co_u32 v10, vcc_lo, v1, s14
	s_delay_alu instid0(VALU_DEP_1) | instskip(SKIP_3) | instid1(VALU_DEP_3)
	v_subrev_co_ci_u32_e64 v12, s0, 0, v9, vcc_lo
	v_cmp_le_u32_e64 s0, s14, v1
	v_subrev_co_ci_u32_e32 v9, vcc_lo, s15, v9, vcc_lo
	v_cmp_le_u32_e32 vcc_lo, s15, v2
	v_cndmask_b32_e64 v13, 0, -1, s0
	v_cmp_le_u32_e64 s0, s14, v10
	v_cndmask_b32_e64 v16, 0, -1, vcc_lo
	v_cmp_eq_u32_e32 vcc_lo, s15, v12
	s_delay_alu instid0(VALU_DEP_3) | instskip(SKIP_1) | instid1(VALU_DEP_1)
	v_cndmask_b32_e64 v14, 0, -1, s0
	v_cmp_le_u32_e64 s0, s15, v12
	v_cndmask_b32_e64 v15, 0, -1, s0
	v_cmp_eq_u32_e64 s0, s15, v2
	s_delay_alu instid0(VALU_DEP_2) | instskip(SKIP_2) | instid1(VALU_DEP_3)
	v_cndmask_b32_e32 v14, v15, v14, vcc_lo
	v_sub_co_u32 v15, vcc_lo, v10, s14
	v_subrev_co_ci_u32_e32 v9, vcc_lo, 0, v9, vcc_lo
	v_cmp_ne_u32_e32 vcc_lo, 0, v14
	v_cndmask_b32_e64 v13, v16, v13, s0
	s_delay_alu instid0(VALU_DEP_3) | instskip(NEXT) | instid1(VALU_DEP_2)
	v_dual_cndmask_b32 v9, v12, v9 :: v_dual_cndmask_b32 v10, v10, v15
	v_cmp_ne_u32_e32 vcc_lo, 0, v13
	s_delay_alu instid0(VALU_DEP_2) | instskip(NEXT) | instid1(VALU_DEP_1)
	v_dual_cndmask_b32 v1, v1, v10 :: v_dual_cndmask_b32 v2, v2, v9
                                        ; implicit-def: $vgpr9_vgpr10
	v_xor_b32_e32 v1, v1, v17
	s_delay_alu instid0(VALU_DEP_2) | instskip(NEXT) | instid1(VALU_DEP_2)
	v_xor_b32_e32 v2, v2, v17
	v_sub_co_u32 v1, vcc_lo, v1, v17
	s_delay_alu instid0(VALU_DEP_2)
	v_sub_co_ci_u32_e32 v2, vcc_lo, v2, v17, vcc_lo
.LBB24_62:                              ;   in Loop: Header=BB24_55 Depth=1
	s_and_not1_saveexec_b32 s0, s3
	s_cbranch_execz .LBB24_53
; %bb.63:                               ;   in Loop: Header=BB24_55 Depth=1
	v_cvt_f32_u32_e32 v1, s20
	s_delay_alu instid0(VALU_DEP_1) | instskip(SKIP_2) | instid1(VALU_DEP_1)
	v_rcp_iflag_f32_e32 v1, v1
	s_waitcnt_depctr 0xfff
	v_mul_f32_e32 v1, 0x4f7ffffe, v1
	v_cvt_u32_f32_e32 v1, v1
	s_delay_alu instid0(VALU_DEP_1) | instskip(NEXT) | instid1(VALU_DEP_1)
	v_mul_lo_u32 v2, s24, v1
	v_mul_hi_u32 v2, v1, v2
	s_delay_alu instid0(VALU_DEP_1) | instskip(NEXT) | instid1(VALU_DEP_1)
	v_add_nc_u32_e32 v1, v1, v2
	v_mul_hi_u32 v1, v9, v1
	s_delay_alu instid0(VALU_DEP_1) | instskip(NEXT) | instid1(VALU_DEP_1)
	v_mul_lo_u32 v1, v1, s20
	v_sub_nc_u32_e32 v1, v9, v1
	s_delay_alu instid0(VALU_DEP_1) | instskip(SKIP_1) | instid1(VALU_DEP_2)
	v_subrev_nc_u32_e32 v2, s20, v1
	v_cmp_le_u32_e32 vcc_lo, s20, v1
	v_cndmask_b32_e32 v1, v1, v2, vcc_lo
	s_delay_alu instid0(VALU_DEP_1) | instskip(SKIP_1) | instid1(VALU_DEP_2)
	v_subrev_nc_u32_e32 v2, s20, v1
	v_cmp_le_u32_e32 vcc_lo, s20, v1
	v_dual_cndmask_b32 v1, v1, v2 :: v_dual_mov_b32 v2, v0
	s_branch .LBB24_53
.LBB24_64:
	s_nop 0
	s_sendmsg sendmsg(MSG_DEALLOC_VGPRS)
	s_endpgm
	.section	.rodata,"a",@progbits
	.p2align	6, 0x0
	.amdhsa_kernel _ZN2at6native12_GLOBAL__N_121reflection_pad1d_flatIhEEvPKT_PS3_lllll
		.amdhsa_group_segment_fixed_size 0
		.amdhsa_private_segment_fixed_size 0
		.amdhsa_kernarg_size 312
		.amdhsa_user_sgpr_count 15
		.amdhsa_user_sgpr_dispatch_ptr 0
		.amdhsa_user_sgpr_queue_ptr 0
		.amdhsa_user_sgpr_kernarg_segment_ptr 1
		.amdhsa_user_sgpr_dispatch_id 0
		.amdhsa_user_sgpr_private_segment_size 0
		.amdhsa_wavefront_size32 1
		.amdhsa_uses_dynamic_stack 0
		.amdhsa_enable_private_segment 0
		.amdhsa_system_sgpr_workgroup_id_x 1
		.amdhsa_system_sgpr_workgroup_id_y 0
		.amdhsa_system_sgpr_workgroup_id_z 0
		.amdhsa_system_sgpr_workgroup_info 0
		.amdhsa_system_vgpr_workitem_id 0
		.amdhsa_next_free_vgpr 44
		.amdhsa_next_free_sgpr 68
		.amdhsa_reserve_vcc 1
		.amdhsa_float_round_mode_32 0
		.amdhsa_float_round_mode_16_64 0
		.amdhsa_float_denorm_mode_32 3
		.amdhsa_float_denorm_mode_16_64 3
		.amdhsa_dx10_clamp 1
		.amdhsa_ieee_mode 1
		.amdhsa_fp16_overflow 0
		.amdhsa_workgroup_processor_mode 1
		.amdhsa_memory_ordered 1
		.amdhsa_forward_progress 0
		.amdhsa_shared_vgpr_count 0
		.amdhsa_exception_fp_ieee_invalid_op 0
		.amdhsa_exception_fp_denorm_src 0
		.amdhsa_exception_fp_ieee_div_zero 0
		.amdhsa_exception_fp_ieee_overflow 0
		.amdhsa_exception_fp_ieee_underflow 0
		.amdhsa_exception_fp_ieee_inexact 0
		.amdhsa_exception_int_div_zero 0
	.end_amdhsa_kernel
	.section	.text._ZN2at6native12_GLOBAL__N_121reflection_pad1d_flatIhEEvPKT_PS3_lllll,"axG",@progbits,_ZN2at6native12_GLOBAL__N_121reflection_pad1d_flatIhEEvPKT_PS3_lllll,comdat
.Lfunc_end24:
	.size	_ZN2at6native12_GLOBAL__N_121reflection_pad1d_flatIhEEvPKT_PS3_lllll, .Lfunc_end24-_ZN2at6native12_GLOBAL__N_121reflection_pad1d_flatIhEEvPKT_PS3_lllll
                                        ; -- End function
	.section	.AMDGPU.csdata,"",@progbits
; Kernel info:
; codeLenInByte = 12952
; NumSgprs: 70
; NumVgprs: 44
; ScratchSize: 0
; MemoryBound: 0
; FloatMode: 240
; IeeeMode: 1
; LDSByteSize: 0 bytes/workgroup (compile time only)
; SGPRBlocks: 8
; VGPRBlocks: 5
; NumSGPRsForWavesPerEU: 70
; NumVGPRsForWavesPerEU: 44
; Occupancy: 16
; WaveLimiterHint : 0
; COMPUTE_PGM_RSRC2:SCRATCH_EN: 0
; COMPUTE_PGM_RSRC2:USER_SGPR: 15
; COMPUTE_PGM_RSRC2:TRAP_HANDLER: 0
; COMPUTE_PGM_RSRC2:TGID_X_EN: 1
; COMPUTE_PGM_RSRC2:TGID_Y_EN: 0
; COMPUTE_PGM_RSRC2:TGID_Z_EN: 0
; COMPUTE_PGM_RSRC2:TIDIG_COMP_CNT: 0
	.section	.text._ZN2at6native12_GLOBAL__N_127reflection_pad1d_out_kernelIaEEvPKT_PS3_lll,"axG",@progbits,_ZN2at6native12_GLOBAL__N_127reflection_pad1d_out_kernelIaEEvPKT_PS3_lll,comdat
	.globl	_ZN2at6native12_GLOBAL__N_127reflection_pad1d_out_kernelIaEEvPKT_PS3_lll ; -- Begin function _ZN2at6native12_GLOBAL__N_127reflection_pad1d_out_kernelIaEEvPKT_PS3_lll
	.p2align	8
	.type	_ZN2at6native12_GLOBAL__N_127reflection_pad1d_out_kernelIaEEvPKT_PS3_lll,@function
_ZN2at6native12_GLOBAL__N_127reflection_pad1d_out_kernelIaEEvPKT_PS3_lll: ; @_ZN2at6native12_GLOBAL__N_127reflection_pad1d_out_kernelIaEEvPKT_PS3_lll
; %bb.0:
	s_clause 0x2
	s_load_b32 s12, s[0:1], 0x34
	s_load_b256 s[4:11], s[0:1], 0x0
	s_load_b64 s[16:17], s[0:1], 0x20
	v_mov_b32_e32 v1, 0
	s_add_u32 s2, s0, 40
	s_addc_u32 s3, s1, 0
	s_waitcnt lgkmcnt(0)
	s_and_b32 s0, s12, 0xffff
	s_add_u32 s12, s10, s8
	v_mad_u64_u32 v[2:3], null, s0, s13, v[0:1]
	s_addc_u32 s13, s11, s9
	s_add_u32 s0, s12, s16
	s_addc_u32 s1, s13, s17
	s_mov_b32 s16, exec_lo
	s_delay_alu instid0(VALU_DEP_1)
	v_cmpx_gt_i64_e64 s[0:1], v[2:3]
	s_cbranch_execz .LBB25_2
; %bb.1:
	s_load_b32 s16, s[2:3], 0x4
	v_sub_co_u32 v0, vcc_lo, v2, s10
	v_subrev_co_ci_u32_e32 v1, vcc_lo, s11, v3, vcc_lo
	v_sub_co_u32 v4, vcc_lo, v2, s12
	v_subrev_co_ci_u32_e32 v5, vcc_lo, s13, v3, vcc_lo
	s_sub_u32 s2, 0, s10
	s_delay_alu instid0(VALU_DEP_2) | instskip(NEXT) | instid1(VALU_DEP_2)
	v_add_co_u32 v4, vcc_lo, v4, 1
	v_add_co_ci_u32_e32 v5, vcc_lo, 0, v5, vcc_lo
	s_subb_u32 s3, 0, s11
	v_cmp_gt_i64_e64 s17, s[10:11], 0
	v_cmp_gt_i64_e64 s18, s[2:3], 0
	s_delay_alu instid0(VALU_DEP_3) | instskip(SKIP_3) | instid1(VALU_DEP_2)
	v_ashrrev_i32_e32 v7, 31, v5
	v_ashrrev_i32_e32 v6, 31, v1
	s_waitcnt lgkmcnt(0)
	s_mul_i32 s15, s16, s15
	v_xor_b32_e32 v4, v4, v7
	s_add_i32 s15, s15, s14
	v_xor_b32_e32 v5, v5, v7
	s_mul_i32 s1, s1, s15
	s_mul_hi_u32 s14, s0, s15
	v_sub_co_u32 v4, vcc_lo, v4, v7
	s_add_i32 s14, s14, s1
	s_and_b32 s1, s18, exec_lo
	s_cselect_b32 s1, s3, 0
	s_cselect_b32 s16, s2, 0
	s_and_b32 s2, s17, exec_lo
	s_cselect_b32 s3, s11, 0
	s_cselect_b32 s2, s10, 0
	v_sub_co_ci_u32_e32 v5, vcc_lo, v5, v7, vcc_lo
	s_not_b64 s[2:3], s[2:3]
	s_add_u32 s10, s12, s10
	s_addc_u32 s11, s13, s11
	v_add_co_u32 v4, vcc_lo, v2, v4
	s_add_u32 s2, s10, s2
	s_addc_u32 s3, s11, s3
	v_add_co_ci_u32_e32 v5, vcc_lo, v3, v5, vcc_lo
	v_xor_b32_e32 v0, v0, v6
	s_add_u32 s2, s2, s16
	v_xor_b32_e32 v1, v1, v6
	s_addc_u32 s1, s3, s1
	v_sub_co_u32 v4, vcc_lo, s2, v4
	v_sub_co_ci_u32_e32 v5, vcc_lo, s1, v5, vcc_lo
	v_sub_co_u32 v0, vcc_lo, v0, v6
	v_sub_co_ci_u32_e32 v1, vcc_lo, v1, v6, vcc_lo
	s_delay_alu instid0(VALU_DEP_4) | instskip(NEXT) | instid1(VALU_DEP_4)
	v_add_co_u32 v4, vcc_lo, s4, v4
	v_add_co_ci_u32_e32 v5, vcc_lo, s5, v5, vcc_lo
	s_mul_i32 s0, s0, s15
	s_delay_alu instid0(VALU_DEP_2) | instskip(NEXT) | instid1(VALU_DEP_2)
	v_add_co_u32 v0, vcc_lo, v4, v0
	v_add_co_ci_u32_e32 v1, vcc_lo, v5, v1, vcc_lo
	s_add_u32 s0, s6, s0
	s_addc_u32 s1, s7, s14
	s_delay_alu instid0(VALU_DEP_1) | instskip(NEXT) | instid1(VALU_DEP_1)
	v_mad_u64_u32 v[4:5], null, s15, s8, v[0:1]
	v_mov_b32_e32 v0, v5
	s_delay_alu instid0(VALU_DEP_1)
	v_mad_u64_u32 v[5:6], null, s15, s9, v[0:1]
	v_add_co_u32 v0, vcc_lo, s0, v2
	v_add_co_ci_u32_e32 v1, vcc_lo, s1, v3, vcc_lo
	global_load_u8 v4, v[4:5], off
	s_waitcnt vmcnt(0)
	global_store_b8 v[0:1], v4, off
.LBB25_2:
	s_nop 0
	s_sendmsg sendmsg(MSG_DEALLOC_VGPRS)
	s_endpgm
	.section	.rodata,"a",@progbits
	.p2align	6, 0x0
	.amdhsa_kernel _ZN2at6native12_GLOBAL__N_127reflection_pad1d_out_kernelIaEEvPKT_PS3_lll
		.amdhsa_group_segment_fixed_size 0
		.amdhsa_private_segment_fixed_size 0
		.amdhsa_kernarg_size 296
		.amdhsa_user_sgpr_count 13
		.amdhsa_user_sgpr_dispatch_ptr 0
		.amdhsa_user_sgpr_queue_ptr 0
		.amdhsa_user_sgpr_kernarg_segment_ptr 1
		.amdhsa_user_sgpr_dispatch_id 0
		.amdhsa_user_sgpr_private_segment_size 0
		.amdhsa_wavefront_size32 1
		.amdhsa_uses_dynamic_stack 0
		.amdhsa_enable_private_segment 0
		.amdhsa_system_sgpr_workgroup_id_x 1
		.amdhsa_system_sgpr_workgroup_id_y 1
		.amdhsa_system_sgpr_workgroup_id_z 1
		.amdhsa_system_sgpr_workgroup_info 0
		.amdhsa_system_vgpr_workitem_id 0
		.amdhsa_next_free_vgpr 8
		.amdhsa_next_free_sgpr 19
		.amdhsa_reserve_vcc 1
		.amdhsa_float_round_mode_32 0
		.amdhsa_float_round_mode_16_64 0
		.amdhsa_float_denorm_mode_32 3
		.amdhsa_float_denorm_mode_16_64 3
		.amdhsa_dx10_clamp 1
		.amdhsa_ieee_mode 1
		.amdhsa_fp16_overflow 0
		.amdhsa_workgroup_processor_mode 1
		.amdhsa_memory_ordered 1
		.amdhsa_forward_progress 0
		.amdhsa_shared_vgpr_count 0
		.amdhsa_exception_fp_ieee_invalid_op 0
		.amdhsa_exception_fp_denorm_src 0
		.amdhsa_exception_fp_ieee_div_zero 0
		.amdhsa_exception_fp_ieee_overflow 0
		.amdhsa_exception_fp_ieee_underflow 0
		.amdhsa_exception_fp_ieee_inexact 0
		.amdhsa_exception_int_div_zero 0
	.end_amdhsa_kernel
	.section	.text._ZN2at6native12_GLOBAL__N_127reflection_pad1d_out_kernelIaEEvPKT_PS3_lll,"axG",@progbits,_ZN2at6native12_GLOBAL__N_127reflection_pad1d_out_kernelIaEEvPKT_PS3_lll,comdat
.Lfunc_end25:
	.size	_ZN2at6native12_GLOBAL__N_127reflection_pad1d_out_kernelIaEEvPKT_PS3_lll, .Lfunc_end25-_ZN2at6native12_GLOBAL__N_127reflection_pad1d_out_kernelIaEEvPKT_PS3_lll
                                        ; -- End function
	.section	.AMDGPU.csdata,"",@progbits
; Kernel info:
; codeLenInByte = 436
; NumSgprs: 21
; NumVgprs: 8
; ScratchSize: 0
; MemoryBound: 0
; FloatMode: 240
; IeeeMode: 1
; LDSByteSize: 0 bytes/workgroup (compile time only)
; SGPRBlocks: 2
; VGPRBlocks: 0
; NumSGPRsForWavesPerEU: 21
; NumVGPRsForWavesPerEU: 8
; Occupancy: 16
; WaveLimiterHint : 0
; COMPUTE_PGM_RSRC2:SCRATCH_EN: 0
; COMPUTE_PGM_RSRC2:USER_SGPR: 13
; COMPUTE_PGM_RSRC2:TRAP_HANDLER: 0
; COMPUTE_PGM_RSRC2:TGID_X_EN: 1
; COMPUTE_PGM_RSRC2:TGID_Y_EN: 1
; COMPUTE_PGM_RSRC2:TGID_Z_EN: 1
; COMPUTE_PGM_RSRC2:TIDIG_COMP_CNT: 0
	.section	.text._ZN2at6native12_GLOBAL__N_121reflection_pad1d_flatIaEEvPKT_PS3_lllll,"axG",@progbits,_ZN2at6native12_GLOBAL__N_121reflection_pad1d_flatIaEEvPKT_PS3_lllll,comdat
	.globl	_ZN2at6native12_GLOBAL__N_121reflection_pad1d_flatIaEEvPKT_PS3_lllll ; -- Begin function _ZN2at6native12_GLOBAL__N_121reflection_pad1d_flatIaEEvPKT_PS3_lllll
	.p2align	8
	.type	_ZN2at6native12_GLOBAL__N_121reflection_pad1d_flatIaEEvPKT_PS3_lllll,@function
_ZN2at6native12_GLOBAL__N_121reflection_pad1d_flatIaEEvPKT_PS3_lllll: ; @_ZN2at6native12_GLOBAL__N_121reflection_pad1d_flatIaEEvPKT_PS3_lllll
; %bb.0:
	s_clause 0x1
	s_load_b32 s8, s[0:1], 0x44
	s_load_b128 s[4:7], s[0:1], 0x28
	s_add_u32 s2, s0, 56
	s_addc_u32 s3, s1, 0
	v_mov_b32_e32 v3, 0
	s_mov_b32 s35, 0
	s_waitcnt lgkmcnt(0)
	s_and_b32 s55, s8, 0xffff
	s_mul_i32 s8, s6, s5
	s_mul_hi_u32 s9, s6, s4
	s_mul_i32 s59, s55, s15
	s_add_i32 s8, s9, s8
	s_mul_hi_u32 s60, s55, s15
	v_add_co_u32 v1, s9, s59, v0
	s_delay_alu instid0(VALU_DEP_1)
	v_add_co_ci_u32_e64 v2, null, s60, 0, s9
	s_mul_i32 s7, s7, s4
	s_mul_i32 s6, s6, s4
	s_add_i32 s7, s8, s7
	s_mov_b32 s8, exec_lo
	v_cmpx_gt_i64_e64 s[6:7], v[1:2]
	s_cbranch_execz .LBB26_64
; %bb.1:
	s_load_b32 s34, s[2:3], 0x0
	s_waitcnt lgkmcnt(0)
	s_add_u32 s2, s15, s34
	s_addc_u32 s3, 0, 0
	s_mul_hi_u32 s8, s2, s55
	s_mul_i32 s9, s3, s55
	s_mul_i32 s3, s2, s55
	s_add_i32 s66, s8, s9
	v_add_co_u32 v6, s2, s3, v0
	s_delay_alu instid0(VALU_DEP_1) | instskip(SKIP_2) | instid1(VALU_DEP_1)
	v_add_co_ci_u32_e64 v7, null, s66, 0, s2
	s_mul_hi_u32 s13, s55, s34
	s_mul_i32 s12, s55, s34
	v_cmp_gt_i64_e32 vcc_lo, s[6:7], v[6:7]
	v_cndmask_b32_e64 v5, 0, 1, vcc_lo
	v_cndmask_b32_e64 v4, v7, s7, vcc_lo
	;; [unrolled: 1-line block ×3, first 2 shown]
	s_delay_alu instid0(VALU_DEP_3) | instskip(SKIP_1) | instid1(VALU_DEP_2)
	v_add_co_u32 v6, vcc_lo, v6, v5
	v_add_co_ci_u32_e32 v7, vcc_lo, 0, v7, vcc_lo
	v_sub_co_u32 v6, vcc_lo, v8, v6
	s_delay_alu instid0(VALU_DEP_2) | instskip(NEXT) | instid1(VALU_DEP_1)
	v_sub_co_ci_u32_e32 v7, vcc_lo, v4, v7, vcc_lo
	v_or_b32_e32 v4, s13, v7
	s_delay_alu instid0(VALU_DEP_1) | instskip(SKIP_1) | instid1(SALU_CYCLE_1)
	v_cmp_ne_u64_e32 vcc_lo, 0, v[3:4]
                                        ; implicit-def: $vgpr3_vgpr4
	s_and_saveexec_b32 s2, vcc_lo
	s_xor_b32 s8, exec_lo, s2
	s_cbranch_execz .LBB26_3
; %bb.2:
	v_cvt_f32_u32_e32 v3, s12
	v_cvt_f32_u32_e32 v4, s13
	s_sub_u32 s2, 0, s12
	s_subb_u32 s9, 0, s13
	s_delay_alu instid0(VALU_DEP_1) | instskip(NEXT) | instid1(VALU_DEP_1)
	v_fmamk_f32 v3, v4, 0x4f800000, v3
	v_rcp_f32_e32 v3, v3
	s_waitcnt_depctr 0xfff
	v_mul_f32_e32 v3, 0x5f7ffffc, v3
	s_delay_alu instid0(VALU_DEP_1) | instskip(NEXT) | instid1(VALU_DEP_1)
	v_mul_f32_e32 v4, 0x2f800000, v3
	v_trunc_f32_e32 v4, v4
	s_delay_alu instid0(VALU_DEP_1) | instskip(SKIP_1) | instid1(VALU_DEP_2)
	v_fmamk_f32 v3, v4, 0xcf800000, v3
	v_cvt_u32_f32_e32 v4, v4
	v_cvt_u32_f32_e32 v3, v3
	s_delay_alu instid0(VALU_DEP_2) | instskip(NEXT) | instid1(VALU_DEP_2)
	v_mul_lo_u32 v8, s2, v4
	v_mul_hi_u32 v9, s2, v3
	v_mul_lo_u32 v10, s9, v3
	s_delay_alu instid0(VALU_DEP_2) | instskip(SKIP_1) | instid1(VALU_DEP_2)
	v_add_nc_u32_e32 v8, v9, v8
	v_mul_lo_u32 v9, s2, v3
	v_add_nc_u32_e32 v8, v8, v10
	s_delay_alu instid0(VALU_DEP_2) | instskip(NEXT) | instid1(VALU_DEP_2)
	v_mul_hi_u32 v10, v3, v9
	v_mul_lo_u32 v11, v3, v8
	v_mul_hi_u32 v12, v3, v8
	v_mul_hi_u32 v13, v4, v9
	v_mul_lo_u32 v9, v4, v9
	v_mul_hi_u32 v14, v4, v8
	v_mul_lo_u32 v8, v4, v8
	v_add_co_u32 v10, vcc_lo, v10, v11
	v_add_co_ci_u32_e32 v11, vcc_lo, 0, v12, vcc_lo
	s_delay_alu instid0(VALU_DEP_2) | instskip(NEXT) | instid1(VALU_DEP_2)
	v_add_co_u32 v9, vcc_lo, v10, v9
	v_add_co_ci_u32_e32 v9, vcc_lo, v11, v13, vcc_lo
	v_add_co_ci_u32_e32 v10, vcc_lo, 0, v14, vcc_lo
	s_delay_alu instid0(VALU_DEP_2) | instskip(NEXT) | instid1(VALU_DEP_2)
	v_add_co_u32 v8, vcc_lo, v9, v8
	v_add_co_ci_u32_e32 v9, vcc_lo, 0, v10, vcc_lo
	s_delay_alu instid0(VALU_DEP_2) | instskip(NEXT) | instid1(VALU_DEP_2)
	v_add_co_u32 v3, vcc_lo, v3, v8
	v_add_co_ci_u32_e32 v4, vcc_lo, v4, v9, vcc_lo
	s_delay_alu instid0(VALU_DEP_2) | instskip(SKIP_1) | instid1(VALU_DEP_3)
	v_mul_hi_u32 v8, s2, v3
	v_mul_lo_u32 v10, s9, v3
	v_mul_lo_u32 v9, s2, v4
	s_delay_alu instid0(VALU_DEP_1) | instskip(SKIP_1) | instid1(VALU_DEP_2)
	v_add_nc_u32_e32 v8, v8, v9
	v_mul_lo_u32 v9, s2, v3
	v_add_nc_u32_e32 v8, v8, v10
	s_delay_alu instid0(VALU_DEP_2) | instskip(NEXT) | instid1(VALU_DEP_2)
	v_mul_hi_u32 v10, v3, v9
	v_mul_lo_u32 v11, v3, v8
	v_mul_hi_u32 v12, v3, v8
	v_mul_hi_u32 v13, v4, v9
	v_mul_lo_u32 v9, v4, v9
	v_mul_hi_u32 v14, v4, v8
	v_mul_lo_u32 v8, v4, v8
	v_add_co_u32 v10, vcc_lo, v10, v11
	v_add_co_ci_u32_e32 v11, vcc_lo, 0, v12, vcc_lo
	s_delay_alu instid0(VALU_DEP_2) | instskip(NEXT) | instid1(VALU_DEP_2)
	v_add_co_u32 v9, vcc_lo, v10, v9
	v_add_co_ci_u32_e32 v9, vcc_lo, v11, v13, vcc_lo
	v_add_co_ci_u32_e32 v10, vcc_lo, 0, v14, vcc_lo
	s_delay_alu instid0(VALU_DEP_2) | instskip(NEXT) | instid1(VALU_DEP_2)
	v_add_co_u32 v8, vcc_lo, v9, v8
	v_add_co_ci_u32_e32 v9, vcc_lo, 0, v10, vcc_lo
	s_delay_alu instid0(VALU_DEP_2) | instskip(NEXT) | instid1(VALU_DEP_2)
	v_add_co_u32 v10, vcc_lo, v3, v8
	v_add_co_ci_u32_e32 v12, vcc_lo, v4, v9, vcc_lo
	s_delay_alu instid0(VALU_DEP_2) | instskip(SKIP_1) | instid1(VALU_DEP_3)
	v_mul_hi_u32 v13, v6, v10
	v_mad_u64_u32 v[8:9], null, v7, v10, 0
	v_mad_u64_u32 v[3:4], null, v6, v12, 0
	;; [unrolled: 1-line block ×3, first 2 shown]
	s_delay_alu instid0(VALU_DEP_2) | instskip(NEXT) | instid1(VALU_DEP_3)
	v_add_co_u32 v3, vcc_lo, v13, v3
	v_add_co_ci_u32_e32 v4, vcc_lo, 0, v4, vcc_lo
	s_delay_alu instid0(VALU_DEP_2) | instskip(NEXT) | instid1(VALU_DEP_2)
	v_add_co_u32 v3, vcc_lo, v3, v8
	v_add_co_ci_u32_e32 v3, vcc_lo, v4, v9, vcc_lo
	v_add_co_ci_u32_e32 v4, vcc_lo, 0, v11, vcc_lo
	s_delay_alu instid0(VALU_DEP_2) | instskip(NEXT) | instid1(VALU_DEP_2)
	v_add_co_u32 v8, vcc_lo, v3, v10
	v_add_co_ci_u32_e32 v9, vcc_lo, 0, v4, vcc_lo
	s_delay_alu instid0(VALU_DEP_2) | instskip(SKIP_1) | instid1(VALU_DEP_3)
	v_mul_lo_u32 v10, s13, v8
	v_mad_u64_u32 v[3:4], null, s12, v8, 0
	v_mul_lo_u32 v11, s12, v9
	s_delay_alu instid0(VALU_DEP_2) | instskip(NEXT) | instid1(VALU_DEP_2)
	v_sub_co_u32 v3, vcc_lo, v6, v3
	v_add3_u32 v4, v4, v11, v10
	s_delay_alu instid0(VALU_DEP_1) | instskip(NEXT) | instid1(VALU_DEP_1)
	v_sub_nc_u32_e32 v10, v7, v4
	v_subrev_co_ci_u32_e64 v6, s2, s13, v10, vcc_lo
	v_add_co_u32 v10, s2, v8, 2
	s_delay_alu instid0(VALU_DEP_1) | instskip(SKIP_3) | instid1(VALU_DEP_3)
	v_add_co_ci_u32_e64 v11, s2, 0, v9, s2
	v_sub_co_u32 v12, s2, v3, s12
	v_sub_co_ci_u32_e32 v4, vcc_lo, v7, v4, vcc_lo
	v_subrev_co_ci_u32_e64 v6, s2, 0, v6, s2
	v_cmp_le_u32_e32 vcc_lo, s12, v12
	s_delay_alu instid0(VALU_DEP_3) | instskip(SKIP_1) | instid1(VALU_DEP_4)
	v_cmp_eq_u32_e64 s2, s13, v4
	v_cndmask_b32_e64 v7, 0, -1, vcc_lo
	v_cmp_le_u32_e32 vcc_lo, s13, v6
	v_cndmask_b32_e64 v12, 0, -1, vcc_lo
	v_cmp_le_u32_e32 vcc_lo, s12, v3
	v_cndmask_b32_e64 v3, 0, -1, vcc_lo
	v_cmp_le_u32_e32 vcc_lo, s13, v4
	v_cndmask_b32_e64 v13, 0, -1, vcc_lo
	v_cmp_eq_u32_e32 vcc_lo, s13, v6
	s_delay_alu instid0(VALU_DEP_2) | instskip(SKIP_3) | instid1(VALU_DEP_3)
	v_cndmask_b32_e64 v3, v13, v3, s2
	v_cndmask_b32_e32 v6, v12, v7, vcc_lo
	v_add_co_u32 v7, vcc_lo, v8, 1
	v_add_co_ci_u32_e32 v12, vcc_lo, 0, v9, vcc_lo
	v_cmp_ne_u32_e32 vcc_lo, 0, v6
	s_delay_alu instid0(VALU_DEP_3) | instskip(NEXT) | instid1(VALU_DEP_3)
	v_cndmask_b32_e32 v6, v7, v10, vcc_lo
	v_cndmask_b32_e32 v4, v12, v11, vcc_lo
	v_cmp_ne_u32_e32 vcc_lo, 0, v3
	s_delay_alu instid0(VALU_DEP_2)
	v_dual_cndmask_b32 v4, v9, v4 :: v_dual_cndmask_b32 v3, v8, v6
                                        ; implicit-def: $vgpr6
.LBB26_3:
	s_or_saveexec_b32 s2, s8
	s_load_b64 s[16:17], s[0:1], 0x8
	s_xor_b32 exec_lo, exec_lo, s2
	s_cbranch_execz .LBB26_5
; %bb.4:
	v_cvt_f32_u32_e32 v3, s12
	s_sub_i32 s8, 0, s12
	s_delay_alu instid0(VALU_DEP_1) | instskip(SKIP_2) | instid1(VALU_DEP_1)
	v_rcp_iflag_f32_e32 v3, v3
	s_waitcnt_depctr 0xfff
	v_mul_f32_e32 v3, 0x4f7ffffe, v3
	v_cvt_u32_f32_e32 v3, v3
	s_delay_alu instid0(VALU_DEP_1) | instskip(NEXT) | instid1(VALU_DEP_1)
	v_mul_lo_u32 v4, s8, v3
	v_mul_hi_u32 v4, v3, v4
	s_delay_alu instid0(VALU_DEP_1) | instskip(NEXT) | instid1(VALU_DEP_1)
	v_add_nc_u32_e32 v3, v3, v4
	v_mul_hi_u32 v3, v6, v3
	s_delay_alu instid0(VALU_DEP_1) | instskip(NEXT) | instid1(VALU_DEP_1)
	v_mul_lo_u32 v4, v3, s12
	v_sub_nc_u32_e32 v4, v6, v4
	v_add_nc_u32_e32 v6, 1, v3
	s_delay_alu instid0(VALU_DEP_2) | instskip(SKIP_1) | instid1(VALU_DEP_2)
	v_subrev_nc_u32_e32 v7, s12, v4
	v_cmp_le_u32_e32 vcc_lo, s12, v4
	v_dual_cndmask_b32 v4, v4, v7 :: v_dual_cndmask_b32 v3, v3, v6
	s_delay_alu instid0(VALU_DEP_1) | instskip(NEXT) | instid1(VALU_DEP_2)
	v_cmp_le_u32_e32 vcc_lo, s12, v4
	v_add_nc_u32_e32 v6, 1, v3
	s_delay_alu instid0(VALU_DEP_1)
	v_dual_mov_b32 v4, 0 :: v_dual_cndmask_b32 v3, v3, v6
.LBB26_5:
	s_or_b32 exec_lo, exec_lo, s2
	s_clause 0x1
	s_load_b128 s[8:11], s[0:1], 0x10
	s_load_b64 s[18:19], s[0:1], 0x0
	v_add_co_u32 v3, vcc_lo, v3, v5
	v_add_co_ci_u32_e32 v4, vcc_lo, 0, v4, vcc_lo
                                        ; implicit-def: $sgpr24_sgpr25
	s_delay_alu instid0(VALU_DEP_2) | instskip(NEXT) | instid1(VALU_DEP_2)
	v_add_co_u32 v19, vcc_lo, v3, 1
	v_add_co_ci_u32_e32 v20, vcc_lo, 0, v4, vcc_lo
                                        ; implicit-def: $vgpr3_vgpr4
	s_waitcnt lgkmcnt(0)
	s_lshl_b64 s[0:1], s[8:9], 1
	s_delay_alu instid0(SALU_CYCLE_1)
	s_add_u32 s20, s0, -2
	s_addc_u32 s21, s1, -1
	s_mov_b32 s0, 0
	v_cmp_lt_i64_e64 s37, s[20:21], 1
	v_cmp_gt_i64_e64 s33, s[20:21], 0
	s_mov_b32 s1, exec_lo
	v_cmpx_lt_u64_e32 3, v[19:20]
	s_xor_b32 s36, exec_lo, s1
	s_cbranch_execz .LBB26_49
; %bb.6:
	s_lshl_b64 s[22:23], s[12:13], 2
	s_xor_b32 s50, s37, -1
	s_sub_u32 s24, 0, s4
	s_subb_u32 s25, 0, s5
	s_sub_u32 s51, s59, s10
	s_mul_i32 s0, s34, 3
	s_subb_u32 s52, s60, s11
	s_mul_hi_u32 s1, s34, 3
	s_add_u32 s0, s0, s15
	v_mad_u64_u32 v[7:8], null, s12, 3, v[1:2]
	s_addc_u32 s1, s1, 0
	s_mul_hi_u32 s2, s0, s55
	s_mul_i32 s1, s1, s55
	s_mul_i32 s63, s0, s55
	s_add_i32 s2, s2, s1
	s_add_u32 s53, s16, s63
	s_addc_u32 s54, s17, s2
	s_lshl_b64 s[0:1], s[34:35], 1
	v_mad_u64_u32 v[9:10], null, s13, 3, v[8:9]
	s_add_u32 s0, s0, s15
	s_addc_u32 s1, s1, 0
	s_mul_hi_u32 s34, s0, s55
	s_mul_i32 s1, s1, s55
	v_mad_u64_u32 v[5:6], null, s12, 2, v[1:2]
	v_mad_u64_u32 v[3:4], null, s12, 1, v[1:2]
	s_mul_i32 s0, s0, s55
	s_add_i32 s34, s34, s1
	s_add_u32 s55, s16, s0
	s_addc_u32 s56, s17, s34
	v_mov_b32_e32 v8, v9
	s_add_u32 s57, s16, s3
	v_dual_mov_b32 v22, v20 :: v_dual_and_b32 v21, -4, v19
	s_addc_u32 s58, s17, s66
	s_add_u32 s59, s16, s59
	s_addc_u32 s60, s17, s60
	v_lshl_add_u32 v6, s13, 1, v6
	v_dual_mov_b32 v23, 0 :: v_dual_add_nc_u32 v4, s13, v4
	s_sub_u32 s61, s0, s10
	s_subb_u32 s62, s34, s11
	v_mov_b32_e32 v10, v8
	s_sub_u32 s63, s63, s10
	v_dual_mov_b32 v26, v22 :: v_dual_mov_b32 v25, v21
	v_dual_mov_b32 v9, v7 :: v_dual_mov_b32 v8, v6
	v_mov_b32_e32 v7, v5
	v_mov_b32_e32 v6, v4
	;; [unrolled: 1-line block ×5, first 2 shown]
	s_subb_u32 s64, s2, s11
	s_sub_u32 s65, s3, s10
	s_mov_b32 s38, s22
	s_mov_b32 s39, s23
	;; [unrolled: 1-line block ×20, first 2 shown]
	s_subb_u32 s67, s66, s11
	s_mov_b32 s66, 0
	s_branch .LBB26_9
.LBB26_7:                               ;   in Loop: Header=BB26_9 Depth=1
	s_or_b32 exec_lo, exec_lo, s0
.LBB26_8:                               ;   in Loop: Header=BB26_9 Depth=1
	v_ashrrev_i32_e32 v37, 31, v12
	v_ashrrev_i32_e32 v36, 31, v14
	;; [unrolled: 1-line block ×4, first 2 shown]
	v_mul_lo_u32 v32, v32, s30
	v_and_b32_e32 v40, s20, v37
	v_and_b32_e32 v37, s21, v37
	v_and_b32_e32 v41, s45, v36
	v_and_b32_e32 v36, s44, v36
	v_and_b32_e32 v38, s49, v24
	v_add_co_u32 v11, vcc_lo, v40, v11
	v_and_b32_e32 v24, s48, v24
	v_add_co_ci_u32_e32 v12, vcc_lo, v37, v12, vcc_lo
	v_add_co_u32 v13, vcc_lo, v36, v13
	v_add_co_ci_u32_e32 v14, vcc_lo, v41, v14, vcc_lo
	s_delay_alu instid0(VALU_DEP_4)
	v_add_co_u32 v17, vcc_lo, v24, v17
	v_add_co_ci_u32_e32 v18, vcc_lo, v38, v18, vcc_lo
	v_and_b32_e32 v39, s47, v35
	v_and_b32_e32 v35, s46, v35
	v_sub_co_u32 v38, s1, s20, v11
	v_sub_co_u32 v40, s2, s44, v13
	s_delay_alu instid0(VALU_DEP_3)
	v_add_co_u32 v15, vcc_lo, v35, v15
	v_add_co_ci_u32_e32 v16, vcc_lo, v39, v16, vcc_lo
	v_sub_co_u32 v24, vcc_lo, s48, v17
	v_sub_co_ci_u32_e32 v35, vcc_lo, s49, v18, vcc_lo
	v_sub_co_ci_u32_e64 v39, s1, s21, v12, s1
	v_cmp_gt_i64_e32 vcc_lo, s[14:15], v[17:18]
	v_sub_co_u32 v36, s0, s46, v15
	v_cmp_gt_i64_e64 s1, s[26:27], v[11:12]
	v_sub_co_ci_u32_e64 v37, s0, s47, v16, s0
	v_cmp_gt_i64_e64 s0, s[30:31], v[15:16]
	v_sub_co_ci_u32_e64 v41, s2, s45, v14, s2
	v_cmp_gt_i64_e64 s2, s[28:29], v[13:14]
	v_cndmask_b32_e64 v38, v38, v11, s1
	v_cndmask_b32_e64 v39, v39, v12, s1
	v_dual_cndmask_b32 v12, v35, v18 :: v_dual_cndmask_b32 v11, v24, v17
	v_cndmask_b32_e64 v17, v36, v15, s0
	v_cndmask_b32_e64 v15, v37, v16, s0
	;; [unrolled: 1-line block ×6, first 2 shown]
	v_mul_lo_u32 v40, v31, s31
	v_mad_u64_u32 v[11:12], null, v31, s30, 0
	v_mul_lo_u32 v28, v28, s26
	v_mul_lo_u32 v41, v27, s27
	v_mad_u64_u32 v[13:14], null, v27, s26, 0
	v_cndmask_b32_e64 v37, v15, 0, s37
	v_mul_lo_u32 v30, v30, s28
	v_mul_lo_u32 v31, v29, s29
	v_mad_u64_u32 v[15:16], null, v29, s28, 0
	v_add3_u32 v32, v12, v40, v32
	v_add3_u32 v12, v14, v41, v28
	v_cndmask_b32_e64 v29, v38, 0, s37
	v_cndmask_b32_e64 v27, v39, 0, s37
	;; [unrolled: 1-line block ×4, first 2 shown]
	v_add3_u32 v14, v16, v31, v30
	v_add_co_u32 v16, vcc_lo, s18, v13
	v_add_co_ci_u32_e32 v28, vcc_lo, s19, v12, vcc_lo
	v_mad_u64_u32 v[12:13], null, v33, s14, s[18:19]
	v_mul_lo_u32 v30, v33, s15
	v_mul_lo_u32 v31, v34, s14
	v_add_co_u32 v15, vcc_lo, s18, v15
	v_add_co_ci_u32_e32 v33, vcc_lo, s19, v14, vcc_lo
	v_add_co_u32 v11, vcc_lo, s18, v11
	v_add_co_ci_u32_e32 v32, vcc_lo, s19, v32, vcc_lo
	v_add3_u32 v30, v31, v13, v30
	v_add_co_u32 v13, vcc_lo, v16, v29
	v_cndmask_b32_e64 v17, v17, 0, s37
	v_add_co_ci_u32_e32 v14, vcc_lo, v28, v27, vcc_lo
	v_add_co_u32 v15, vcc_lo, v15, v18
	v_add_co_ci_u32_e32 v16, vcc_lo, v33, v24, vcc_lo
	s_delay_alu instid0(VALU_DEP_4)
	v_add_co_u32 v17, vcc_lo, v11, v17
	v_add_co_ci_u32_e32 v18, vcc_lo, v32, v37, vcc_lo
	v_add_co_u32 v11, vcc_lo, v12, v36
	v_add_co_ci_u32_e32 v12, vcc_lo, v30, v35, vcc_lo
	s_clause 0x3
	global_load_u8 v24, v[13:14], off
	global_load_u8 v27, v[15:16], off
	;; [unrolled: 1-line block ×4, first 2 shown]
	v_add_co_u32 v9, vcc_lo, v9, s42
	v_add_co_ci_u32_e32 v10, vcc_lo, s43, v10, vcc_lo
	v_add_co_u32 v7, vcc_lo, v7, s40
	v_add_co_u32 v11, s0, s59, v0
	v_add_co_ci_u32_e32 v8, vcc_lo, s41, v8, vcc_lo
	v_add_co_ci_u32_e64 v12, null, s60, 0, s0
	v_add_co_u32 v13, s0, s57, v0
	v_add_co_u32 v5, vcc_lo, v5, s38
	v_add_co_ci_u32_e64 v14, null, s58, 0, s0
	v_add_co_u32 v15, s0, s55, v0
	v_add_co_ci_u32_e32 v6, vcc_lo, s39, v6, vcc_lo
	v_add_co_u32 v3, vcc_lo, v3, s22
	s_add_u32 s51, s51, s22
	v_add_co_ci_u32_e64 v16, null, s56, 0, s0
	v_add_co_u32 v17, s0, s53, v0
	s_addc_u32 s52, s52, s23
	v_add_co_ci_u32_e32 v4, vcc_lo, s23, v4, vcc_lo
	s_add_u32 s53, s53, s22
	v_add_co_ci_u32_e64 v18, null, s54, 0, s0
	v_add_co_u32 v25, vcc_lo, v25, -4
	s_addc_u32 s54, s54, s23
	s_add_u32 s55, s55, s22
	v_add_co_ci_u32_e32 v26, vcc_lo, -1, v26, vcc_lo
	s_addc_u32 s56, s56, s23
	s_add_u32 s57, s57, s22
	s_addc_u32 s58, s58, s23
	s_add_u32 s59, s59, s22
	s_addc_u32 s60, s60, s23
	v_cmp_eq_u64_e32 vcc_lo, 0, v[25:26]
	s_add_u32 s61, s61, s22
	s_addc_u32 s62, s62, s23
	s_add_u32 s63, s63, s22
	s_addc_u32 s64, s64, s23
	;; [unrolled: 2-line block ×3, first 2 shown]
	s_or_b32 s66, vcc_lo, s66
	s_waitcnt vmcnt(3)
	global_store_b8 v[11:12], v24, off
	s_waitcnt vmcnt(2)
	global_store_b8 v[13:14], v27, off
	;; [unrolled: 2-line block ×4, first 2 shown]
	s_and_not1_b32 exec_lo, exec_lo, s66
	s_cbranch_execz .LBB26_48
.LBB26_9:                               ; =>This Inner Loop Header: Depth=1
	v_or_b32_e32 v24, s5, v4
                                        ; implicit-def: $vgpr27_vgpr28
	s_mov_b32 s0, exec_lo
	s_delay_alu instid0(VALU_DEP_1)
	v_cmpx_ne_u64_e32 0, v[23:24]
	s_xor_b32 s1, exec_lo, s0
	s_cbranch_execz .LBB26_11
; %bb.10:                               ;   in Loop: Header=BB26_9 Depth=1
	s_ashr_i32 s2, s5, 31
	s_delay_alu instid0(SALU_CYCLE_1) | instskip(SKIP_2) | instid1(SALU_CYCLE_1)
	s_add_u32 s34, s4, s2
	s_mov_b32 s3, s2
	s_addc_u32 s35, s5, s2
	s_xor_b64 s[34:35], s[34:35], s[2:3]
	s_delay_alu instid0(SALU_CYCLE_1) | instskip(SKIP_3) | instid1(VALU_DEP_1)
	v_cvt_f32_u32_e32 v11, s34
	v_cvt_f32_u32_e32 v12, s35
	s_sub_u32 s0, 0, s34
	s_subb_u32 s3, 0, s35
	v_fmac_f32_e32 v11, 0x4f800000, v12
	s_delay_alu instid0(VALU_DEP_1) | instskip(SKIP_2) | instid1(VALU_DEP_1)
	v_rcp_f32_e32 v11, v11
	s_waitcnt_depctr 0xfff
	v_mul_f32_e32 v11, 0x5f7ffffc, v11
	v_mul_f32_e32 v12, 0x2f800000, v11
	s_delay_alu instid0(VALU_DEP_1) | instskip(NEXT) | instid1(VALU_DEP_1)
	v_trunc_f32_e32 v12, v12
	v_fmac_f32_e32 v11, 0xcf800000, v12
	v_cvt_u32_f32_e32 v12, v12
	s_delay_alu instid0(VALU_DEP_2) | instskip(NEXT) | instid1(VALU_DEP_2)
	v_cvt_u32_f32_e32 v11, v11
	v_mul_lo_u32 v13, s0, v12
	s_delay_alu instid0(VALU_DEP_2) | instskip(SKIP_1) | instid1(VALU_DEP_2)
	v_mul_hi_u32 v14, s0, v11
	v_mul_lo_u32 v15, s3, v11
	v_add_nc_u32_e32 v13, v14, v13
	v_mul_lo_u32 v14, s0, v11
	s_delay_alu instid0(VALU_DEP_2) | instskip(NEXT) | instid1(VALU_DEP_2)
	v_add_nc_u32_e32 v13, v13, v15
	v_mul_hi_u32 v15, v11, v14
	s_delay_alu instid0(VALU_DEP_2)
	v_mul_lo_u32 v16, v11, v13
	v_mul_hi_u32 v17, v11, v13
	v_mul_hi_u32 v18, v12, v14
	v_mul_lo_u32 v14, v12, v14
	v_mul_hi_u32 v24, v12, v13
	v_mul_lo_u32 v13, v12, v13
	v_add_co_u32 v15, vcc_lo, v15, v16
	v_add_co_ci_u32_e32 v16, vcc_lo, 0, v17, vcc_lo
	s_delay_alu instid0(VALU_DEP_2) | instskip(NEXT) | instid1(VALU_DEP_2)
	v_add_co_u32 v14, vcc_lo, v15, v14
	v_add_co_ci_u32_e32 v14, vcc_lo, v16, v18, vcc_lo
	v_add_co_ci_u32_e32 v15, vcc_lo, 0, v24, vcc_lo
	v_ashrrev_i32_e32 v18, 31, v4
	s_delay_alu instid0(VALU_DEP_3) | instskip(NEXT) | instid1(VALU_DEP_3)
	v_add_co_u32 v13, vcc_lo, v14, v13
	v_add_co_ci_u32_e32 v14, vcc_lo, 0, v15, vcc_lo
	s_delay_alu instid0(VALU_DEP_2) | instskip(NEXT) | instid1(VALU_DEP_2)
	v_add_co_u32 v11, vcc_lo, v11, v13
	v_add_co_ci_u32_e32 v12, vcc_lo, v12, v14, vcc_lo
	s_delay_alu instid0(VALU_DEP_2) | instskip(SKIP_1) | instid1(VALU_DEP_3)
	v_mul_hi_u32 v13, s0, v11
	v_mul_lo_u32 v15, s3, v11
	v_mul_lo_u32 v14, s0, v12
	s_delay_alu instid0(VALU_DEP_1) | instskip(SKIP_1) | instid1(VALU_DEP_2)
	v_add_nc_u32_e32 v13, v13, v14
	v_mul_lo_u32 v14, s0, v11
	v_add_nc_u32_e32 v13, v13, v15
	s_delay_alu instid0(VALU_DEP_2) | instskip(NEXT) | instid1(VALU_DEP_2)
	v_mul_hi_u32 v15, v11, v14
	v_mul_lo_u32 v16, v11, v13
	v_mul_hi_u32 v17, v11, v13
	v_mul_hi_u32 v24, v12, v14
	v_mul_lo_u32 v14, v12, v14
	v_mul_hi_u32 v27, v12, v13
	v_mul_lo_u32 v13, v12, v13
	v_add_co_u32 v15, vcc_lo, v15, v16
	v_add_co_ci_u32_e32 v16, vcc_lo, 0, v17, vcc_lo
	s_delay_alu instid0(VALU_DEP_2) | instskip(NEXT) | instid1(VALU_DEP_2)
	v_add_co_u32 v14, vcc_lo, v15, v14
	v_add_co_ci_u32_e32 v14, vcc_lo, v16, v24, vcc_lo
	v_add_co_ci_u32_e32 v15, vcc_lo, 0, v27, vcc_lo
	v_add_co_u32 v16, vcc_lo, v3, v18
	v_add_co_ci_u32_e32 v17, vcc_lo, v4, v18, vcc_lo
	s_delay_alu instid0(VALU_DEP_4) | instskip(NEXT) | instid1(VALU_DEP_4)
	v_add_co_u32 v13, vcc_lo, v14, v13
	v_add_co_ci_u32_e32 v14, vcc_lo, 0, v15, vcc_lo
	s_delay_alu instid0(VALU_DEP_4) | instskip(NEXT) | instid1(VALU_DEP_3)
	v_xor_b32_e32 v24, v16, v18
	v_add_co_u32 v15, vcc_lo, v11, v13
	s_delay_alu instid0(VALU_DEP_3) | instskip(SKIP_1) | instid1(VALU_DEP_3)
	v_add_co_ci_u32_e32 v27, vcc_lo, v12, v14, vcc_lo
	v_xor_b32_e32 v17, v17, v18
	v_mul_hi_u32 v28, v24, v15
	s_delay_alu instid0(VALU_DEP_3) | instskip(NEXT) | instid1(VALU_DEP_3)
	v_mad_u64_u32 v[11:12], null, v24, v27, 0
	v_mad_u64_u32 v[13:14], null, v17, v15, 0
	;; [unrolled: 1-line block ×3, first 2 shown]
	s_delay_alu instid0(VALU_DEP_3) | instskip(NEXT) | instid1(VALU_DEP_4)
	v_add_co_u32 v11, vcc_lo, v28, v11
	v_add_co_ci_u32_e32 v12, vcc_lo, 0, v12, vcc_lo
	s_delay_alu instid0(VALU_DEP_2) | instskip(NEXT) | instid1(VALU_DEP_2)
	v_add_co_u32 v11, vcc_lo, v11, v13
	v_add_co_ci_u32_e32 v11, vcc_lo, v12, v14, vcc_lo
	v_add_co_ci_u32_e32 v12, vcc_lo, 0, v16, vcc_lo
	s_delay_alu instid0(VALU_DEP_2) | instskip(NEXT) | instid1(VALU_DEP_2)
	v_add_co_u32 v13, vcc_lo, v11, v15
	v_add_co_ci_u32_e32 v14, vcc_lo, 0, v12, vcc_lo
	s_delay_alu instid0(VALU_DEP_2) | instskip(SKIP_1) | instid1(VALU_DEP_3)
	v_mul_lo_u32 v15, s35, v13
	v_mad_u64_u32 v[11:12], null, s34, v13, 0
	v_mul_lo_u32 v16, s34, v14
	s_delay_alu instid0(VALU_DEP_2) | instskip(NEXT) | instid1(VALU_DEP_2)
	v_sub_co_u32 v11, vcc_lo, v24, v11
	v_add3_u32 v12, v12, v16, v15
	s_delay_alu instid0(VALU_DEP_1) | instskip(NEXT) | instid1(VALU_DEP_1)
	v_sub_nc_u32_e32 v15, v17, v12
	v_subrev_co_ci_u32_e64 v15, s0, s35, v15, vcc_lo
	v_add_co_u32 v16, s0, v13, 2
	s_delay_alu instid0(VALU_DEP_1) | instskip(SKIP_3) | instid1(VALU_DEP_3)
	v_add_co_ci_u32_e64 v24, s0, 0, v14, s0
	v_sub_co_u32 v27, s0, v11, s34
	v_sub_co_ci_u32_e32 v12, vcc_lo, v17, v12, vcc_lo
	v_subrev_co_ci_u32_e64 v15, s0, 0, v15, s0
	v_cmp_le_u32_e32 vcc_lo, s34, v27
	s_delay_alu instid0(VALU_DEP_3) | instskip(SKIP_1) | instid1(VALU_DEP_4)
	v_cmp_eq_u32_e64 s0, s35, v12
	v_cndmask_b32_e64 v17, 0, -1, vcc_lo
	v_cmp_le_u32_e32 vcc_lo, s35, v15
	v_cndmask_b32_e64 v27, 0, -1, vcc_lo
	v_cmp_le_u32_e32 vcc_lo, s34, v11
	v_cndmask_b32_e64 v11, 0, -1, vcc_lo
	v_cmp_le_u32_e32 vcc_lo, s35, v12
	v_cndmask_b32_e64 v28, 0, -1, vcc_lo
	v_cmp_eq_u32_e32 vcc_lo, s35, v15
	s_delay_alu instid0(VALU_DEP_2) | instskip(SKIP_3) | instid1(VALU_DEP_3)
	v_cndmask_b32_e64 v11, v28, v11, s0
	v_cndmask_b32_e32 v15, v27, v17, vcc_lo
	v_add_co_u32 v17, vcc_lo, v13, 1
	v_add_co_ci_u32_e32 v27, vcc_lo, 0, v14, vcc_lo
	v_cmp_ne_u32_e32 vcc_lo, 0, v15
	s_delay_alu instid0(VALU_DEP_2) | instskip(NEXT) | instid1(VALU_DEP_4)
	v_cndmask_b32_e32 v12, v27, v24, vcc_lo
	v_cndmask_b32_e32 v15, v17, v16, vcc_lo
	v_cmp_ne_u32_e32 vcc_lo, 0, v11
	v_xor_b32_e32 v11, s2, v18
	s_delay_alu instid0(VALU_DEP_3) | instskip(NEXT) | instid1(VALU_DEP_1)
	v_dual_cndmask_b32 v12, v14, v12 :: v_dual_cndmask_b32 v13, v13, v15
	v_xor_b32_e32 v12, v12, v11
	s_delay_alu instid0(VALU_DEP_2) | instskip(NEXT) | instid1(VALU_DEP_1)
	v_xor_b32_e32 v13, v13, v11
	v_sub_co_u32 v27, vcc_lo, v13, v11
	s_delay_alu instid0(VALU_DEP_3)
	v_sub_co_ci_u32_e32 v28, vcc_lo, v12, v11, vcc_lo
.LBB26_11:                              ;   in Loop: Header=BB26_9 Depth=1
	s_or_saveexec_b32 s0, s1
	v_cvt_f32_u32_e32 v11, s4
	s_delay_alu instid0(VALU_DEP_1)
	v_rcp_iflag_f32_e32 v11, v11
	s_xor_b32 exec_lo, exec_lo, s0
	s_cbranch_execz .LBB26_13
; %bb.12:                               ;   in Loop: Header=BB26_9 Depth=1
	s_waitcnt_depctr 0xfff
	v_mul_f32_e32 v12, 0x4f7ffffe, v11
	s_sub_i32 s1, 0, s4
	v_mov_b32_e32 v28, v23
	s_delay_alu instid0(VALU_DEP_2) | instskip(NEXT) | instid1(VALU_DEP_1)
	v_cvt_u32_f32_e32 v12, v12
	v_mul_lo_u32 v13, s1, v12
	s_delay_alu instid0(VALU_DEP_1) | instskip(NEXT) | instid1(VALU_DEP_1)
	v_mul_hi_u32 v13, v12, v13
	v_add_nc_u32_e32 v12, v12, v13
	s_delay_alu instid0(VALU_DEP_1) | instskip(NEXT) | instid1(VALU_DEP_1)
	v_mul_hi_u32 v12, v3, v12
	v_mul_lo_u32 v13, v12, s4
	v_add_nc_u32_e32 v14, 1, v12
	s_delay_alu instid0(VALU_DEP_2) | instskip(NEXT) | instid1(VALU_DEP_1)
	v_sub_nc_u32_e32 v13, v3, v13
	v_subrev_nc_u32_e32 v15, s4, v13
	v_cmp_le_u32_e32 vcc_lo, s4, v13
	s_delay_alu instid0(VALU_DEP_2) | instskip(NEXT) | instid1(VALU_DEP_1)
	v_dual_cndmask_b32 v13, v13, v15 :: v_dual_cndmask_b32 v12, v12, v14
	v_cmp_le_u32_e32 vcc_lo, s4, v13
	s_delay_alu instid0(VALU_DEP_2) | instskip(NEXT) | instid1(VALU_DEP_1)
	v_add_nc_u32_e32 v14, 1, v12
	v_cndmask_b32_e32 v27, v12, v14, vcc_lo
.LBB26_13:                              ;   in Loop: Header=BB26_9 Depth=1
	s_or_b32 exec_lo, exec_lo, s0
	v_or_b32_e32 v24, s5, v6
                                        ; implicit-def: $vgpr29_vgpr30
	s_mov_b32 s0, exec_lo
	s_delay_alu instid0(VALU_DEP_1)
	v_cmpx_ne_u64_e32 0, v[23:24]
	s_xor_b32 s1, exec_lo, s0
	s_cbranch_execz .LBB26_15
; %bb.14:                               ;   in Loop: Header=BB26_9 Depth=1
	s_ashr_i32 s2, s5, 31
	s_delay_alu instid0(SALU_CYCLE_1) | instskip(SKIP_2) | instid1(SALU_CYCLE_1)
	s_add_u32 s34, s4, s2
	s_mov_b32 s3, s2
	s_addc_u32 s35, s5, s2
	s_xor_b64 s[34:35], s[34:35], s[2:3]
	s_delay_alu instid0(SALU_CYCLE_1) | instskip(SKIP_3) | instid1(VALU_DEP_1)
	v_cvt_f32_u32_e32 v12, s34
	v_cvt_f32_u32_e32 v13, s35
	s_sub_u32 s0, 0, s34
	s_subb_u32 s3, 0, s35
	v_fmac_f32_e32 v12, 0x4f800000, v13
	s_delay_alu instid0(VALU_DEP_1) | instskip(SKIP_2) | instid1(VALU_DEP_1)
	v_rcp_f32_e32 v12, v12
	s_waitcnt_depctr 0xfff
	v_mul_f32_e32 v12, 0x5f7ffffc, v12
	v_mul_f32_e32 v13, 0x2f800000, v12
	s_delay_alu instid0(VALU_DEP_1) | instskip(NEXT) | instid1(VALU_DEP_1)
	v_trunc_f32_e32 v13, v13
	v_fmac_f32_e32 v12, 0xcf800000, v13
	v_cvt_u32_f32_e32 v13, v13
	s_delay_alu instid0(VALU_DEP_2) | instskip(NEXT) | instid1(VALU_DEP_2)
	v_cvt_u32_f32_e32 v12, v12
	v_mul_lo_u32 v14, s0, v13
	s_delay_alu instid0(VALU_DEP_2) | instskip(SKIP_1) | instid1(VALU_DEP_2)
	v_mul_hi_u32 v15, s0, v12
	v_mul_lo_u32 v16, s3, v12
	v_add_nc_u32_e32 v14, v15, v14
	v_mul_lo_u32 v15, s0, v12
	s_delay_alu instid0(VALU_DEP_2) | instskip(NEXT) | instid1(VALU_DEP_2)
	v_add_nc_u32_e32 v14, v14, v16
	v_mul_hi_u32 v16, v12, v15
	s_delay_alu instid0(VALU_DEP_2)
	v_mul_lo_u32 v17, v12, v14
	v_mul_hi_u32 v18, v12, v14
	v_mul_hi_u32 v24, v13, v15
	v_mul_lo_u32 v15, v13, v15
	v_mul_hi_u32 v29, v13, v14
	v_mul_lo_u32 v14, v13, v14
	v_add_co_u32 v16, vcc_lo, v16, v17
	v_add_co_ci_u32_e32 v17, vcc_lo, 0, v18, vcc_lo
	s_delay_alu instid0(VALU_DEP_2) | instskip(NEXT) | instid1(VALU_DEP_2)
	v_add_co_u32 v15, vcc_lo, v16, v15
	v_add_co_ci_u32_e32 v15, vcc_lo, v17, v24, vcc_lo
	v_add_co_ci_u32_e32 v16, vcc_lo, 0, v29, vcc_lo
	v_ashrrev_i32_e32 v24, 31, v6
	s_delay_alu instid0(VALU_DEP_3) | instskip(NEXT) | instid1(VALU_DEP_3)
	v_add_co_u32 v14, vcc_lo, v15, v14
	v_add_co_ci_u32_e32 v15, vcc_lo, 0, v16, vcc_lo
	s_delay_alu instid0(VALU_DEP_2) | instskip(NEXT) | instid1(VALU_DEP_2)
	v_add_co_u32 v12, vcc_lo, v12, v14
	v_add_co_ci_u32_e32 v13, vcc_lo, v13, v15, vcc_lo
	s_delay_alu instid0(VALU_DEP_2) | instskip(SKIP_1) | instid1(VALU_DEP_3)
	v_mul_hi_u32 v14, s0, v12
	v_mul_lo_u32 v16, s3, v12
	v_mul_lo_u32 v15, s0, v13
	s_delay_alu instid0(VALU_DEP_1) | instskip(SKIP_1) | instid1(VALU_DEP_2)
	v_add_nc_u32_e32 v14, v14, v15
	v_mul_lo_u32 v15, s0, v12
	v_add_nc_u32_e32 v14, v14, v16
	s_delay_alu instid0(VALU_DEP_2) | instskip(NEXT) | instid1(VALU_DEP_2)
	v_mul_hi_u32 v16, v12, v15
	v_mul_lo_u32 v17, v12, v14
	v_mul_hi_u32 v18, v12, v14
	v_mul_hi_u32 v29, v13, v15
	v_mul_lo_u32 v15, v13, v15
	v_mul_hi_u32 v30, v13, v14
	v_mul_lo_u32 v14, v13, v14
	v_add_co_u32 v16, vcc_lo, v16, v17
	v_add_co_ci_u32_e32 v17, vcc_lo, 0, v18, vcc_lo
	s_delay_alu instid0(VALU_DEP_2) | instskip(NEXT) | instid1(VALU_DEP_2)
	v_add_co_u32 v15, vcc_lo, v16, v15
	v_add_co_ci_u32_e32 v15, vcc_lo, v17, v29, vcc_lo
	v_add_co_ci_u32_e32 v16, vcc_lo, 0, v30, vcc_lo
	v_add_co_u32 v17, vcc_lo, v5, v24
	v_add_co_ci_u32_e32 v18, vcc_lo, v6, v24, vcc_lo
	s_delay_alu instid0(VALU_DEP_4) | instskip(NEXT) | instid1(VALU_DEP_4)
	v_add_co_u32 v14, vcc_lo, v15, v14
	v_add_co_ci_u32_e32 v15, vcc_lo, 0, v16, vcc_lo
	s_delay_alu instid0(VALU_DEP_4) | instskip(NEXT) | instid1(VALU_DEP_3)
	v_xor_b32_e32 v29, v17, v24
	v_add_co_u32 v16, vcc_lo, v12, v14
	s_delay_alu instid0(VALU_DEP_3) | instskip(SKIP_1) | instid1(VALU_DEP_3)
	v_add_co_ci_u32_e32 v30, vcc_lo, v13, v15, vcc_lo
	v_xor_b32_e32 v18, v18, v24
	v_mul_hi_u32 v31, v29, v16
	s_delay_alu instid0(VALU_DEP_3) | instskip(NEXT) | instid1(VALU_DEP_3)
	v_mad_u64_u32 v[12:13], null, v29, v30, 0
	v_mad_u64_u32 v[14:15], null, v18, v16, 0
	;; [unrolled: 1-line block ×3, first 2 shown]
	s_delay_alu instid0(VALU_DEP_3) | instskip(NEXT) | instid1(VALU_DEP_4)
	v_add_co_u32 v12, vcc_lo, v31, v12
	v_add_co_ci_u32_e32 v13, vcc_lo, 0, v13, vcc_lo
	s_delay_alu instid0(VALU_DEP_2) | instskip(NEXT) | instid1(VALU_DEP_2)
	v_add_co_u32 v12, vcc_lo, v12, v14
	v_add_co_ci_u32_e32 v12, vcc_lo, v13, v15, vcc_lo
	v_add_co_ci_u32_e32 v13, vcc_lo, 0, v17, vcc_lo
	s_delay_alu instid0(VALU_DEP_2) | instskip(NEXT) | instid1(VALU_DEP_2)
	v_add_co_u32 v14, vcc_lo, v12, v16
	v_add_co_ci_u32_e32 v15, vcc_lo, 0, v13, vcc_lo
	s_delay_alu instid0(VALU_DEP_2) | instskip(SKIP_1) | instid1(VALU_DEP_3)
	v_mul_lo_u32 v16, s35, v14
	v_mad_u64_u32 v[12:13], null, s34, v14, 0
	v_mul_lo_u32 v17, s34, v15
	s_delay_alu instid0(VALU_DEP_2) | instskip(NEXT) | instid1(VALU_DEP_2)
	v_sub_co_u32 v12, vcc_lo, v29, v12
	v_add3_u32 v13, v13, v17, v16
	s_delay_alu instid0(VALU_DEP_1) | instskip(NEXT) | instid1(VALU_DEP_1)
	v_sub_nc_u32_e32 v16, v18, v13
	v_subrev_co_ci_u32_e64 v16, s0, s35, v16, vcc_lo
	v_add_co_u32 v17, s0, v14, 2
	s_delay_alu instid0(VALU_DEP_1) | instskip(SKIP_3) | instid1(VALU_DEP_3)
	v_add_co_ci_u32_e64 v29, s0, 0, v15, s0
	v_sub_co_u32 v30, s0, v12, s34
	v_sub_co_ci_u32_e32 v13, vcc_lo, v18, v13, vcc_lo
	v_subrev_co_ci_u32_e64 v16, s0, 0, v16, s0
	v_cmp_le_u32_e32 vcc_lo, s34, v30
	s_delay_alu instid0(VALU_DEP_3) | instskip(SKIP_1) | instid1(VALU_DEP_4)
	v_cmp_eq_u32_e64 s0, s35, v13
	v_cndmask_b32_e64 v18, 0, -1, vcc_lo
	v_cmp_le_u32_e32 vcc_lo, s35, v16
	v_cndmask_b32_e64 v30, 0, -1, vcc_lo
	v_cmp_le_u32_e32 vcc_lo, s34, v12
	;; [unrolled: 2-line block ×3, first 2 shown]
	v_cndmask_b32_e64 v31, 0, -1, vcc_lo
	v_cmp_eq_u32_e32 vcc_lo, s35, v16
	s_delay_alu instid0(VALU_DEP_2) | instskip(SKIP_3) | instid1(VALU_DEP_3)
	v_cndmask_b32_e64 v12, v31, v12, s0
	v_cndmask_b32_e32 v16, v30, v18, vcc_lo
	v_add_co_u32 v18, vcc_lo, v14, 1
	v_add_co_ci_u32_e32 v30, vcc_lo, 0, v15, vcc_lo
	v_cmp_ne_u32_e32 vcc_lo, 0, v16
	s_delay_alu instid0(VALU_DEP_2) | instskip(NEXT) | instid1(VALU_DEP_4)
	v_cndmask_b32_e32 v13, v30, v29, vcc_lo
	v_cndmask_b32_e32 v16, v18, v17, vcc_lo
	v_cmp_ne_u32_e32 vcc_lo, 0, v12
	v_xor_b32_e32 v12, s2, v24
	s_delay_alu instid0(VALU_DEP_3) | instskip(NEXT) | instid1(VALU_DEP_1)
	v_dual_cndmask_b32 v13, v15, v13 :: v_dual_cndmask_b32 v14, v14, v16
	v_xor_b32_e32 v13, v13, v12
	s_delay_alu instid0(VALU_DEP_2) | instskip(NEXT) | instid1(VALU_DEP_1)
	v_xor_b32_e32 v14, v14, v12
	v_sub_co_u32 v29, vcc_lo, v14, v12
	s_delay_alu instid0(VALU_DEP_3)
	v_sub_co_ci_u32_e32 v30, vcc_lo, v13, v12, vcc_lo
.LBB26_15:                              ;   in Loop: Header=BB26_9 Depth=1
	s_and_not1_saveexec_b32 s0, s1
	s_cbranch_execz .LBB26_17
; %bb.16:                               ;   in Loop: Header=BB26_9 Depth=1
	s_waitcnt_depctr 0xfff
	v_mul_f32_e32 v12, 0x4f7ffffe, v11
	s_sub_i32 s1, 0, s4
	v_mov_b32_e32 v30, v23
	s_delay_alu instid0(VALU_DEP_2) | instskip(NEXT) | instid1(VALU_DEP_1)
	v_cvt_u32_f32_e32 v12, v12
	v_mul_lo_u32 v13, s1, v12
	s_delay_alu instid0(VALU_DEP_1) | instskip(NEXT) | instid1(VALU_DEP_1)
	v_mul_hi_u32 v13, v12, v13
	v_add_nc_u32_e32 v12, v12, v13
	s_delay_alu instid0(VALU_DEP_1) | instskip(NEXT) | instid1(VALU_DEP_1)
	v_mul_hi_u32 v12, v5, v12
	v_mul_lo_u32 v13, v12, s4
	v_add_nc_u32_e32 v14, 1, v12
	s_delay_alu instid0(VALU_DEP_2) | instskip(NEXT) | instid1(VALU_DEP_1)
	v_sub_nc_u32_e32 v13, v5, v13
	v_subrev_nc_u32_e32 v15, s4, v13
	v_cmp_le_u32_e32 vcc_lo, s4, v13
	s_delay_alu instid0(VALU_DEP_2) | instskip(NEXT) | instid1(VALU_DEP_1)
	v_dual_cndmask_b32 v13, v13, v15 :: v_dual_cndmask_b32 v12, v12, v14
	v_cmp_le_u32_e32 vcc_lo, s4, v13
	s_delay_alu instid0(VALU_DEP_2) | instskip(NEXT) | instid1(VALU_DEP_1)
	v_add_nc_u32_e32 v14, 1, v12
	v_cndmask_b32_e32 v29, v12, v14, vcc_lo
.LBB26_17:                              ;   in Loop: Header=BB26_9 Depth=1
	s_or_b32 exec_lo, exec_lo, s0
	v_or_b32_e32 v24, s5, v8
                                        ; implicit-def: $vgpr31_vgpr32
	s_mov_b32 s0, exec_lo
	s_delay_alu instid0(VALU_DEP_1)
	v_cmpx_ne_u64_e32 0, v[23:24]
	s_xor_b32 s1, exec_lo, s0
	s_cbranch_execz .LBB26_19
; %bb.18:                               ;   in Loop: Header=BB26_9 Depth=1
	s_ashr_i32 s2, s5, 31
	s_delay_alu instid0(SALU_CYCLE_1) | instskip(SKIP_2) | instid1(SALU_CYCLE_1)
	s_add_u32 s34, s4, s2
	s_mov_b32 s3, s2
	s_addc_u32 s35, s5, s2
	s_xor_b64 s[34:35], s[34:35], s[2:3]
	s_delay_alu instid0(SALU_CYCLE_1) | instskip(SKIP_3) | instid1(VALU_DEP_1)
	v_cvt_f32_u32_e32 v12, s34
	v_cvt_f32_u32_e32 v13, s35
	s_sub_u32 s0, 0, s34
	s_subb_u32 s3, 0, s35
	v_fmac_f32_e32 v12, 0x4f800000, v13
	s_delay_alu instid0(VALU_DEP_1) | instskip(SKIP_2) | instid1(VALU_DEP_1)
	v_rcp_f32_e32 v12, v12
	s_waitcnt_depctr 0xfff
	v_mul_f32_e32 v12, 0x5f7ffffc, v12
	v_mul_f32_e32 v13, 0x2f800000, v12
	s_delay_alu instid0(VALU_DEP_1) | instskip(NEXT) | instid1(VALU_DEP_1)
	v_trunc_f32_e32 v13, v13
	v_fmac_f32_e32 v12, 0xcf800000, v13
	v_cvt_u32_f32_e32 v13, v13
	s_delay_alu instid0(VALU_DEP_2) | instskip(NEXT) | instid1(VALU_DEP_2)
	v_cvt_u32_f32_e32 v12, v12
	v_mul_lo_u32 v14, s0, v13
	s_delay_alu instid0(VALU_DEP_2) | instskip(SKIP_1) | instid1(VALU_DEP_2)
	v_mul_hi_u32 v15, s0, v12
	v_mul_lo_u32 v16, s3, v12
	v_add_nc_u32_e32 v14, v15, v14
	v_mul_lo_u32 v15, s0, v12
	s_delay_alu instid0(VALU_DEP_2) | instskip(NEXT) | instid1(VALU_DEP_2)
	v_add_nc_u32_e32 v14, v14, v16
	v_mul_hi_u32 v16, v12, v15
	s_delay_alu instid0(VALU_DEP_2)
	v_mul_lo_u32 v17, v12, v14
	v_mul_hi_u32 v18, v12, v14
	v_mul_hi_u32 v24, v13, v15
	v_mul_lo_u32 v15, v13, v15
	v_mul_hi_u32 v31, v13, v14
	v_mul_lo_u32 v14, v13, v14
	v_add_co_u32 v16, vcc_lo, v16, v17
	v_add_co_ci_u32_e32 v17, vcc_lo, 0, v18, vcc_lo
	s_delay_alu instid0(VALU_DEP_2) | instskip(NEXT) | instid1(VALU_DEP_2)
	v_add_co_u32 v15, vcc_lo, v16, v15
	v_add_co_ci_u32_e32 v15, vcc_lo, v17, v24, vcc_lo
	v_add_co_ci_u32_e32 v16, vcc_lo, 0, v31, vcc_lo
	v_ashrrev_i32_e32 v24, 31, v8
	s_delay_alu instid0(VALU_DEP_3) | instskip(NEXT) | instid1(VALU_DEP_3)
	v_add_co_u32 v14, vcc_lo, v15, v14
	v_add_co_ci_u32_e32 v15, vcc_lo, 0, v16, vcc_lo
	s_delay_alu instid0(VALU_DEP_2) | instskip(NEXT) | instid1(VALU_DEP_2)
	v_add_co_u32 v12, vcc_lo, v12, v14
	v_add_co_ci_u32_e32 v13, vcc_lo, v13, v15, vcc_lo
	s_delay_alu instid0(VALU_DEP_2) | instskip(SKIP_1) | instid1(VALU_DEP_3)
	v_mul_hi_u32 v14, s0, v12
	v_mul_lo_u32 v16, s3, v12
	v_mul_lo_u32 v15, s0, v13
	s_delay_alu instid0(VALU_DEP_1) | instskip(SKIP_1) | instid1(VALU_DEP_2)
	v_add_nc_u32_e32 v14, v14, v15
	v_mul_lo_u32 v15, s0, v12
	v_add_nc_u32_e32 v14, v14, v16
	s_delay_alu instid0(VALU_DEP_2) | instskip(NEXT) | instid1(VALU_DEP_2)
	v_mul_hi_u32 v16, v12, v15
	v_mul_lo_u32 v17, v12, v14
	v_mul_hi_u32 v18, v12, v14
	v_mul_hi_u32 v31, v13, v15
	v_mul_lo_u32 v15, v13, v15
	v_mul_hi_u32 v32, v13, v14
	v_mul_lo_u32 v14, v13, v14
	v_add_co_u32 v16, vcc_lo, v16, v17
	v_add_co_ci_u32_e32 v17, vcc_lo, 0, v18, vcc_lo
	s_delay_alu instid0(VALU_DEP_2) | instskip(NEXT) | instid1(VALU_DEP_2)
	v_add_co_u32 v15, vcc_lo, v16, v15
	v_add_co_ci_u32_e32 v15, vcc_lo, v17, v31, vcc_lo
	v_add_co_ci_u32_e32 v16, vcc_lo, 0, v32, vcc_lo
	v_add_co_u32 v17, vcc_lo, v7, v24
	v_add_co_ci_u32_e32 v18, vcc_lo, v8, v24, vcc_lo
	s_delay_alu instid0(VALU_DEP_4) | instskip(NEXT) | instid1(VALU_DEP_4)
	v_add_co_u32 v14, vcc_lo, v15, v14
	v_add_co_ci_u32_e32 v15, vcc_lo, 0, v16, vcc_lo
	s_delay_alu instid0(VALU_DEP_4) | instskip(NEXT) | instid1(VALU_DEP_3)
	v_xor_b32_e32 v31, v17, v24
	v_add_co_u32 v16, vcc_lo, v12, v14
	s_delay_alu instid0(VALU_DEP_3) | instskip(SKIP_1) | instid1(VALU_DEP_3)
	v_add_co_ci_u32_e32 v32, vcc_lo, v13, v15, vcc_lo
	v_xor_b32_e32 v18, v18, v24
	v_mul_hi_u32 v33, v31, v16
	s_delay_alu instid0(VALU_DEP_3) | instskip(NEXT) | instid1(VALU_DEP_3)
	v_mad_u64_u32 v[12:13], null, v31, v32, 0
	v_mad_u64_u32 v[14:15], null, v18, v16, 0
	;; [unrolled: 1-line block ×3, first 2 shown]
	s_delay_alu instid0(VALU_DEP_3) | instskip(NEXT) | instid1(VALU_DEP_4)
	v_add_co_u32 v12, vcc_lo, v33, v12
	v_add_co_ci_u32_e32 v13, vcc_lo, 0, v13, vcc_lo
	s_delay_alu instid0(VALU_DEP_2) | instskip(NEXT) | instid1(VALU_DEP_2)
	v_add_co_u32 v12, vcc_lo, v12, v14
	v_add_co_ci_u32_e32 v12, vcc_lo, v13, v15, vcc_lo
	v_add_co_ci_u32_e32 v13, vcc_lo, 0, v17, vcc_lo
	s_delay_alu instid0(VALU_DEP_2) | instskip(NEXT) | instid1(VALU_DEP_2)
	v_add_co_u32 v14, vcc_lo, v12, v16
	v_add_co_ci_u32_e32 v15, vcc_lo, 0, v13, vcc_lo
	s_delay_alu instid0(VALU_DEP_2) | instskip(SKIP_1) | instid1(VALU_DEP_3)
	v_mul_lo_u32 v16, s35, v14
	v_mad_u64_u32 v[12:13], null, s34, v14, 0
	v_mul_lo_u32 v17, s34, v15
	s_delay_alu instid0(VALU_DEP_2) | instskip(NEXT) | instid1(VALU_DEP_2)
	v_sub_co_u32 v12, vcc_lo, v31, v12
	v_add3_u32 v13, v13, v17, v16
	s_delay_alu instid0(VALU_DEP_1) | instskip(NEXT) | instid1(VALU_DEP_1)
	v_sub_nc_u32_e32 v16, v18, v13
	v_subrev_co_ci_u32_e64 v16, s0, s35, v16, vcc_lo
	v_add_co_u32 v17, s0, v14, 2
	s_delay_alu instid0(VALU_DEP_1) | instskip(SKIP_3) | instid1(VALU_DEP_3)
	v_add_co_ci_u32_e64 v31, s0, 0, v15, s0
	v_sub_co_u32 v32, s0, v12, s34
	v_sub_co_ci_u32_e32 v13, vcc_lo, v18, v13, vcc_lo
	v_subrev_co_ci_u32_e64 v16, s0, 0, v16, s0
	v_cmp_le_u32_e32 vcc_lo, s34, v32
	s_delay_alu instid0(VALU_DEP_3) | instskip(SKIP_1) | instid1(VALU_DEP_4)
	v_cmp_eq_u32_e64 s0, s35, v13
	v_cndmask_b32_e64 v18, 0, -1, vcc_lo
	v_cmp_le_u32_e32 vcc_lo, s35, v16
	v_cndmask_b32_e64 v32, 0, -1, vcc_lo
	v_cmp_le_u32_e32 vcc_lo, s34, v12
	;; [unrolled: 2-line block ×3, first 2 shown]
	v_cndmask_b32_e64 v33, 0, -1, vcc_lo
	v_cmp_eq_u32_e32 vcc_lo, s35, v16
	s_delay_alu instid0(VALU_DEP_2) | instskip(SKIP_3) | instid1(VALU_DEP_3)
	v_cndmask_b32_e64 v12, v33, v12, s0
	v_cndmask_b32_e32 v16, v32, v18, vcc_lo
	v_add_co_u32 v18, vcc_lo, v14, 1
	v_add_co_ci_u32_e32 v32, vcc_lo, 0, v15, vcc_lo
	v_cmp_ne_u32_e32 vcc_lo, 0, v16
	s_delay_alu instid0(VALU_DEP_2) | instskip(SKIP_2) | instid1(VALU_DEP_3)
	v_dual_cndmask_b32 v13, v32, v31 :: v_dual_cndmask_b32 v16, v18, v17
	v_cmp_ne_u32_e32 vcc_lo, 0, v12
	v_xor_b32_e32 v12, s2, v24
	v_dual_cndmask_b32 v14, v14, v16 :: v_dual_cndmask_b32 v13, v15, v13
	s_delay_alu instid0(VALU_DEP_1) | instskip(NEXT) | instid1(VALU_DEP_2)
	v_xor_b32_e32 v14, v14, v12
	v_xor_b32_e32 v13, v13, v12
	s_delay_alu instid0(VALU_DEP_2) | instskip(NEXT) | instid1(VALU_DEP_2)
	v_sub_co_u32 v31, vcc_lo, v14, v12
	v_sub_co_ci_u32_e32 v32, vcc_lo, v13, v12, vcc_lo
.LBB26_19:                              ;   in Loop: Header=BB26_9 Depth=1
	s_and_not1_saveexec_b32 s0, s1
	s_cbranch_execz .LBB26_21
; %bb.20:                               ;   in Loop: Header=BB26_9 Depth=1
	s_waitcnt_depctr 0xfff
	v_mul_f32_e32 v12, 0x4f7ffffe, v11
	s_sub_i32 s1, 0, s4
	v_mov_b32_e32 v32, v23
	s_delay_alu instid0(VALU_DEP_2) | instskip(NEXT) | instid1(VALU_DEP_1)
	v_cvt_u32_f32_e32 v12, v12
	v_mul_lo_u32 v13, s1, v12
	s_delay_alu instid0(VALU_DEP_1) | instskip(NEXT) | instid1(VALU_DEP_1)
	v_mul_hi_u32 v13, v12, v13
	v_add_nc_u32_e32 v12, v12, v13
	s_delay_alu instid0(VALU_DEP_1) | instskip(NEXT) | instid1(VALU_DEP_1)
	v_mul_hi_u32 v12, v7, v12
	v_mul_lo_u32 v13, v12, s4
	v_add_nc_u32_e32 v14, 1, v12
	s_delay_alu instid0(VALU_DEP_2) | instskip(NEXT) | instid1(VALU_DEP_1)
	v_sub_nc_u32_e32 v13, v7, v13
	v_subrev_nc_u32_e32 v15, s4, v13
	v_cmp_le_u32_e32 vcc_lo, s4, v13
	s_delay_alu instid0(VALU_DEP_2) | instskip(NEXT) | instid1(VALU_DEP_1)
	v_dual_cndmask_b32 v13, v13, v15 :: v_dual_cndmask_b32 v12, v12, v14
	v_cmp_le_u32_e32 vcc_lo, s4, v13
	s_delay_alu instid0(VALU_DEP_2) | instskip(NEXT) | instid1(VALU_DEP_1)
	v_add_nc_u32_e32 v14, 1, v12
	v_cndmask_b32_e32 v31, v12, v14, vcc_lo
.LBB26_21:                              ;   in Loop: Header=BB26_9 Depth=1
	s_or_b32 exec_lo, exec_lo, s0
	v_or_b32_e32 v24, s5, v10
                                        ; implicit-def: $vgpr33_vgpr34
	s_mov_b32 s0, exec_lo
	s_delay_alu instid0(VALU_DEP_1)
	v_cmpx_ne_u64_e32 0, v[23:24]
	s_xor_b32 s1, exec_lo, s0
	s_cbranch_execnz .LBB26_27
; %bb.22:                               ;   in Loop: Header=BB26_9 Depth=1
	s_and_not1_saveexec_b32 s0, s1
	s_cbranch_execnz .LBB26_28
.LBB26_23:                              ;   in Loop: Header=BB26_9 Depth=1
	s_or_b32 exec_lo, exec_lo, s0
	s_delay_alu instid0(SALU_CYCLE_1)
	s_and_not1_b32 vcc_lo, exec_lo, s50
                                        ; implicit-def: $vgpr11_vgpr12_vgpr13_vgpr14_vgpr15_vgpr16_vgpr17_vgpr18
	s_cbranch_vccz .LBB26_29
.LBB26_24:                              ;   in Loop: Header=BB26_9 Depth=1
	s_and_not1_b32 vcc_lo, exec_lo, s50
	s_cbranch_vccz .LBB26_34
.LBB26_25:                              ;   in Loop: Header=BB26_9 Depth=1
	s_and_not1_b32 vcc_lo, exec_lo, s50
	s_cbranch_vccz .LBB26_39
.LBB26_26:                              ;   in Loop: Header=BB26_9 Depth=1
	s_and_not1_b32 vcc_lo, exec_lo, s50
	s_cbranch_vccnz .LBB26_8
	s_branch .LBB26_44
.LBB26_27:                              ;   in Loop: Header=BB26_9 Depth=1
	s_ashr_i32 s2, s5, 31
	s_delay_alu instid0(SALU_CYCLE_1) | instskip(SKIP_2) | instid1(SALU_CYCLE_1)
	s_add_u32 s34, s4, s2
	s_mov_b32 s3, s2
	s_addc_u32 s35, s5, s2
	s_xor_b64 s[34:35], s[34:35], s[2:3]
	s_delay_alu instid0(SALU_CYCLE_1) | instskip(SKIP_3) | instid1(VALU_DEP_1)
	v_cvt_f32_u32_e32 v11, s34
	v_cvt_f32_u32_e32 v12, s35
	s_sub_u32 s0, 0, s34
	s_subb_u32 s3, 0, s35
	v_fmac_f32_e32 v11, 0x4f800000, v12
	s_delay_alu instid0(VALU_DEP_1) | instskip(SKIP_2) | instid1(VALU_DEP_1)
	v_rcp_f32_e32 v11, v11
	s_waitcnt_depctr 0xfff
	v_mul_f32_e32 v11, 0x5f7ffffc, v11
	v_mul_f32_e32 v12, 0x2f800000, v11
	s_delay_alu instid0(VALU_DEP_1) | instskip(NEXT) | instid1(VALU_DEP_1)
	v_trunc_f32_e32 v12, v12
	v_fmac_f32_e32 v11, 0xcf800000, v12
	v_cvt_u32_f32_e32 v12, v12
	s_delay_alu instid0(VALU_DEP_2) | instskip(NEXT) | instid1(VALU_DEP_2)
	v_cvt_u32_f32_e32 v11, v11
	v_mul_lo_u32 v13, s0, v12
	s_delay_alu instid0(VALU_DEP_2) | instskip(SKIP_1) | instid1(VALU_DEP_2)
	v_mul_hi_u32 v14, s0, v11
	v_mul_lo_u32 v15, s3, v11
	v_add_nc_u32_e32 v13, v14, v13
	v_mul_lo_u32 v14, s0, v11
	s_delay_alu instid0(VALU_DEP_2) | instskip(NEXT) | instid1(VALU_DEP_2)
	v_add_nc_u32_e32 v13, v13, v15
	v_mul_hi_u32 v15, v11, v14
	s_delay_alu instid0(VALU_DEP_2)
	v_mul_lo_u32 v16, v11, v13
	v_mul_hi_u32 v17, v11, v13
	v_mul_hi_u32 v18, v12, v14
	v_mul_lo_u32 v14, v12, v14
	v_mul_hi_u32 v24, v12, v13
	v_mul_lo_u32 v13, v12, v13
	v_add_co_u32 v15, vcc_lo, v15, v16
	v_add_co_ci_u32_e32 v16, vcc_lo, 0, v17, vcc_lo
	s_delay_alu instid0(VALU_DEP_2) | instskip(NEXT) | instid1(VALU_DEP_2)
	v_add_co_u32 v14, vcc_lo, v15, v14
	v_add_co_ci_u32_e32 v14, vcc_lo, v16, v18, vcc_lo
	v_add_co_ci_u32_e32 v15, vcc_lo, 0, v24, vcc_lo
	v_ashrrev_i32_e32 v18, 31, v10
	s_delay_alu instid0(VALU_DEP_3) | instskip(NEXT) | instid1(VALU_DEP_3)
	v_add_co_u32 v13, vcc_lo, v14, v13
	v_add_co_ci_u32_e32 v14, vcc_lo, 0, v15, vcc_lo
	s_delay_alu instid0(VALU_DEP_2) | instskip(NEXT) | instid1(VALU_DEP_2)
	v_add_co_u32 v11, vcc_lo, v11, v13
	v_add_co_ci_u32_e32 v12, vcc_lo, v12, v14, vcc_lo
	s_delay_alu instid0(VALU_DEP_2) | instskip(SKIP_1) | instid1(VALU_DEP_3)
	v_mul_hi_u32 v13, s0, v11
	v_mul_lo_u32 v15, s3, v11
	v_mul_lo_u32 v14, s0, v12
	s_delay_alu instid0(VALU_DEP_1) | instskip(SKIP_1) | instid1(VALU_DEP_2)
	v_add_nc_u32_e32 v13, v13, v14
	v_mul_lo_u32 v14, s0, v11
	v_add_nc_u32_e32 v13, v13, v15
	s_delay_alu instid0(VALU_DEP_2) | instskip(NEXT) | instid1(VALU_DEP_2)
	v_mul_hi_u32 v15, v11, v14
	v_mul_lo_u32 v16, v11, v13
	v_mul_hi_u32 v17, v11, v13
	v_mul_hi_u32 v24, v12, v14
	v_mul_lo_u32 v14, v12, v14
	v_mul_hi_u32 v33, v12, v13
	v_mul_lo_u32 v13, v12, v13
	v_add_co_u32 v15, vcc_lo, v15, v16
	v_add_co_ci_u32_e32 v16, vcc_lo, 0, v17, vcc_lo
	s_delay_alu instid0(VALU_DEP_2) | instskip(NEXT) | instid1(VALU_DEP_2)
	v_add_co_u32 v14, vcc_lo, v15, v14
	v_add_co_ci_u32_e32 v14, vcc_lo, v16, v24, vcc_lo
	v_add_co_ci_u32_e32 v15, vcc_lo, 0, v33, vcc_lo
	v_add_co_u32 v16, vcc_lo, v9, v18
	v_add_co_ci_u32_e32 v17, vcc_lo, v10, v18, vcc_lo
	s_delay_alu instid0(VALU_DEP_4) | instskip(NEXT) | instid1(VALU_DEP_4)
	v_add_co_u32 v13, vcc_lo, v14, v13
	v_add_co_ci_u32_e32 v14, vcc_lo, 0, v15, vcc_lo
	s_delay_alu instid0(VALU_DEP_4) | instskip(NEXT) | instid1(VALU_DEP_3)
	v_xor_b32_e32 v24, v16, v18
	v_add_co_u32 v15, vcc_lo, v11, v13
	s_delay_alu instid0(VALU_DEP_3) | instskip(SKIP_1) | instid1(VALU_DEP_3)
	v_add_co_ci_u32_e32 v33, vcc_lo, v12, v14, vcc_lo
	v_xor_b32_e32 v17, v17, v18
	v_mul_hi_u32 v34, v24, v15
	s_delay_alu instid0(VALU_DEP_3) | instskip(NEXT) | instid1(VALU_DEP_3)
	v_mad_u64_u32 v[11:12], null, v24, v33, 0
	v_mad_u64_u32 v[13:14], null, v17, v15, 0
	;; [unrolled: 1-line block ×3, first 2 shown]
	s_delay_alu instid0(VALU_DEP_3) | instskip(NEXT) | instid1(VALU_DEP_4)
	v_add_co_u32 v11, vcc_lo, v34, v11
	v_add_co_ci_u32_e32 v12, vcc_lo, 0, v12, vcc_lo
	s_delay_alu instid0(VALU_DEP_2) | instskip(NEXT) | instid1(VALU_DEP_2)
	v_add_co_u32 v11, vcc_lo, v11, v13
	v_add_co_ci_u32_e32 v11, vcc_lo, v12, v14, vcc_lo
	v_add_co_ci_u32_e32 v12, vcc_lo, 0, v16, vcc_lo
	s_delay_alu instid0(VALU_DEP_2) | instskip(NEXT) | instid1(VALU_DEP_2)
	v_add_co_u32 v13, vcc_lo, v11, v15
	v_add_co_ci_u32_e32 v14, vcc_lo, 0, v12, vcc_lo
	s_delay_alu instid0(VALU_DEP_2) | instskip(SKIP_1) | instid1(VALU_DEP_3)
	v_mul_lo_u32 v15, s35, v13
	v_mad_u64_u32 v[11:12], null, s34, v13, 0
	v_mul_lo_u32 v16, s34, v14
	s_delay_alu instid0(VALU_DEP_2) | instskip(NEXT) | instid1(VALU_DEP_2)
	v_sub_co_u32 v11, vcc_lo, v24, v11
	v_add3_u32 v12, v12, v16, v15
	s_delay_alu instid0(VALU_DEP_1) | instskip(NEXT) | instid1(VALU_DEP_1)
	v_sub_nc_u32_e32 v15, v17, v12
	v_subrev_co_ci_u32_e64 v15, s0, s35, v15, vcc_lo
	v_add_co_u32 v16, s0, v13, 2
	s_delay_alu instid0(VALU_DEP_1) | instskip(SKIP_3) | instid1(VALU_DEP_3)
	v_add_co_ci_u32_e64 v24, s0, 0, v14, s0
	v_sub_co_u32 v33, s0, v11, s34
	v_sub_co_ci_u32_e32 v12, vcc_lo, v17, v12, vcc_lo
	v_subrev_co_ci_u32_e64 v15, s0, 0, v15, s0
	v_cmp_le_u32_e32 vcc_lo, s34, v33
	s_delay_alu instid0(VALU_DEP_3) | instskip(SKIP_1) | instid1(VALU_DEP_4)
	v_cmp_eq_u32_e64 s0, s35, v12
	v_cndmask_b32_e64 v17, 0, -1, vcc_lo
	v_cmp_le_u32_e32 vcc_lo, s35, v15
	v_cndmask_b32_e64 v33, 0, -1, vcc_lo
	v_cmp_le_u32_e32 vcc_lo, s34, v11
	v_cndmask_b32_e64 v11, 0, -1, vcc_lo
	v_cmp_le_u32_e32 vcc_lo, s35, v12
	v_cndmask_b32_e64 v34, 0, -1, vcc_lo
	v_cmp_eq_u32_e32 vcc_lo, s35, v15
	s_delay_alu instid0(VALU_DEP_2) | instskip(SKIP_3) | instid1(VALU_DEP_3)
	v_cndmask_b32_e64 v11, v34, v11, s0
	v_cndmask_b32_e32 v15, v33, v17, vcc_lo
	v_add_co_u32 v17, vcc_lo, v13, 1
	v_add_co_ci_u32_e32 v33, vcc_lo, 0, v14, vcc_lo
	v_cmp_ne_u32_e32 vcc_lo, 0, v15
	s_delay_alu instid0(VALU_DEP_2) | instskip(NEXT) | instid1(VALU_DEP_4)
	v_cndmask_b32_e32 v12, v33, v24, vcc_lo
	v_cndmask_b32_e32 v15, v17, v16, vcc_lo
	v_cmp_ne_u32_e32 vcc_lo, 0, v11
	v_xor_b32_e32 v11, s2, v18
	s_delay_alu instid0(VALU_DEP_3) | instskip(NEXT) | instid1(VALU_DEP_1)
	v_dual_cndmask_b32 v12, v14, v12 :: v_dual_cndmask_b32 v13, v13, v15
	v_xor_b32_e32 v12, v12, v11
	s_delay_alu instid0(VALU_DEP_2) | instskip(NEXT) | instid1(VALU_DEP_1)
	v_xor_b32_e32 v13, v13, v11
	v_sub_co_u32 v33, vcc_lo, v13, v11
	s_delay_alu instid0(VALU_DEP_3)
	v_sub_co_ci_u32_e32 v34, vcc_lo, v12, v11, vcc_lo
                                        ; implicit-def: $vgpr11
	s_and_not1_saveexec_b32 s0, s1
	s_cbranch_execz .LBB26_23
.LBB26_28:                              ;   in Loop: Header=BB26_9 Depth=1
	v_mul_f32_e32 v11, 0x4f7ffffe, v11
	s_sub_i32 s1, 0, s4
	v_mov_b32_e32 v34, v23
	s_delay_alu instid0(VALU_DEP_2) | instskip(NEXT) | instid1(VALU_DEP_1)
	v_cvt_u32_f32_e32 v11, v11
	v_mul_lo_u32 v12, s1, v11
	s_delay_alu instid0(VALU_DEP_1) | instskip(NEXT) | instid1(VALU_DEP_1)
	v_mul_hi_u32 v12, v11, v12
	v_add_nc_u32_e32 v11, v11, v12
	s_delay_alu instid0(VALU_DEP_1) | instskip(NEXT) | instid1(VALU_DEP_1)
	v_mul_hi_u32 v11, v9, v11
	v_mul_lo_u32 v12, v11, s4
	v_add_nc_u32_e32 v13, 1, v11
	s_delay_alu instid0(VALU_DEP_2) | instskip(NEXT) | instid1(VALU_DEP_1)
	v_sub_nc_u32_e32 v12, v9, v12
	v_subrev_nc_u32_e32 v14, s4, v12
	v_cmp_le_u32_e32 vcc_lo, s4, v12
	s_delay_alu instid0(VALU_DEP_2) | instskip(NEXT) | instid1(VALU_DEP_1)
	v_dual_cndmask_b32 v12, v12, v14 :: v_dual_cndmask_b32 v11, v11, v13
	v_cmp_le_u32_e32 vcc_lo, s4, v12
	s_delay_alu instid0(VALU_DEP_2) | instskip(NEXT) | instid1(VALU_DEP_1)
	v_add_nc_u32_e32 v13, 1, v11
	v_cndmask_b32_e32 v33, v11, v13, vcc_lo
	s_or_b32 exec_lo, exec_lo, s0
	s_delay_alu instid0(SALU_CYCLE_1)
	s_and_not1_b32 vcc_lo, exec_lo, s50
                                        ; implicit-def: $vgpr11_vgpr12_vgpr13_vgpr14_vgpr15_vgpr16_vgpr17_vgpr18
	s_cbranch_vccnz .LBB26_24
.LBB26_29:                              ;   in Loop: Header=BB26_9 Depth=1
	v_add_co_u32 v11, s0, v0, s51
	s_delay_alu instid0(VALU_DEP_1) | instskip(SKIP_3) | instid1(VALU_DEP_3)
	v_add_co_ci_u32_e64 v12, null, 0, s52, s0
	v_mul_lo_u32 v15, s24, v28
	v_mul_lo_u32 v16, s25, v27
	s_mov_b32 s0, exec_lo
	v_mad_u64_u32 v[13:14], null, s24, v27, v[11:12]
                                        ; implicit-def: $vgpr11_vgpr12
	s_delay_alu instid0(VALU_DEP_1) | instskip(NEXT) | instid1(VALU_DEP_1)
	v_add3_u32 v14, v16, v14, v15
	v_or_b32_e32 v24, s21, v14
	s_delay_alu instid0(VALU_DEP_1)
	v_cmpx_ne_u64_e32 0, v[23:24]
	s_xor_b32 s1, exec_lo, s0
	s_cbranch_execz .LBB26_31
; %bb.30:                               ;   in Loop: Header=BB26_9 Depth=1
	s_ashr_i32 s2, s21, 31
	s_delay_alu instid0(SALU_CYCLE_1) | instskip(SKIP_2) | instid1(SALU_CYCLE_1)
	s_add_u32 s34, s20, s2
	s_mov_b32 s3, s2
	s_addc_u32 s35, s21, s2
	s_xor_b64 s[2:3], s[34:35], s[2:3]
	s_delay_alu instid0(SALU_CYCLE_1) | instskip(SKIP_3) | instid1(VALU_DEP_1)
	v_cvt_f32_u32_e32 v11, s2
	v_cvt_f32_u32_e32 v12, s3
	s_sub_u32 s0, 0, s2
	s_subb_u32 s34, 0, s3
	v_fmac_f32_e32 v11, 0x4f800000, v12
	s_delay_alu instid0(VALU_DEP_1) | instskip(SKIP_2) | instid1(VALU_DEP_1)
	v_rcp_f32_e32 v11, v11
	s_waitcnt_depctr 0xfff
	v_mul_f32_e32 v11, 0x5f7ffffc, v11
	v_mul_f32_e32 v12, 0x2f800000, v11
	s_delay_alu instid0(VALU_DEP_1) | instskip(NEXT) | instid1(VALU_DEP_1)
	v_trunc_f32_e32 v12, v12
	v_fmac_f32_e32 v11, 0xcf800000, v12
	v_cvt_u32_f32_e32 v12, v12
	s_delay_alu instid0(VALU_DEP_2) | instskip(NEXT) | instid1(VALU_DEP_2)
	v_cvt_u32_f32_e32 v11, v11
	v_mul_lo_u32 v15, s0, v12
	s_delay_alu instid0(VALU_DEP_2) | instskip(SKIP_1) | instid1(VALU_DEP_2)
	v_mul_hi_u32 v16, s0, v11
	v_mul_lo_u32 v17, s34, v11
	v_add_nc_u32_e32 v15, v16, v15
	v_mul_lo_u32 v16, s0, v11
	s_delay_alu instid0(VALU_DEP_2) | instskip(NEXT) | instid1(VALU_DEP_2)
	v_add_nc_u32_e32 v15, v15, v17
	v_mul_hi_u32 v17, v11, v16
	s_delay_alu instid0(VALU_DEP_2)
	v_mul_lo_u32 v18, v11, v15
	v_mul_hi_u32 v24, v11, v15
	v_mul_hi_u32 v35, v12, v16
	v_mul_lo_u32 v16, v12, v16
	v_mul_hi_u32 v36, v12, v15
	v_mul_lo_u32 v15, v12, v15
	v_add_co_u32 v17, vcc_lo, v17, v18
	v_add_co_ci_u32_e32 v18, vcc_lo, 0, v24, vcc_lo
	s_delay_alu instid0(VALU_DEP_2) | instskip(NEXT) | instid1(VALU_DEP_2)
	v_add_co_u32 v16, vcc_lo, v17, v16
	v_add_co_ci_u32_e32 v16, vcc_lo, v18, v35, vcc_lo
	v_add_co_ci_u32_e32 v17, vcc_lo, 0, v36, vcc_lo
	v_ashrrev_i32_e32 v35, 31, v14
	s_delay_alu instid0(VALU_DEP_3) | instskip(NEXT) | instid1(VALU_DEP_3)
	v_add_co_u32 v15, vcc_lo, v16, v15
	v_add_co_ci_u32_e32 v16, vcc_lo, 0, v17, vcc_lo
	s_delay_alu instid0(VALU_DEP_2) | instskip(NEXT) | instid1(VALU_DEP_2)
	v_add_co_u32 v11, vcc_lo, v11, v15
	v_add_co_ci_u32_e32 v12, vcc_lo, v12, v16, vcc_lo
	s_delay_alu instid0(VALU_DEP_2) | instskip(SKIP_1) | instid1(VALU_DEP_3)
	v_mul_hi_u32 v15, s0, v11
	v_mul_lo_u32 v17, s34, v11
	v_mul_lo_u32 v16, s0, v12
	s_delay_alu instid0(VALU_DEP_1) | instskip(SKIP_1) | instid1(VALU_DEP_2)
	v_add_nc_u32_e32 v15, v15, v16
	v_mul_lo_u32 v16, s0, v11
	v_add_nc_u32_e32 v15, v15, v17
	s_delay_alu instid0(VALU_DEP_2) | instskip(NEXT) | instid1(VALU_DEP_2)
	v_mul_hi_u32 v17, v11, v16
	v_mul_lo_u32 v18, v11, v15
	v_mul_hi_u32 v24, v11, v15
	v_mul_hi_u32 v36, v12, v16
	v_mul_lo_u32 v16, v12, v16
	v_mul_hi_u32 v37, v12, v15
	v_mul_lo_u32 v15, v12, v15
	v_add_co_u32 v17, vcc_lo, v17, v18
	v_add_co_ci_u32_e32 v18, vcc_lo, 0, v24, vcc_lo
	s_delay_alu instid0(VALU_DEP_2) | instskip(NEXT) | instid1(VALU_DEP_2)
	v_add_co_u32 v16, vcc_lo, v17, v16
	v_add_co_ci_u32_e32 v16, vcc_lo, v18, v36, vcc_lo
	v_add_co_ci_u32_e32 v17, vcc_lo, 0, v37, vcc_lo
	v_add_co_u32 v13, vcc_lo, v13, v35
	v_add_co_ci_u32_e32 v14, vcc_lo, v14, v35, vcc_lo
	s_delay_alu instid0(VALU_DEP_4) | instskip(NEXT) | instid1(VALU_DEP_4)
	v_add_co_u32 v15, vcc_lo, v16, v15
	v_add_co_ci_u32_e32 v16, vcc_lo, 0, v17, vcc_lo
	s_delay_alu instid0(VALU_DEP_4) | instskip(NEXT) | instid1(VALU_DEP_3)
	v_xor_b32_e32 v17, v13, v35
	v_add_co_u32 v15, vcc_lo, v11, v15
	s_delay_alu instid0(VALU_DEP_3) | instskip(SKIP_1) | instid1(VALU_DEP_3)
	v_add_co_ci_u32_e32 v18, vcc_lo, v12, v16, vcc_lo
	v_xor_b32_e32 v24, v14, v35
	v_mul_hi_u32 v36, v17, v15
	s_delay_alu instid0(VALU_DEP_3) | instskip(NEXT) | instid1(VALU_DEP_3)
	v_mad_u64_u32 v[11:12], null, v17, v18, 0
	v_mad_u64_u32 v[13:14], null, v24, v15, 0
	;; [unrolled: 1-line block ×3, first 2 shown]
	s_delay_alu instid0(VALU_DEP_3) | instskip(NEXT) | instid1(VALU_DEP_4)
	v_add_co_u32 v11, vcc_lo, v36, v11
	v_add_co_ci_u32_e32 v12, vcc_lo, 0, v12, vcc_lo
	s_delay_alu instid0(VALU_DEP_2) | instskip(NEXT) | instid1(VALU_DEP_2)
	v_add_co_u32 v11, vcc_lo, v11, v13
	v_add_co_ci_u32_e32 v11, vcc_lo, v12, v14, vcc_lo
	v_add_co_ci_u32_e32 v12, vcc_lo, 0, v16, vcc_lo
	s_delay_alu instid0(VALU_DEP_2) | instskip(NEXT) | instid1(VALU_DEP_2)
	v_add_co_u32 v13, vcc_lo, v11, v15
	v_add_co_ci_u32_e32 v14, vcc_lo, 0, v12, vcc_lo
	s_delay_alu instid0(VALU_DEP_2) | instskip(SKIP_1) | instid1(VALU_DEP_3)
	v_mul_lo_u32 v15, s3, v13
	v_mad_u64_u32 v[11:12], null, s2, v13, 0
	v_mul_lo_u32 v13, s2, v14
	s_delay_alu instid0(VALU_DEP_2) | instskip(NEXT) | instid1(VALU_DEP_2)
	v_sub_co_u32 v11, vcc_lo, v17, v11
	v_add3_u32 v12, v12, v13, v15
	s_delay_alu instid0(VALU_DEP_1) | instskip(NEXT) | instid1(VALU_DEP_1)
	v_sub_nc_u32_e32 v13, v24, v12
	v_subrev_co_ci_u32_e64 v13, s0, s3, v13, vcc_lo
	v_sub_co_ci_u32_e32 v12, vcc_lo, v24, v12, vcc_lo
	v_sub_co_u32 v14, vcc_lo, v11, s2
	s_delay_alu instid0(VALU_DEP_1) | instskip(SKIP_3) | instid1(VALU_DEP_3)
	v_subrev_co_ci_u32_e64 v15, s0, 0, v13, vcc_lo
	v_cmp_le_u32_e64 s0, s2, v11
	v_subrev_co_ci_u32_e32 v13, vcc_lo, s3, v13, vcc_lo
	v_cmp_le_u32_e32 vcc_lo, s3, v12
	v_cndmask_b32_e64 v16, 0, -1, s0
	v_cmp_le_u32_e64 s0, s2, v14
	v_cndmask_b32_e64 v24, 0, -1, vcc_lo
	v_cmp_eq_u32_e32 vcc_lo, s3, v15
	s_delay_alu instid0(VALU_DEP_3) | instskip(SKIP_1) | instid1(VALU_DEP_1)
	v_cndmask_b32_e64 v17, 0, -1, s0
	v_cmp_le_u32_e64 s0, s3, v15
	v_cndmask_b32_e64 v18, 0, -1, s0
	v_cmp_eq_u32_e64 s0, s3, v12
	s_delay_alu instid0(VALU_DEP_2) | instskip(SKIP_2) | instid1(VALU_DEP_3)
	v_cndmask_b32_e32 v17, v18, v17, vcc_lo
	v_sub_co_u32 v18, vcc_lo, v14, s2
	v_subrev_co_ci_u32_e32 v13, vcc_lo, 0, v13, vcc_lo
	v_cmp_ne_u32_e32 vcc_lo, 0, v17
	v_cndmask_b32_e64 v16, v24, v16, s0
	s_delay_alu instid0(VALU_DEP_3) | instskip(NEXT) | instid1(VALU_DEP_2)
	v_dual_cndmask_b32 v13, v15, v13 :: v_dual_cndmask_b32 v14, v14, v18
	v_cmp_ne_u32_e32 vcc_lo, 0, v16
	s_delay_alu instid0(VALU_DEP_2) | instskip(NEXT) | instid1(VALU_DEP_1)
	v_dual_cndmask_b32 v11, v11, v14 :: v_dual_cndmask_b32 v12, v12, v13
                                        ; implicit-def: $vgpr13_vgpr14
	v_xor_b32_e32 v11, v11, v35
	s_delay_alu instid0(VALU_DEP_2) | instskip(NEXT) | instid1(VALU_DEP_2)
	v_xor_b32_e32 v12, v12, v35
	v_sub_co_u32 v11, vcc_lo, v11, v35
	s_delay_alu instid0(VALU_DEP_2)
	v_sub_co_ci_u32_e32 v12, vcc_lo, v12, v35, vcc_lo
.LBB26_31:                              ;   in Loop: Header=BB26_9 Depth=1
	s_and_not1_saveexec_b32 s0, s1
	s_cbranch_execz .LBB26_33
; %bb.32:                               ;   in Loop: Header=BB26_9 Depth=1
	v_cvt_f32_u32_e32 v11, s20
	s_sub_i32 s1, 0, s20
	s_delay_alu instid0(VALU_DEP_1) | instskip(SKIP_2) | instid1(VALU_DEP_1)
	v_rcp_iflag_f32_e32 v11, v11
	s_waitcnt_depctr 0xfff
	v_mul_f32_e32 v11, 0x4f7ffffe, v11
	v_cvt_u32_f32_e32 v11, v11
	s_delay_alu instid0(VALU_DEP_1) | instskip(NEXT) | instid1(VALU_DEP_1)
	v_mul_lo_u32 v12, s1, v11
	v_mul_hi_u32 v12, v11, v12
	s_delay_alu instid0(VALU_DEP_1) | instskip(NEXT) | instid1(VALU_DEP_1)
	v_add_nc_u32_e32 v11, v11, v12
	v_mul_hi_u32 v11, v13, v11
	s_delay_alu instid0(VALU_DEP_1) | instskip(NEXT) | instid1(VALU_DEP_1)
	v_mul_lo_u32 v11, v11, s20
	v_sub_nc_u32_e32 v11, v13, v11
	s_delay_alu instid0(VALU_DEP_1) | instskip(SKIP_1) | instid1(VALU_DEP_2)
	v_subrev_nc_u32_e32 v12, s20, v11
	v_cmp_le_u32_e32 vcc_lo, s20, v11
	v_cndmask_b32_e32 v11, v11, v12, vcc_lo
	s_delay_alu instid0(VALU_DEP_1) | instskip(SKIP_1) | instid1(VALU_DEP_2)
	v_subrev_nc_u32_e32 v12, s20, v11
	v_cmp_le_u32_e32 vcc_lo, s20, v11
	v_cndmask_b32_e32 v11, v11, v12, vcc_lo
	v_mov_b32_e32 v12, v23
.LBB26_33:                              ;   in Loop: Header=BB26_9 Depth=1
	s_or_b32 exec_lo, exec_lo, s0
                                        ; kill: def $vgpr13 killed $sgpr0 killed $exec
	s_delay_alu instid0(SALU_CYCLE_1)
	s_and_not1_b32 vcc_lo, exec_lo, s50
	s_cbranch_vccnz .LBB26_25
.LBB26_34:                              ;   in Loop: Header=BB26_9 Depth=1
	v_add_co_u32 v13, s0, v0, s65
	s_delay_alu instid0(VALU_DEP_1) | instskip(SKIP_2) | instid1(VALU_DEP_3)
	v_add_co_ci_u32_e64 v14, null, 0, s67, s0
	v_mul_lo_u32 v24, s24, v30
	v_mul_lo_u32 v37, s25, v29
	v_mad_u64_u32 v[35:36], null, s24, v29, v[13:14]
                                        ; kill: def $vgpr13_vgpr14 killed $sgpr0_sgpr1 killed $exec
	s_mov_b32 s0, exec_lo
	s_delay_alu instid0(VALU_DEP_1) | instskip(NEXT) | instid1(VALU_DEP_1)
	v_add3_u32 v36, v37, v36, v24
	v_or_b32_e32 v24, s21, v36
	s_delay_alu instid0(VALU_DEP_1)
	v_cmpx_ne_u64_e32 0, v[23:24]
	s_xor_b32 s1, exec_lo, s0
	s_cbranch_execz .LBB26_36
; %bb.35:                               ;   in Loop: Header=BB26_9 Depth=1
	s_ashr_i32 s2, s21, 31
	s_delay_alu instid0(SALU_CYCLE_1) | instskip(SKIP_2) | instid1(SALU_CYCLE_1)
	s_add_u32 s34, s20, s2
	s_mov_b32 s3, s2
	s_addc_u32 s35, s21, s2
	s_xor_b64 s[2:3], s[34:35], s[2:3]
	s_delay_alu instid0(SALU_CYCLE_1) | instskip(SKIP_3) | instid1(VALU_DEP_1)
	v_cvt_f32_u32_e32 v13, s2
	v_cvt_f32_u32_e32 v14, s3
	s_sub_u32 s0, 0, s2
	s_subb_u32 s34, 0, s3
	v_fmac_f32_e32 v13, 0x4f800000, v14
	s_delay_alu instid0(VALU_DEP_1) | instskip(SKIP_2) | instid1(VALU_DEP_1)
	v_rcp_f32_e32 v13, v13
	s_waitcnt_depctr 0xfff
	v_mul_f32_e32 v13, 0x5f7ffffc, v13
	v_mul_f32_e32 v14, 0x2f800000, v13
	s_delay_alu instid0(VALU_DEP_1) | instskip(NEXT) | instid1(VALU_DEP_1)
	v_trunc_f32_e32 v14, v14
	v_fmac_f32_e32 v13, 0xcf800000, v14
	v_cvt_u32_f32_e32 v14, v14
	s_delay_alu instid0(VALU_DEP_2) | instskip(NEXT) | instid1(VALU_DEP_2)
	v_cvt_u32_f32_e32 v13, v13
	v_mul_lo_u32 v24, s0, v14
	s_delay_alu instid0(VALU_DEP_2) | instskip(SKIP_1) | instid1(VALU_DEP_2)
	v_mul_hi_u32 v37, s0, v13
	v_mul_lo_u32 v38, s34, v13
	v_add_nc_u32_e32 v24, v37, v24
	v_mul_lo_u32 v37, s0, v13
	s_delay_alu instid0(VALU_DEP_2) | instskip(NEXT) | instid1(VALU_DEP_2)
	v_add_nc_u32_e32 v24, v24, v38
	v_mul_hi_u32 v38, v13, v37
	s_delay_alu instid0(VALU_DEP_2)
	v_mul_lo_u32 v39, v13, v24
	v_mul_hi_u32 v40, v13, v24
	v_mul_hi_u32 v41, v14, v37
	v_mul_lo_u32 v37, v14, v37
	v_mul_hi_u32 v42, v14, v24
	v_mul_lo_u32 v24, v14, v24
	v_add_co_u32 v38, vcc_lo, v38, v39
	v_add_co_ci_u32_e32 v39, vcc_lo, 0, v40, vcc_lo
	s_delay_alu instid0(VALU_DEP_2) | instskip(NEXT) | instid1(VALU_DEP_2)
	v_add_co_u32 v37, vcc_lo, v38, v37
	v_add_co_ci_u32_e32 v37, vcc_lo, v39, v41, vcc_lo
	v_add_co_ci_u32_e32 v38, vcc_lo, 0, v42, vcc_lo
	v_ashrrev_i32_e32 v41, 31, v36
	s_delay_alu instid0(VALU_DEP_3) | instskip(NEXT) | instid1(VALU_DEP_3)
	v_add_co_u32 v24, vcc_lo, v37, v24
	v_add_co_ci_u32_e32 v37, vcc_lo, 0, v38, vcc_lo
	s_delay_alu instid0(VALU_DEP_2) | instskip(NEXT) | instid1(VALU_DEP_2)
	v_add_co_u32 v13, vcc_lo, v13, v24
	v_add_co_ci_u32_e32 v14, vcc_lo, v14, v37, vcc_lo
	s_delay_alu instid0(VALU_DEP_2) | instskip(SKIP_1) | instid1(VALU_DEP_3)
	v_mul_hi_u32 v24, s0, v13
	v_mul_lo_u32 v38, s34, v13
	v_mul_lo_u32 v37, s0, v14
	s_delay_alu instid0(VALU_DEP_1) | instskip(SKIP_1) | instid1(VALU_DEP_2)
	v_add_nc_u32_e32 v24, v24, v37
	v_mul_lo_u32 v37, s0, v13
	v_add_nc_u32_e32 v24, v24, v38
	s_delay_alu instid0(VALU_DEP_2) | instskip(NEXT) | instid1(VALU_DEP_2)
	v_mul_hi_u32 v38, v13, v37
	v_mul_lo_u32 v39, v13, v24
	v_mul_hi_u32 v40, v13, v24
	v_mul_hi_u32 v42, v14, v37
	v_mul_lo_u32 v37, v14, v37
	v_mul_hi_u32 v43, v14, v24
	v_mul_lo_u32 v24, v14, v24
	v_add_co_u32 v38, vcc_lo, v38, v39
	v_add_co_ci_u32_e32 v39, vcc_lo, 0, v40, vcc_lo
	s_delay_alu instid0(VALU_DEP_2) | instskip(NEXT) | instid1(VALU_DEP_2)
	v_add_co_u32 v37, vcc_lo, v38, v37
	v_add_co_ci_u32_e32 v37, vcc_lo, v39, v42, vcc_lo
	v_add_co_ci_u32_e32 v38, vcc_lo, 0, v43, vcc_lo
	v_add_co_u32 v35, vcc_lo, v35, v41
	v_add_co_ci_u32_e32 v36, vcc_lo, v36, v41, vcc_lo
	s_delay_alu instid0(VALU_DEP_4) | instskip(NEXT) | instid1(VALU_DEP_4)
	v_add_co_u32 v24, vcc_lo, v37, v24
	v_add_co_ci_u32_e32 v37, vcc_lo, 0, v38, vcc_lo
	s_delay_alu instid0(VALU_DEP_4) | instskip(NEXT) | instid1(VALU_DEP_3)
	v_xor_b32_e32 v39, v35, v41
	v_add_co_u32 v24, vcc_lo, v13, v24
	s_delay_alu instid0(VALU_DEP_3) | instskip(SKIP_1) | instid1(VALU_DEP_3)
	v_add_co_ci_u32_e32 v40, vcc_lo, v14, v37, vcc_lo
	v_xor_b32_e32 v42, v36, v41
	v_mul_hi_u32 v43, v39, v24
	s_delay_alu instid0(VALU_DEP_3) | instskip(NEXT) | instid1(VALU_DEP_3)
	v_mad_u64_u32 v[13:14], null, v39, v40, 0
	v_mad_u64_u32 v[35:36], null, v42, v24, 0
	;; [unrolled: 1-line block ×3, first 2 shown]
	s_delay_alu instid0(VALU_DEP_3) | instskip(NEXT) | instid1(VALU_DEP_4)
	v_add_co_u32 v13, vcc_lo, v43, v13
	v_add_co_ci_u32_e32 v14, vcc_lo, 0, v14, vcc_lo
	s_delay_alu instid0(VALU_DEP_2) | instskip(NEXT) | instid1(VALU_DEP_2)
	v_add_co_u32 v13, vcc_lo, v13, v35
	v_add_co_ci_u32_e32 v13, vcc_lo, v14, v36, vcc_lo
	v_add_co_ci_u32_e32 v14, vcc_lo, 0, v38, vcc_lo
	s_delay_alu instid0(VALU_DEP_2) | instskip(NEXT) | instid1(VALU_DEP_2)
	v_add_co_u32 v24, vcc_lo, v13, v37
	v_add_co_ci_u32_e32 v35, vcc_lo, 0, v14, vcc_lo
	s_delay_alu instid0(VALU_DEP_2) | instskip(SKIP_1) | instid1(VALU_DEP_3)
	v_mul_lo_u32 v36, s3, v24
	v_mad_u64_u32 v[13:14], null, s2, v24, 0
	v_mul_lo_u32 v24, s2, v35
	s_delay_alu instid0(VALU_DEP_2) | instskip(NEXT) | instid1(VALU_DEP_2)
	v_sub_co_u32 v13, vcc_lo, v39, v13
	v_add3_u32 v14, v14, v24, v36
	s_delay_alu instid0(VALU_DEP_1) | instskip(NEXT) | instid1(VALU_DEP_1)
	v_sub_nc_u32_e32 v24, v42, v14
	v_subrev_co_ci_u32_e64 v24, s0, s3, v24, vcc_lo
	v_sub_co_ci_u32_e32 v14, vcc_lo, v42, v14, vcc_lo
	v_sub_co_u32 v35, vcc_lo, v13, s2
	s_delay_alu instid0(VALU_DEP_1) | instskip(SKIP_3) | instid1(VALU_DEP_3)
	v_subrev_co_ci_u32_e64 v36, s0, 0, v24, vcc_lo
	v_cmp_le_u32_e64 s0, s2, v13
	v_subrev_co_ci_u32_e32 v24, vcc_lo, s3, v24, vcc_lo
	v_cmp_le_u32_e32 vcc_lo, s3, v14
	v_cndmask_b32_e64 v37, 0, -1, s0
	v_cmp_le_u32_e64 s0, s2, v35
	v_cndmask_b32_e64 v40, 0, -1, vcc_lo
	v_cmp_eq_u32_e32 vcc_lo, s3, v36
	s_delay_alu instid0(VALU_DEP_3) | instskip(SKIP_1) | instid1(VALU_DEP_1)
	v_cndmask_b32_e64 v38, 0, -1, s0
	v_cmp_le_u32_e64 s0, s3, v36
	v_cndmask_b32_e64 v39, 0, -1, s0
	v_cmp_eq_u32_e64 s0, s3, v14
	s_delay_alu instid0(VALU_DEP_2) | instskip(SKIP_2) | instid1(VALU_DEP_3)
	v_cndmask_b32_e32 v38, v39, v38, vcc_lo
	v_sub_co_u32 v39, vcc_lo, v35, s2
	v_subrev_co_ci_u32_e32 v24, vcc_lo, 0, v24, vcc_lo
	v_cmp_ne_u32_e32 vcc_lo, 0, v38
	v_cndmask_b32_e64 v37, v40, v37, s0
	s_delay_alu instid0(VALU_DEP_3) | instskip(NEXT) | instid1(VALU_DEP_2)
	v_dual_cndmask_b32 v24, v36, v24 :: v_dual_cndmask_b32 v35, v35, v39
	v_cmp_ne_u32_e32 vcc_lo, 0, v37
	s_delay_alu instid0(VALU_DEP_2) | instskip(NEXT) | instid1(VALU_DEP_1)
	v_dual_cndmask_b32 v13, v13, v35 :: v_dual_cndmask_b32 v14, v14, v24
                                        ; implicit-def: $vgpr35_vgpr36
	v_xor_b32_e32 v13, v13, v41
	s_delay_alu instid0(VALU_DEP_2) | instskip(NEXT) | instid1(VALU_DEP_2)
	v_xor_b32_e32 v14, v14, v41
	v_sub_co_u32 v13, vcc_lo, v13, v41
	s_delay_alu instid0(VALU_DEP_2)
	v_sub_co_ci_u32_e32 v14, vcc_lo, v14, v41, vcc_lo
.LBB26_36:                              ;   in Loop: Header=BB26_9 Depth=1
	s_and_not1_saveexec_b32 s0, s1
	s_cbranch_execz .LBB26_38
; %bb.37:                               ;   in Loop: Header=BB26_9 Depth=1
	v_cvt_f32_u32_e32 v13, s20
	s_sub_i32 s1, 0, s20
	s_delay_alu instid0(VALU_DEP_1) | instskip(SKIP_2) | instid1(VALU_DEP_1)
	v_rcp_iflag_f32_e32 v13, v13
	s_waitcnt_depctr 0xfff
	v_mul_f32_e32 v13, 0x4f7ffffe, v13
	v_cvt_u32_f32_e32 v13, v13
	s_delay_alu instid0(VALU_DEP_1) | instskip(NEXT) | instid1(VALU_DEP_1)
	v_mul_lo_u32 v14, s1, v13
	v_mul_hi_u32 v14, v13, v14
	s_delay_alu instid0(VALU_DEP_1) | instskip(NEXT) | instid1(VALU_DEP_1)
	v_add_nc_u32_e32 v13, v13, v14
	v_mul_hi_u32 v13, v35, v13
	s_delay_alu instid0(VALU_DEP_1) | instskip(NEXT) | instid1(VALU_DEP_1)
	v_mul_lo_u32 v13, v13, s20
	v_sub_nc_u32_e32 v13, v35, v13
	s_delay_alu instid0(VALU_DEP_1) | instskip(SKIP_1) | instid1(VALU_DEP_2)
	v_subrev_nc_u32_e32 v14, s20, v13
	v_cmp_le_u32_e32 vcc_lo, s20, v13
	v_cndmask_b32_e32 v13, v13, v14, vcc_lo
	s_delay_alu instid0(VALU_DEP_1) | instskip(SKIP_1) | instid1(VALU_DEP_2)
	v_subrev_nc_u32_e32 v14, s20, v13
	v_cmp_le_u32_e32 vcc_lo, s20, v13
	v_dual_cndmask_b32 v13, v13, v14 :: v_dual_mov_b32 v14, v23
.LBB26_38:                              ;   in Loop: Header=BB26_9 Depth=1
	s_or_b32 exec_lo, exec_lo, s0
	s_delay_alu instid0(SALU_CYCLE_1)
	s_and_not1_b32 vcc_lo, exec_lo, s50
	s_cbranch_vccnz .LBB26_26
.LBB26_39:                              ;   in Loop: Header=BB26_9 Depth=1
	v_add_co_u32 v15, s0, v0, s61
	s_delay_alu instid0(VALU_DEP_1) | instskip(SKIP_2) | instid1(VALU_DEP_3)
	v_add_co_ci_u32_e64 v16, null, 0, s62, s0
	v_mul_lo_u32 v24, s24, v32
	v_mul_lo_u32 v37, s25, v31
	v_mad_u64_u32 v[35:36], null, s24, v31, v[15:16]
                                        ; kill: def $vgpr15_vgpr16 killed $sgpr0_sgpr1 killed $exec
	s_mov_b32 s0, exec_lo
	s_delay_alu instid0(VALU_DEP_1) | instskip(NEXT) | instid1(VALU_DEP_1)
	v_add3_u32 v36, v37, v36, v24
	v_or_b32_e32 v24, s21, v36
	s_delay_alu instid0(VALU_DEP_1)
	v_cmpx_ne_u64_e32 0, v[23:24]
	s_xor_b32 s1, exec_lo, s0
	s_cbranch_execz .LBB26_41
; %bb.40:                               ;   in Loop: Header=BB26_9 Depth=1
	s_ashr_i32 s2, s21, 31
	s_delay_alu instid0(SALU_CYCLE_1) | instskip(SKIP_2) | instid1(SALU_CYCLE_1)
	s_add_u32 s34, s20, s2
	s_mov_b32 s3, s2
	s_addc_u32 s35, s21, s2
	s_xor_b64 s[2:3], s[34:35], s[2:3]
	s_delay_alu instid0(SALU_CYCLE_1) | instskip(SKIP_3) | instid1(VALU_DEP_1)
	v_cvt_f32_u32_e32 v15, s2
	v_cvt_f32_u32_e32 v16, s3
	s_sub_u32 s0, 0, s2
	s_subb_u32 s34, 0, s3
	v_fmac_f32_e32 v15, 0x4f800000, v16
	s_delay_alu instid0(VALU_DEP_1) | instskip(SKIP_2) | instid1(VALU_DEP_1)
	v_rcp_f32_e32 v15, v15
	s_waitcnt_depctr 0xfff
	v_mul_f32_e32 v15, 0x5f7ffffc, v15
	v_mul_f32_e32 v16, 0x2f800000, v15
	s_delay_alu instid0(VALU_DEP_1) | instskip(NEXT) | instid1(VALU_DEP_1)
	v_trunc_f32_e32 v16, v16
	v_fmac_f32_e32 v15, 0xcf800000, v16
	v_cvt_u32_f32_e32 v16, v16
	s_delay_alu instid0(VALU_DEP_2) | instskip(NEXT) | instid1(VALU_DEP_2)
	v_cvt_u32_f32_e32 v15, v15
	v_mul_lo_u32 v24, s0, v16
	s_delay_alu instid0(VALU_DEP_2) | instskip(SKIP_1) | instid1(VALU_DEP_2)
	v_mul_hi_u32 v37, s0, v15
	v_mul_lo_u32 v38, s34, v15
	v_add_nc_u32_e32 v24, v37, v24
	v_mul_lo_u32 v37, s0, v15
	s_delay_alu instid0(VALU_DEP_2) | instskip(NEXT) | instid1(VALU_DEP_2)
	v_add_nc_u32_e32 v24, v24, v38
	v_mul_hi_u32 v38, v15, v37
	s_delay_alu instid0(VALU_DEP_2)
	v_mul_lo_u32 v39, v15, v24
	v_mul_hi_u32 v40, v15, v24
	v_mul_hi_u32 v41, v16, v37
	v_mul_lo_u32 v37, v16, v37
	v_mul_hi_u32 v42, v16, v24
	v_mul_lo_u32 v24, v16, v24
	v_add_co_u32 v38, vcc_lo, v38, v39
	v_add_co_ci_u32_e32 v39, vcc_lo, 0, v40, vcc_lo
	s_delay_alu instid0(VALU_DEP_2) | instskip(NEXT) | instid1(VALU_DEP_2)
	v_add_co_u32 v37, vcc_lo, v38, v37
	v_add_co_ci_u32_e32 v37, vcc_lo, v39, v41, vcc_lo
	v_add_co_ci_u32_e32 v38, vcc_lo, 0, v42, vcc_lo
	v_ashrrev_i32_e32 v41, 31, v36
	s_delay_alu instid0(VALU_DEP_3) | instskip(NEXT) | instid1(VALU_DEP_3)
	v_add_co_u32 v24, vcc_lo, v37, v24
	v_add_co_ci_u32_e32 v37, vcc_lo, 0, v38, vcc_lo
	s_delay_alu instid0(VALU_DEP_2) | instskip(NEXT) | instid1(VALU_DEP_2)
	v_add_co_u32 v15, vcc_lo, v15, v24
	v_add_co_ci_u32_e32 v16, vcc_lo, v16, v37, vcc_lo
	s_delay_alu instid0(VALU_DEP_2) | instskip(SKIP_1) | instid1(VALU_DEP_3)
	v_mul_hi_u32 v24, s0, v15
	v_mul_lo_u32 v38, s34, v15
	v_mul_lo_u32 v37, s0, v16
	s_delay_alu instid0(VALU_DEP_1) | instskip(SKIP_1) | instid1(VALU_DEP_2)
	v_add_nc_u32_e32 v24, v24, v37
	v_mul_lo_u32 v37, s0, v15
	v_add_nc_u32_e32 v24, v24, v38
	s_delay_alu instid0(VALU_DEP_2) | instskip(NEXT) | instid1(VALU_DEP_2)
	v_mul_hi_u32 v38, v15, v37
	v_mul_lo_u32 v39, v15, v24
	v_mul_hi_u32 v40, v15, v24
	v_mul_hi_u32 v42, v16, v37
	v_mul_lo_u32 v37, v16, v37
	v_mul_hi_u32 v43, v16, v24
	v_mul_lo_u32 v24, v16, v24
	v_add_co_u32 v38, vcc_lo, v38, v39
	v_add_co_ci_u32_e32 v39, vcc_lo, 0, v40, vcc_lo
	s_delay_alu instid0(VALU_DEP_2) | instskip(NEXT) | instid1(VALU_DEP_2)
	v_add_co_u32 v37, vcc_lo, v38, v37
	v_add_co_ci_u32_e32 v37, vcc_lo, v39, v42, vcc_lo
	v_add_co_ci_u32_e32 v38, vcc_lo, 0, v43, vcc_lo
	v_add_co_u32 v35, vcc_lo, v35, v41
	v_add_co_ci_u32_e32 v36, vcc_lo, v36, v41, vcc_lo
	s_delay_alu instid0(VALU_DEP_4) | instskip(NEXT) | instid1(VALU_DEP_4)
	v_add_co_u32 v24, vcc_lo, v37, v24
	v_add_co_ci_u32_e32 v37, vcc_lo, 0, v38, vcc_lo
	s_delay_alu instid0(VALU_DEP_4) | instskip(NEXT) | instid1(VALU_DEP_3)
	v_xor_b32_e32 v39, v35, v41
	v_add_co_u32 v24, vcc_lo, v15, v24
	s_delay_alu instid0(VALU_DEP_3) | instskip(SKIP_1) | instid1(VALU_DEP_3)
	v_add_co_ci_u32_e32 v40, vcc_lo, v16, v37, vcc_lo
	v_xor_b32_e32 v42, v36, v41
	v_mul_hi_u32 v43, v39, v24
	s_delay_alu instid0(VALU_DEP_3) | instskip(NEXT) | instid1(VALU_DEP_3)
	v_mad_u64_u32 v[15:16], null, v39, v40, 0
	v_mad_u64_u32 v[35:36], null, v42, v24, 0
	;; [unrolled: 1-line block ×3, first 2 shown]
	s_delay_alu instid0(VALU_DEP_3) | instskip(NEXT) | instid1(VALU_DEP_4)
	v_add_co_u32 v15, vcc_lo, v43, v15
	v_add_co_ci_u32_e32 v16, vcc_lo, 0, v16, vcc_lo
	s_delay_alu instid0(VALU_DEP_2) | instskip(NEXT) | instid1(VALU_DEP_2)
	v_add_co_u32 v15, vcc_lo, v15, v35
	v_add_co_ci_u32_e32 v15, vcc_lo, v16, v36, vcc_lo
	v_add_co_ci_u32_e32 v16, vcc_lo, 0, v38, vcc_lo
	s_delay_alu instid0(VALU_DEP_2) | instskip(NEXT) | instid1(VALU_DEP_2)
	v_add_co_u32 v24, vcc_lo, v15, v37
	v_add_co_ci_u32_e32 v35, vcc_lo, 0, v16, vcc_lo
	s_delay_alu instid0(VALU_DEP_2) | instskip(SKIP_1) | instid1(VALU_DEP_3)
	v_mul_lo_u32 v36, s3, v24
	v_mad_u64_u32 v[15:16], null, s2, v24, 0
	v_mul_lo_u32 v24, s2, v35
	s_delay_alu instid0(VALU_DEP_2) | instskip(NEXT) | instid1(VALU_DEP_2)
	v_sub_co_u32 v15, vcc_lo, v39, v15
	v_add3_u32 v16, v16, v24, v36
	s_delay_alu instid0(VALU_DEP_1) | instskip(NEXT) | instid1(VALU_DEP_1)
	v_sub_nc_u32_e32 v24, v42, v16
	v_subrev_co_ci_u32_e64 v24, s0, s3, v24, vcc_lo
	v_sub_co_ci_u32_e32 v16, vcc_lo, v42, v16, vcc_lo
	v_sub_co_u32 v35, vcc_lo, v15, s2
	s_delay_alu instid0(VALU_DEP_1) | instskip(SKIP_3) | instid1(VALU_DEP_3)
	v_subrev_co_ci_u32_e64 v36, s0, 0, v24, vcc_lo
	v_cmp_le_u32_e64 s0, s2, v15
	v_subrev_co_ci_u32_e32 v24, vcc_lo, s3, v24, vcc_lo
	v_cmp_le_u32_e32 vcc_lo, s3, v16
	v_cndmask_b32_e64 v37, 0, -1, s0
	v_cmp_le_u32_e64 s0, s2, v35
	v_cndmask_b32_e64 v40, 0, -1, vcc_lo
	v_cmp_eq_u32_e32 vcc_lo, s3, v36
	s_delay_alu instid0(VALU_DEP_3) | instskip(SKIP_1) | instid1(VALU_DEP_1)
	v_cndmask_b32_e64 v38, 0, -1, s0
	v_cmp_le_u32_e64 s0, s3, v36
	v_cndmask_b32_e64 v39, 0, -1, s0
	v_cmp_eq_u32_e64 s0, s3, v16
	s_delay_alu instid0(VALU_DEP_2) | instskip(SKIP_2) | instid1(VALU_DEP_3)
	v_cndmask_b32_e32 v38, v39, v38, vcc_lo
	v_sub_co_u32 v39, vcc_lo, v35, s2
	v_subrev_co_ci_u32_e32 v24, vcc_lo, 0, v24, vcc_lo
	v_cmp_ne_u32_e32 vcc_lo, 0, v38
	v_cndmask_b32_e64 v37, v40, v37, s0
	s_delay_alu instid0(VALU_DEP_3) | instskip(NEXT) | instid1(VALU_DEP_2)
	v_dual_cndmask_b32 v35, v35, v39 :: v_dual_cndmask_b32 v24, v36, v24
	v_cmp_ne_u32_e32 vcc_lo, 0, v37
	s_delay_alu instid0(VALU_DEP_2) | instskip(NEXT) | instid1(VALU_DEP_1)
	v_dual_cndmask_b32 v15, v15, v35 :: v_dual_cndmask_b32 v16, v16, v24
                                        ; implicit-def: $vgpr35_vgpr36
	v_xor_b32_e32 v15, v15, v41
	s_delay_alu instid0(VALU_DEP_2) | instskip(NEXT) | instid1(VALU_DEP_2)
	v_xor_b32_e32 v16, v16, v41
	v_sub_co_u32 v15, vcc_lo, v15, v41
	s_delay_alu instid0(VALU_DEP_2)
	v_sub_co_ci_u32_e32 v16, vcc_lo, v16, v41, vcc_lo
.LBB26_41:                              ;   in Loop: Header=BB26_9 Depth=1
	s_and_not1_saveexec_b32 s0, s1
	s_cbranch_execz .LBB26_43
; %bb.42:                               ;   in Loop: Header=BB26_9 Depth=1
	v_cvt_f32_u32_e32 v15, s20
	s_sub_i32 s1, 0, s20
	s_delay_alu instid0(VALU_DEP_1) | instskip(SKIP_2) | instid1(VALU_DEP_1)
	v_rcp_iflag_f32_e32 v15, v15
	s_waitcnt_depctr 0xfff
	v_mul_f32_e32 v15, 0x4f7ffffe, v15
	v_cvt_u32_f32_e32 v15, v15
	s_delay_alu instid0(VALU_DEP_1) | instskip(NEXT) | instid1(VALU_DEP_1)
	v_mul_lo_u32 v16, s1, v15
	v_mul_hi_u32 v16, v15, v16
	s_delay_alu instid0(VALU_DEP_1) | instskip(NEXT) | instid1(VALU_DEP_1)
	v_add_nc_u32_e32 v15, v15, v16
	v_mul_hi_u32 v15, v35, v15
	s_delay_alu instid0(VALU_DEP_1) | instskip(NEXT) | instid1(VALU_DEP_1)
	v_mul_lo_u32 v15, v15, s20
	v_sub_nc_u32_e32 v15, v35, v15
	s_delay_alu instid0(VALU_DEP_1) | instskip(SKIP_1) | instid1(VALU_DEP_2)
	v_subrev_nc_u32_e32 v16, s20, v15
	v_cmp_le_u32_e32 vcc_lo, s20, v15
	v_cndmask_b32_e32 v15, v15, v16, vcc_lo
	s_delay_alu instid0(VALU_DEP_1) | instskip(SKIP_1) | instid1(VALU_DEP_2)
	v_subrev_nc_u32_e32 v16, s20, v15
	v_cmp_le_u32_e32 vcc_lo, s20, v15
	v_cndmask_b32_e32 v15, v15, v16, vcc_lo
	v_mov_b32_e32 v16, v23
.LBB26_43:                              ;   in Loop: Header=BB26_9 Depth=1
	s_or_b32 exec_lo, exec_lo, s0
	s_delay_alu instid0(SALU_CYCLE_1)
	s_and_not1_b32 vcc_lo, exec_lo, s50
	s_cbranch_vccnz .LBB26_8
.LBB26_44:                              ;   in Loop: Header=BB26_9 Depth=1
	v_add_co_u32 v17, s0, v0, s63
	s_delay_alu instid0(VALU_DEP_1) | instskip(SKIP_2) | instid1(VALU_DEP_3)
	v_add_co_ci_u32_e64 v18, null, 0, s64, s0
	v_mul_lo_u32 v24, s24, v34
	v_mul_lo_u32 v37, s25, v33
	v_mad_u64_u32 v[35:36], null, s24, v33, v[17:18]
                                        ; kill: def $vgpr17_vgpr18 killed $sgpr0_sgpr1 killed $exec
	s_mov_b32 s0, exec_lo
	s_delay_alu instid0(VALU_DEP_1) | instskip(NEXT) | instid1(VALU_DEP_1)
	v_add3_u32 v36, v37, v36, v24
	v_or_b32_e32 v24, s21, v36
	s_delay_alu instid0(VALU_DEP_1)
	v_cmpx_ne_u64_e32 0, v[23:24]
	s_xor_b32 s1, exec_lo, s0
	s_cbranch_execz .LBB26_46
; %bb.45:                               ;   in Loop: Header=BB26_9 Depth=1
	s_ashr_i32 s2, s21, 31
	s_delay_alu instid0(SALU_CYCLE_1) | instskip(SKIP_2) | instid1(SALU_CYCLE_1)
	s_add_u32 s34, s20, s2
	s_mov_b32 s3, s2
	s_addc_u32 s35, s21, s2
	s_xor_b64 s[2:3], s[34:35], s[2:3]
	s_delay_alu instid0(SALU_CYCLE_1) | instskip(SKIP_3) | instid1(VALU_DEP_1)
	v_cvt_f32_u32_e32 v17, s2
	v_cvt_f32_u32_e32 v18, s3
	s_sub_u32 s0, 0, s2
	s_subb_u32 s34, 0, s3
	v_fmac_f32_e32 v17, 0x4f800000, v18
	s_delay_alu instid0(VALU_DEP_1) | instskip(SKIP_2) | instid1(VALU_DEP_1)
	v_rcp_f32_e32 v17, v17
	s_waitcnt_depctr 0xfff
	v_mul_f32_e32 v17, 0x5f7ffffc, v17
	v_mul_f32_e32 v18, 0x2f800000, v17
	s_delay_alu instid0(VALU_DEP_1) | instskip(NEXT) | instid1(VALU_DEP_1)
	v_trunc_f32_e32 v18, v18
	v_fmac_f32_e32 v17, 0xcf800000, v18
	v_cvt_u32_f32_e32 v18, v18
	s_delay_alu instid0(VALU_DEP_2) | instskip(NEXT) | instid1(VALU_DEP_2)
	v_cvt_u32_f32_e32 v17, v17
	v_mul_lo_u32 v24, s0, v18
	s_delay_alu instid0(VALU_DEP_2) | instskip(SKIP_1) | instid1(VALU_DEP_2)
	v_mul_hi_u32 v37, s0, v17
	v_mul_lo_u32 v38, s34, v17
	v_add_nc_u32_e32 v24, v37, v24
	v_mul_lo_u32 v37, s0, v17
	s_delay_alu instid0(VALU_DEP_2) | instskip(NEXT) | instid1(VALU_DEP_2)
	v_add_nc_u32_e32 v24, v24, v38
	v_mul_hi_u32 v38, v17, v37
	s_delay_alu instid0(VALU_DEP_2)
	v_mul_lo_u32 v39, v17, v24
	v_mul_hi_u32 v40, v17, v24
	v_mul_hi_u32 v41, v18, v37
	v_mul_lo_u32 v37, v18, v37
	v_mul_hi_u32 v42, v18, v24
	v_mul_lo_u32 v24, v18, v24
	v_add_co_u32 v38, vcc_lo, v38, v39
	v_add_co_ci_u32_e32 v39, vcc_lo, 0, v40, vcc_lo
	s_delay_alu instid0(VALU_DEP_2) | instskip(NEXT) | instid1(VALU_DEP_2)
	v_add_co_u32 v37, vcc_lo, v38, v37
	v_add_co_ci_u32_e32 v37, vcc_lo, v39, v41, vcc_lo
	v_add_co_ci_u32_e32 v38, vcc_lo, 0, v42, vcc_lo
	v_ashrrev_i32_e32 v41, 31, v36
	s_delay_alu instid0(VALU_DEP_3) | instskip(NEXT) | instid1(VALU_DEP_3)
	v_add_co_u32 v24, vcc_lo, v37, v24
	v_add_co_ci_u32_e32 v37, vcc_lo, 0, v38, vcc_lo
	s_delay_alu instid0(VALU_DEP_2) | instskip(NEXT) | instid1(VALU_DEP_2)
	v_add_co_u32 v17, vcc_lo, v17, v24
	v_add_co_ci_u32_e32 v18, vcc_lo, v18, v37, vcc_lo
	s_delay_alu instid0(VALU_DEP_2) | instskip(SKIP_1) | instid1(VALU_DEP_3)
	v_mul_hi_u32 v24, s0, v17
	v_mul_lo_u32 v38, s34, v17
	v_mul_lo_u32 v37, s0, v18
	s_delay_alu instid0(VALU_DEP_1) | instskip(SKIP_1) | instid1(VALU_DEP_2)
	v_add_nc_u32_e32 v24, v24, v37
	v_mul_lo_u32 v37, s0, v17
	v_add_nc_u32_e32 v24, v24, v38
	s_delay_alu instid0(VALU_DEP_2) | instskip(NEXT) | instid1(VALU_DEP_2)
	v_mul_hi_u32 v38, v17, v37
	v_mul_lo_u32 v39, v17, v24
	v_mul_hi_u32 v40, v17, v24
	v_mul_hi_u32 v42, v18, v37
	v_mul_lo_u32 v37, v18, v37
	v_mul_hi_u32 v43, v18, v24
	v_mul_lo_u32 v24, v18, v24
	v_add_co_u32 v38, vcc_lo, v38, v39
	v_add_co_ci_u32_e32 v39, vcc_lo, 0, v40, vcc_lo
	s_delay_alu instid0(VALU_DEP_2) | instskip(NEXT) | instid1(VALU_DEP_2)
	v_add_co_u32 v37, vcc_lo, v38, v37
	v_add_co_ci_u32_e32 v37, vcc_lo, v39, v42, vcc_lo
	v_add_co_ci_u32_e32 v38, vcc_lo, 0, v43, vcc_lo
	v_add_co_u32 v35, vcc_lo, v35, v41
	v_add_co_ci_u32_e32 v36, vcc_lo, v36, v41, vcc_lo
	s_delay_alu instid0(VALU_DEP_4) | instskip(NEXT) | instid1(VALU_DEP_4)
	v_add_co_u32 v24, vcc_lo, v37, v24
	v_add_co_ci_u32_e32 v37, vcc_lo, 0, v38, vcc_lo
	s_delay_alu instid0(VALU_DEP_4) | instskip(NEXT) | instid1(VALU_DEP_3)
	v_xor_b32_e32 v39, v35, v41
	v_add_co_u32 v24, vcc_lo, v17, v24
	s_delay_alu instid0(VALU_DEP_3) | instskip(SKIP_1) | instid1(VALU_DEP_3)
	v_add_co_ci_u32_e32 v40, vcc_lo, v18, v37, vcc_lo
	v_xor_b32_e32 v42, v36, v41
	v_mul_hi_u32 v43, v39, v24
	s_delay_alu instid0(VALU_DEP_3) | instskip(NEXT) | instid1(VALU_DEP_3)
	v_mad_u64_u32 v[17:18], null, v39, v40, 0
	v_mad_u64_u32 v[35:36], null, v42, v24, 0
	;; [unrolled: 1-line block ×3, first 2 shown]
	s_delay_alu instid0(VALU_DEP_3) | instskip(NEXT) | instid1(VALU_DEP_4)
	v_add_co_u32 v17, vcc_lo, v43, v17
	v_add_co_ci_u32_e32 v18, vcc_lo, 0, v18, vcc_lo
	s_delay_alu instid0(VALU_DEP_2) | instskip(NEXT) | instid1(VALU_DEP_2)
	v_add_co_u32 v17, vcc_lo, v17, v35
	v_add_co_ci_u32_e32 v17, vcc_lo, v18, v36, vcc_lo
	v_add_co_ci_u32_e32 v18, vcc_lo, 0, v38, vcc_lo
	s_delay_alu instid0(VALU_DEP_2) | instskip(NEXT) | instid1(VALU_DEP_2)
	v_add_co_u32 v24, vcc_lo, v17, v37
	v_add_co_ci_u32_e32 v35, vcc_lo, 0, v18, vcc_lo
	s_delay_alu instid0(VALU_DEP_2) | instskip(SKIP_1) | instid1(VALU_DEP_3)
	v_mul_lo_u32 v36, s3, v24
	v_mad_u64_u32 v[17:18], null, s2, v24, 0
	v_mul_lo_u32 v24, s2, v35
	s_delay_alu instid0(VALU_DEP_2) | instskip(NEXT) | instid1(VALU_DEP_2)
	v_sub_co_u32 v17, vcc_lo, v39, v17
	v_add3_u32 v18, v18, v24, v36
	s_delay_alu instid0(VALU_DEP_1) | instskip(NEXT) | instid1(VALU_DEP_1)
	v_sub_nc_u32_e32 v24, v42, v18
	v_subrev_co_ci_u32_e64 v24, s0, s3, v24, vcc_lo
	v_sub_co_ci_u32_e32 v18, vcc_lo, v42, v18, vcc_lo
	v_sub_co_u32 v35, vcc_lo, v17, s2
	s_delay_alu instid0(VALU_DEP_1) | instskip(SKIP_3) | instid1(VALU_DEP_3)
	v_subrev_co_ci_u32_e64 v36, s0, 0, v24, vcc_lo
	v_cmp_le_u32_e64 s0, s2, v17
	v_subrev_co_ci_u32_e32 v24, vcc_lo, s3, v24, vcc_lo
	v_cmp_le_u32_e32 vcc_lo, s3, v18
	v_cndmask_b32_e64 v37, 0, -1, s0
	v_cmp_le_u32_e64 s0, s2, v35
	v_cndmask_b32_e64 v40, 0, -1, vcc_lo
	v_cmp_eq_u32_e32 vcc_lo, s3, v36
	s_delay_alu instid0(VALU_DEP_3) | instskip(SKIP_1) | instid1(VALU_DEP_1)
	v_cndmask_b32_e64 v38, 0, -1, s0
	v_cmp_le_u32_e64 s0, s3, v36
	v_cndmask_b32_e64 v39, 0, -1, s0
	v_cmp_eq_u32_e64 s0, s3, v18
	s_delay_alu instid0(VALU_DEP_2) | instskip(SKIP_2) | instid1(VALU_DEP_3)
	v_cndmask_b32_e32 v38, v39, v38, vcc_lo
	v_sub_co_u32 v39, vcc_lo, v35, s2
	v_subrev_co_ci_u32_e32 v24, vcc_lo, 0, v24, vcc_lo
	v_cmp_ne_u32_e32 vcc_lo, 0, v38
	v_cndmask_b32_e64 v37, v40, v37, s0
	s_delay_alu instid0(VALU_DEP_3) | instskip(NEXT) | instid1(VALU_DEP_2)
	v_dual_cndmask_b32 v24, v36, v24 :: v_dual_cndmask_b32 v35, v35, v39
	v_cmp_ne_u32_e32 vcc_lo, 0, v37
	s_delay_alu instid0(VALU_DEP_2) | instskip(NEXT) | instid1(VALU_DEP_1)
	v_dual_cndmask_b32 v17, v17, v35 :: v_dual_cndmask_b32 v18, v18, v24
                                        ; implicit-def: $vgpr35_vgpr36
	v_xor_b32_e32 v17, v17, v41
	s_delay_alu instid0(VALU_DEP_2) | instskip(NEXT) | instid1(VALU_DEP_2)
	v_xor_b32_e32 v18, v18, v41
	v_sub_co_u32 v17, vcc_lo, v17, v41
	s_delay_alu instid0(VALU_DEP_2)
	v_sub_co_ci_u32_e32 v18, vcc_lo, v18, v41, vcc_lo
.LBB26_46:                              ;   in Loop: Header=BB26_9 Depth=1
	s_and_not1_saveexec_b32 s0, s1
	s_cbranch_execz .LBB26_7
; %bb.47:                               ;   in Loop: Header=BB26_9 Depth=1
	v_cvt_f32_u32_e32 v17, s20
	s_sub_i32 s1, 0, s20
	s_delay_alu instid0(VALU_DEP_1) | instskip(SKIP_2) | instid1(VALU_DEP_1)
	v_rcp_iflag_f32_e32 v17, v17
	s_waitcnt_depctr 0xfff
	v_mul_f32_e32 v17, 0x4f7ffffe, v17
	v_cvt_u32_f32_e32 v17, v17
	s_delay_alu instid0(VALU_DEP_1) | instskip(NEXT) | instid1(VALU_DEP_1)
	v_mul_lo_u32 v18, s1, v17
	v_mul_hi_u32 v18, v17, v18
	s_delay_alu instid0(VALU_DEP_1) | instskip(NEXT) | instid1(VALU_DEP_1)
	v_add_nc_u32_e32 v17, v17, v18
	v_mul_hi_u32 v17, v35, v17
	s_delay_alu instid0(VALU_DEP_1) | instskip(NEXT) | instid1(VALU_DEP_1)
	v_mul_lo_u32 v17, v17, s20
	v_sub_nc_u32_e32 v17, v35, v17
	s_delay_alu instid0(VALU_DEP_1) | instskip(SKIP_1) | instid1(VALU_DEP_2)
	v_subrev_nc_u32_e32 v18, s20, v17
	v_cmp_le_u32_e32 vcc_lo, s20, v17
	v_cndmask_b32_e32 v17, v17, v18, vcc_lo
	s_delay_alu instid0(VALU_DEP_1) | instskip(SKIP_1) | instid1(VALU_DEP_2)
	v_subrev_nc_u32_e32 v18, s20, v17
	v_cmp_le_u32_e32 vcc_lo, s20, v17
	v_dual_cndmask_b32 v17, v17, v18 :: v_dual_mov_b32 v18, v23
	s_branch .LBB26_7
.LBB26_48:
	s_or_b32 exec_lo, exec_lo, s66
	v_mad_u64_u32 v[3:4], null, v21, s12, v[1:2]
	v_mul_lo_u32 v0, v21, s13
	v_mul_lo_u32 v1, v22, s12
	v_cmp_ne_u64_e32 vcc_lo, v[19:20], v[21:22]
	s_and_b32 s0, vcc_lo, exec_lo
	s_delay_alu instid0(VALU_DEP_2)
	v_add3_u32 v4, v1, v4, v0
                                        ; implicit-def: $vgpr1_vgpr2
.LBB26_49:
	s_or_saveexec_b32 s1, s36
	v_dual_mov_b32 v5, s24 :: v_dual_mov_b32 v6, s25
	s_xor_b32 exec_lo, exec_lo, s1
; %bb.50:
	s_sub_u32 s2, 0, s4
	s_subb_u32 s3, 0, s5
	v_dual_mov_b32 v4, v2 :: v_dual_mov_b32 v3, v1
	v_dual_mov_b32 v6, s3 :: v_dual_mov_b32 v5, s2
	s_or_b32 s0, s0, exec_lo
; %bb.51:
	s_or_b32 exec_lo, exec_lo, s1
	s_delay_alu instid0(SALU_CYCLE_1)
	s_and_b32 exec_lo, exec_lo, s0
	s_cbranch_execz .LBB26_64
; %bb.52:
	v_cvt_f32_u32_e32 v0, s4
	s_sub_u32 s1, 0, s10
	s_subb_u32 s22, 0, s11
	s_sub_i32 s0, 0, s4
	s_mov_b32 s23, 0
	v_rcp_iflag_f32_e32 v0, v0
	s_ashr_i32 s2, s5, 31
	s_ashr_i32 s10, s21, 31
	s_sub_i32 s24, 0, s20
	s_waitcnt_depctr 0xfff
	v_mul_f32_e32 v0, 0x4f7ffffe, v0
	s_delay_alu instid0(VALU_DEP_1) | instskip(NEXT) | instid1(VALU_DEP_1)
	v_cvt_u32_f32_e32 v1, v0
	v_mul_lo_u32 v0, s0, v1
	s_delay_alu instid0(VALU_DEP_1) | instskip(NEXT) | instid1(VALU_DEP_1)
	v_mul_hi_u32 v2, v1, v0
	v_dual_mov_b32 v0, 0 :: v_dual_add_nc_u32 v11, v1, v2
	s_branch .LBB26_55
.LBB26_53:                              ;   in Loop: Header=BB26_55 Depth=1
	s_or_b32 exec_lo, exec_lo, s0
	s_delay_alu instid0(VALU_DEP_1) | instskip(NEXT) | instid1(VALU_DEP_1)
	v_ashrrev_i32_e32 v9, 31, v2
	v_and_b32_e32 v10, s20, v9
	v_and_b32_e32 v9, s21, v9
	s_delay_alu instid0(VALU_DEP_2) | instskip(NEXT) | instid1(VALU_DEP_2)
	v_add_co_u32 v1, vcc_lo, v10, v1
	v_add_co_ci_u32_e32 v2, vcc_lo, v9, v2, vcc_lo
	s_delay_alu instid0(VALU_DEP_2) | instskip(NEXT) | instid1(VALU_DEP_2)
	v_sub_co_u32 v9, vcc_lo, s20, v1
	v_sub_co_ci_u32_e32 v10, vcc_lo, s21, v2, vcc_lo
	v_cmp_gt_i64_e32 vcc_lo, s[8:9], v[1:2]
	s_delay_alu instid0(VALU_DEP_2)
	v_dual_cndmask_b32 v2, v10, v2 :: v_dual_cndmask_b32 v1, v9, v1
.LBB26_54:                              ;   in Loop: Header=BB26_55 Depth=1
	v_mad_u64_u32 v[9:10], null, v7, s8, s[18:19]
	v_mul_lo_u32 v7, v7, s9
	v_mul_lo_u32 v8, v8, s8
	s_delay_alu instid0(VALU_DEP_3) | instskip(NEXT) | instid1(VALU_DEP_2)
	v_add_co_u32 v1, vcc_lo, v9, v1
	v_add3_u32 v7, v8, v10, v7
	s_delay_alu instid0(VALU_DEP_1)
	v_add_co_ci_u32_e32 v2, vcc_lo, v7, v2, vcc_lo
	global_load_u8 v7, v[1:2], off
	v_add_co_u32 v1, vcc_lo, s16, v3
	v_add_co_ci_u32_e32 v2, vcc_lo, s17, v4, vcc_lo
	v_add_co_u32 v3, vcc_lo, v3, s12
	v_add_co_ci_u32_e32 v4, vcc_lo, s13, v4, vcc_lo
	s_delay_alu instid0(VALU_DEP_1)
	v_cmp_le_i64_e32 vcc_lo, s[6:7], v[3:4]
	s_or_b32 s23, vcc_lo, s23
	s_waitcnt vmcnt(0)
	global_store_b8 v[1:2], v7, off
	s_and_not1_b32 exec_lo, exec_lo, s23
	s_cbranch_execz .LBB26_64
.LBB26_55:                              ; =>This Inner Loop Header: Depth=1
	v_or_b32_e32 v1, s5, v4
                                        ; implicit-def: $vgpr7_vgpr8
	s_delay_alu instid0(VALU_DEP_1) | instskip(SKIP_1) | instid1(SALU_CYCLE_1)
	v_cmp_ne_u64_e32 vcc_lo, 0, v[0:1]
                                        ; kill: def $vgpr1_vgpr2 killed $sgpr0_sgpr1 killed $exec
	s_and_saveexec_b32 s0, vcc_lo
	s_xor_b32 s11, exec_lo, s0
	s_cbranch_execz .LBB26_57
; %bb.56:                               ;   in Loop: Header=BB26_55 Depth=1
	s_add_u32 s14, s4, s2
	s_mov_b32 s3, s2
	s_addc_u32 s15, s5, s2
	s_delay_alu instid0(SALU_CYCLE_1) | instskip(NEXT) | instid1(SALU_CYCLE_1)
	s_xor_b64 s[14:15], s[14:15], s[2:3]
	v_cvt_f32_u32_e32 v1, s14
	v_cvt_f32_u32_e32 v2, s15
	s_sub_u32 s0, 0, s14
	s_subb_u32 s3, 0, s15
	s_delay_alu instid0(VALU_DEP_1) | instskip(NEXT) | instid1(VALU_DEP_1)
	v_fmac_f32_e32 v1, 0x4f800000, v2
	v_rcp_f32_e32 v1, v1
	s_waitcnt_depctr 0xfff
	v_mul_f32_e32 v1, 0x5f7ffffc, v1
	s_delay_alu instid0(VALU_DEP_1) | instskip(NEXT) | instid1(VALU_DEP_1)
	v_mul_f32_e32 v2, 0x2f800000, v1
	v_trunc_f32_e32 v2, v2
	s_delay_alu instid0(VALU_DEP_1) | instskip(SKIP_1) | instid1(VALU_DEP_2)
	v_fmac_f32_e32 v1, 0xcf800000, v2
	v_cvt_u32_f32_e32 v2, v2
	v_cvt_u32_f32_e32 v1, v1
	s_delay_alu instid0(VALU_DEP_2) | instskip(NEXT) | instid1(VALU_DEP_2)
	v_mul_lo_u32 v7, s0, v2
	v_mul_hi_u32 v8, s0, v1
	v_mul_lo_u32 v9, s3, v1
	s_delay_alu instid0(VALU_DEP_2) | instskip(SKIP_1) | instid1(VALU_DEP_2)
	v_add_nc_u32_e32 v7, v8, v7
	v_mul_lo_u32 v8, s0, v1
	v_add_nc_u32_e32 v7, v7, v9
	s_delay_alu instid0(VALU_DEP_2) | instskip(NEXT) | instid1(VALU_DEP_2)
	v_mul_hi_u32 v9, v1, v8
	v_mul_lo_u32 v10, v1, v7
	v_mul_hi_u32 v12, v1, v7
	v_mul_hi_u32 v13, v2, v8
	v_mul_lo_u32 v8, v2, v8
	v_mul_hi_u32 v14, v2, v7
	v_mul_lo_u32 v7, v2, v7
	v_add_co_u32 v9, vcc_lo, v9, v10
	v_add_co_ci_u32_e32 v10, vcc_lo, 0, v12, vcc_lo
	s_delay_alu instid0(VALU_DEP_2) | instskip(NEXT) | instid1(VALU_DEP_2)
	v_add_co_u32 v8, vcc_lo, v9, v8
	v_add_co_ci_u32_e32 v8, vcc_lo, v10, v13, vcc_lo
	v_add_co_ci_u32_e32 v9, vcc_lo, 0, v14, vcc_lo
	v_ashrrev_i32_e32 v13, 31, v4
	s_delay_alu instid0(VALU_DEP_3) | instskip(NEXT) | instid1(VALU_DEP_3)
	v_add_co_u32 v7, vcc_lo, v8, v7
	v_add_co_ci_u32_e32 v8, vcc_lo, 0, v9, vcc_lo
	s_delay_alu instid0(VALU_DEP_2) | instskip(NEXT) | instid1(VALU_DEP_2)
	v_add_co_u32 v1, vcc_lo, v1, v7
	v_add_co_ci_u32_e32 v2, vcc_lo, v2, v8, vcc_lo
	s_delay_alu instid0(VALU_DEP_2) | instskip(SKIP_1) | instid1(VALU_DEP_3)
	v_mul_hi_u32 v7, s0, v1
	v_mul_lo_u32 v9, s3, v1
	v_mul_lo_u32 v8, s0, v2
	s_delay_alu instid0(VALU_DEP_1) | instskip(SKIP_1) | instid1(VALU_DEP_2)
	v_add_nc_u32_e32 v7, v7, v8
	v_mul_lo_u32 v8, s0, v1
	v_add_nc_u32_e32 v7, v7, v9
	s_delay_alu instid0(VALU_DEP_2) | instskip(NEXT) | instid1(VALU_DEP_2)
	v_mul_hi_u32 v9, v1, v8
	v_mul_lo_u32 v10, v1, v7
	v_mul_hi_u32 v12, v1, v7
	v_mul_hi_u32 v14, v2, v8
	v_mul_lo_u32 v8, v2, v8
	v_mul_hi_u32 v15, v2, v7
	v_mul_lo_u32 v7, v2, v7
	v_add_co_u32 v9, vcc_lo, v9, v10
	v_add_co_ci_u32_e32 v10, vcc_lo, 0, v12, vcc_lo
	s_delay_alu instid0(VALU_DEP_2) | instskip(NEXT) | instid1(VALU_DEP_2)
	v_add_co_u32 v8, vcc_lo, v9, v8
	v_add_co_ci_u32_e32 v8, vcc_lo, v10, v14, vcc_lo
	v_add_co_ci_u32_e32 v9, vcc_lo, 0, v15, vcc_lo
	v_add_co_u32 v10, vcc_lo, v3, v13
	v_add_co_ci_u32_e32 v12, vcc_lo, v4, v13, vcc_lo
	s_delay_alu instid0(VALU_DEP_4) | instskip(NEXT) | instid1(VALU_DEP_4)
	v_add_co_u32 v7, vcc_lo, v8, v7
	v_add_co_ci_u32_e32 v8, vcc_lo, 0, v9, vcc_lo
	s_delay_alu instid0(VALU_DEP_4) | instskip(NEXT) | instid1(VALU_DEP_3)
	v_xor_b32_e32 v14, v10, v13
	v_add_co_u32 v9, vcc_lo, v1, v7
	s_delay_alu instid0(VALU_DEP_3) | instskip(SKIP_1) | instid1(VALU_DEP_3)
	v_add_co_ci_u32_e32 v15, vcc_lo, v2, v8, vcc_lo
	v_xor_b32_e32 v12, v12, v13
	v_mul_hi_u32 v16, v14, v9
	s_delay_alu instid0(VALU_DEP_3) | instskip(NEXT) | instid1(VALU_DEP_3)
	v_mad_u64_u32 v[1:2], null, v14, v15, 0
	v_mad_u64_u32 v[7:8], null, v12, v9, 0
	;; [unrolled: 1-line block ×3, first 2 shown]
	s_delay_alu instid0(VALU_DEP_3) | instskip(NEXT) | instid1(VALU_DEP_4)
	v_add_co_u32 v1, vcc_lo, v16, v1
	v_add_co_ci_u32_e32 v2, vcc_lo, 0, v2, vcc_lo
	s_delay_alu instid0(VALU_DEP_2) | instskip(NEXT) | instid1(VALU_DEP_2)
	v_add_co_u32 v1, vcc_lo, v1, v7
	v_add_co_ci_u32_e32 v1, vcc_lo, v2, v8, vcc_lo
	v_add_co_ci_u32_e32 v2, vcc_lo, 0, v10, vcc_lo
	s_delay_alu instid0(VALU_DEP_2) | instskip(NEXT) | instid1(VALU_DEP_2)
	v_add_co_u32 v7, vcc_lo, v1, v9
	v_add_co_ci_u32_e32 v8, vcc_lo, 0, v2, vcc_lo
	s_delay_alu instid0(VALU_DEP_2) | instskip(SKIP_1) | instid1(VALU_DEP_3)
	v_mul_lo_u32 v9, s15, v7
	v_mad_u64_u32 v[1:2], null, s14, v7, 0
	v_mul_lo_u32 v10, s14, v8
	s_delay_alu instid0(VALU_DEP_2) | instskip(NEXT) | instid1(VALU_DEP_2)
	v_sub_co_u32 v1, vcc_lo, v14, v1
	v_add3_u32 v2, v2, v10, v9
	s_delay_alu instid0(VALU_DEP_1) | instskip(NEXT) | instid1(VALU_DEP_1)
	v_sub_nc_u32_e32 v9, v12, v2
	v_subrev_co_ci_u32_e64 v9, s0, s15, v9, vcc_lo
	v_add_co_u32 v10, s0, v7, 2
	s_delay_alu instid0(VALU_DEP_1) | instskip(SKIP_3) | instid1(VALU_DEP_3)
	v_add_co_ci_u32_e64 v14, s0, 0, v8, s0
	v_sub_co_u32 v15, s0, v1, s14
	v_sub_co_ci_u32_e32 v2, vcc_lo, v12, v2, vcc_lo
	v_subrev_co_ci_u32_e64 v9, s0, 0, v9, s0
	v_cmp_le_u32_e32 vcc_lo, s14, v15
	s_delay_alu instid0(VALU_DEP_3) | instskip(SKIP_1) | instid1(VALU_DEP_4)
	v_cmp_eq_u32_e64 s0, s15, v2
	v_cndmask_b32_e64 v12, 0, -1, vcc_lo
	v_cmp_le_u32_e32 vcc_lo, s15, v9
	v_cndmask_b32_e64 v15, 0, -1, vcc_lo
	v_cmp_le_u32_e32 vcc_lo, s14, v1
	;; [unrolled: 2-line block ×3, first 2 shown]
	v_cndmask_b32_e64 v16, 0, -1, vcc_lo
	v_cmp_eq_u32_e32 vcc_lo, s15, v9
	s_delay_alu instid0(VALU_DEP_2) | instskip(SKIP_3) | instid1(VALU_DEP_3)
	v_cndmask_b32_e64 v1, v16, v1, s0
	v_cndmask_b32_e32 v9, v15, v12, vcc_lo
	v_add_co_u32 v12, vcc_lo, v7, 1
	v_add_co_ci_u32_e32 v15, vcc_lo, 0, v8, vcc_lo
	v_cmp_ne_u32_e32 vcc_lo, 0, v9
	s_delay_alu instid0(VALU_DEP_2) | instskip(NEXT) | instid1(VALU_DEP_4)
	v_cndmask_b32_e32 v2, v15, v14, vcc_lo
	v_cndmask_b32_e32 v9, v12, v10, vcc_lo
	v_cmp_ne_u32_e32 vcc_lo, 0, v1
	v_xor_b32_e32 v1, s2, v13
	s_delay_alu instid0(VALU_DEP_3) | instskip(NEXT) | instid1(VALU_DEP_1)
	v_dual_cndmask_b32 v2, v8, v2 :: v_dual_cndmask_b32 v7, v7, v9
	v_xor_b32_e32 v2, v2, v1
	s_delay_alu instid0(VALU_DEP_2) | instskip(NEXT) | instid1(VALU_DEP_1)
	v_xor_b32_e32 v7, v7, v1
	v_sub_co_u32 v7, vcc_lo, v7, v1
	s_delay_alu instid0(VALU_DEP_3)
	v_sub_co_ci_u32_e32 v8, vcc_lo, v2, v1, vcc_lo
.LBB26_57:                              ;   in Loop: Header=BB26_55 Depth=1
	s_and_not1_saveexec_b32 s0, s11
; %bb.58:                               ;   in Loop: Header=BB26_55 Depth=1
	v_mul_hi_u32 v1, v3, v11
	s_delay_alu instid0(VALU_DEP_1) | instskip(NEXT) | instid1(VALU_DEP_1)
	v_mul_lo_u32 v2, v1, s4
	v_sub_nc_u32_e32 v2, v3, v2
	s_delay_alu instid0(VALU_DEP_1) | instskip(SKIP_1) | instid1(VALU_DEP_2)
	v_subrev_nc_u32_e32 v8, s4, v2
	v_cmp_le_u32_e32 vcc_lo, s4, v2
	v_dual_cndmask_b32 v2, v2, v8 :: v_dual_add_nc_u32 v7, 1, v1
	s_delay_alu instid0(VALU_DEP_1) | instskip(NEXT) | instid1(VALU_DEP_2)
	v_dual_cndmask_b32 v1, v1, v7 :: v_dual_mov_b32 v8, v0
	v_cmp_le_u32_e32 vcc_lo, s4, v2
	s_delay_alu instid0(VALU_DEP_2) | instskip(NEXT) | instid1(VALU_DEP_1)
	v_add_nc_u32_e32 v7, 1, v1
	v_cndmask_b32_e32 v7, v1, v7, vcc_lo
; %bb.59:                               ;   in Loop: Header=BB26_55 Depth=1
	s_or_b32 exec_lo, exec_lo, s0
	v_mov_b32_e32 v1, 0
	v_mov_b32_e32 v2, 0
	s_and_not1_b32 vcc_lo, exec_lo, s33
	s_cbranch_vccnz .LBB26_54
; %bb.60:                               ;   in Loop: Header=BB26_55 Depth=1
	v_add_co_u32 v1, vcc_lo, s1, v3
	v_add_co_ci_u32_e32 v2, vcc_lo, s22, v4, vcc_lo
	v_mul_lo_u32 v12, v5, v8
	v_mul_lo_u32 v13, v6, v7
	s_delay_alu instid0(VALU_DEP_3) | instskip(NEXT) | instid1(VALU_DEP_1)
	v_mad_u64_u32 v[9:10], null, v5, v7, v[1:2]
	v_add3_u32 v10, v13, v10, v12
	s_delay_alu instid0(VALU_DEP_1) | instskip(NEXT) | instid1(VALU_DEP_1)
	v_or_b32_e32 v1, s21, v10
	v_cmp_ne_u64_e32 vcc_lo, 0, v[0:1]
                                        ; implicit-def: $vgpr1_vgpr2
	s_and_saveexec_b32 s0, vcc_lo
	s_delay_alu instid0(SALU_CYCLE_1)
	s_xor_b32 s3, exec_lo, s0
	s_cbranch_execz .LBB26_62
; %bb.61:                               ;   in Loop: Header=BB26_55 Depth=1
	s_add_u32 s14, s20, s10
	s_mov_b32 s11, s10
	s_addc_u32 s15, s21, s10
	s_delay_alu instid0(SALU_CYCLE_1) | instskip(NEXT) | instid1(SALU_CYCLE_1)
	s_xor_b64 s[14:15], s[14:15], s[10:11]
	v_cvt_f32_u32_e32 v1, s14
	v_cvt_f32_u32_e32 v2, s15
	s_sub_u32 s0, 0, s14
	s_subb_u32 s11, 0, s15
	s_delay_alu instid0(VALU_DEP_1) | instskip(NEXT) | instid1(VALU_DEP_1)
	v_fmac_f32_e32 v1, 0x4f800000, v2
	v_rcp_f32_e32 v1, v1
	s_waitcnt_depctr 0xfff
	v_mul_f32_e32 v1, 0x5f7ffffc, v1
	s_delay_alu instid0(VALU_DEP_1) | instskip(NEXT) | instid1(VALU_DEP_1)
	v_mul_f32_e32 v2, 0x2f800000, v1
	v_trunc_f32_e32 v2, v2
	s_delay_alu instid0(VALU_DEP_1) | instskip(SKIP_1) | instid1(VALU_DEP_2)
	v_fmac_f32_e32 v1, 0xcf800000, v2
	v_cvt_u32_f32_e32 v2, v2
	v_cvt_u32_f32_e32 v1, v1
	s_delay_alu instid0(VALU_DEP_2) | instskip(NEXT) | instid1(VALU_DEP_2)
	v_mul_lo_u32 v12, s0, v2
	v_mul_hi_u32 v13, s0, v1
	v_mul_lo_u32 v14, s11, v1
	s_delay_alu instid0(VALU_DEP_2) | instskip(SKIP_1) | instid1(VALU_DEP_2)
	v_add_nc_u32_e32 v12, v13, v12
	v_mul_lo_u32 v13, s0, v1
	v_add_nc_u32_e32 v12, v12, v14
	s_delay_alu instid0(VALU_DEP_2) | instskip(NEXT) | instid1(VALU_DEP_2)
	v_mul_hi_u32 v14, v1, v13
	v_mul_lo_u32 v15, v1, v12
	v_mul_hi_u32 v16, v1, v12
	v_mul_hi_u32 v17, v2, v13
	v_mul_lo_u32 v13, v2, v13
	v_mul_hi_u32 v18, v2, v12
	v_mul_lo_u32 v12, v2, v12
	v_add_co_u32 v14, vcc_lo, v14, v15
	v_add_co_ci_u32_e32 v15, vcc_lo, 0, v16, vcc_lo
	s_delay_alu instid0(VALU_DEP_2) | instskip(NEXT) | instid1(VALU_DEP_2)
	v_add_co_u32 v13, vcc_lo, v14, v13
	v_add_co_ci_u32_e32 v13, vcc_lo, v15, v17, vcc_lo
	v_add_co_ci_u32_e32 v14, vcc_lo, 0, v18, vcc_lo
	v_ashrrev_i32_e32 v17, 31, v10
	s_delay_alu instid0(VALU_DEP_3) | instskip(NEXT) | instid1(VALU_DEP_3)
	v_add_co_u32 v12, vcc_lo, v13, v12
	v_add_co_ci_u32_e32 v13, vcc_lo, 0, v14, vcc_lo
	s_delay_alu instid0(VALU_DEP_2) | instskip(NEXT) | instid1(VALU_DEP_2)
	v_add_co_u32 v1, vcc_lo, v1, v12
	v_add_co_ci_u32_e32 v2, vcc_lo, v2, v13, vcc_lo
	s_delay_alu instid0(VALU_DEP_2) | instskip(SKIP_1) | instid1(VALU_DEP_3)
	v_mul_hi_u32 v12, s0, v1
	v_mul_lo_u32 v14, s11, v1
	v_mul_lo_u32 v13, s0, v2
	s_delay_alu instid0(VALU_DEP_1) | instskip(SKIP_1) | instid1(VALU_DEP_2)
	v_add_nc_u32_e32 v12, v12, v13
	v_mul_lo_u32 v13, s0, v1
	v_add_nc_u32_e32 v12, v12, v14
	s_delay_alu instid0(VALU_DEP_2) | instskip(NEXT) | instid1(VALU_DEP_2)
	v_mul_hi_u32 v14, v1, v13
	v_mul_lo_u32 v15, v1, v12
	v_mul_hi_u32 v16, v1, v12
	v_mul_hi_u32 v18, v2, v13
	v_mul_lo_u32 v13, v2, v13
	v_mul_hi_u32 v19, v2, v12
	v_mul_lo_u32 v12, v2, v12
	v_add_co_u32 v14, vcc_lo, v14, v15
	v_add_co_ci_u32_e32 v15, vcc_lo, 0, v16, vcc_lo
	s_delay_alu instid0(VALU_DEP_2) | instskip(NEXT) | instid1(VALU_DEP_2)
	v_add_co_u32 v13, vcc_lo, v14, v13
	v_add_co_ci_u32_e32 v13, vcc_lo, v15, v18, vcc_lo
	v_add_co_ci_u32_e32 v14, vcc_lo, 0, v19, vcc_lo
	v_add_co_u32 v9, vcc_lo, v9, v17
	v_add_co_ci_u32_e32 v10, vcc_lo, v10, v17, vcc_lo
	s_delay_alu instid0(VALU_DEP_4) | instskip(NEXT) | instid1(VALU_DEP_4)
	v_add_co_u32 v12, vcc_lo, v13, v12
	v_add_co_ci_u32_e32 v13, vcc_lo, 0, v14, vcc_lo
	s_delay_alu instid0(VALU_DEP_4) | instskip(NEXT) | instid1(VALU_DEP_3)
	v_xor_b32_e32 v14, v9, v17
	v_add_co_u32 v12, vcc_lo, v1, v12
	s_delay_alu instid0(VALU_DEP_3) | instskip(SKIP_1) | instid1(VALU_DEP_3)
	v_add_co_ci_u32_e32 v15, vcc_lo, v2, v13, vcc_lo
	v_xor_b32_e32 v16, v10, v17
	v_mul_hi_u32 v18, v14, v12
	s_delay_alu instid0(VALU_DEP_3) | instskip(NEXT) | instid1(VALU_DEP_3)
	v_mad_u64_u32 v[1:2], null, v14, v15, 0
	v_mad_u64_u32 v[9:10], null, v16, v12, 0
	;; [unrolled: 1-line block ×3, first 2 shown]
	s_delay_alu instid0(VALU_DEP_3) | instskip(NEXT) | instid1(VALU_DEP_4)
	v_add_co_u32 v1, vcc_lo, v18, v1
	v_add_co_ci_u32_e32 v2, vcc_lo, 0, v2, vcc_lo
	s_delay_alu instid0(VALU_DEP_2) | instskip(NEXT) | instid1(VALU_DEP_2)
	v_add_co_u32 v1, vcc_lo, v1, v9
	v_add_co_ci_u32_e32 v1, vcc_lo, v2, v10, vcc_lo
	v_add_co_ci_u32_e32 v2, vcc_lo, 0, v13, vcc_lo
	s_delay_alu instid0(VALU_DEP_2) | instskip(NEXT) | instid1(VALU_DEP_2)
	v_add_co_u32 v9, vcc_lo, v1, v12
	v_add_co_ci_u32_e32 v10, vcc_lo, 0, v2, vcc_lo
	s_delay_alu instid0(VALU_DEP_2) | instskip(SKIP_1) | instid1(VALU_DEP_3)
	v_mul_lo_u32 v12, s15, v9
	v_mad_u64_u32 v[1:2], null, s14, v9, 0
	v_mul_lo_u32 v9, s14, v10
	s_delay_alu instid0(VALU_DEP_2) | instskip(NEXT) | instid1(VALU_DEP_2)
	v_sub_co_u32 v1, vcc_lo, v14, v1
	v_add3_u32 v2, v2, v9, v12
	s_delay_alu instid0(VALU_DEP_1) | instskip(NEXT) | instid1(VALU_DEP_1)
	v_sub_nc_u32_e32 v9, v16, v2
	v_subrev_co_ci_u32_e64 v9, s0, s15, v9, vcc_lo
	v_sub_co_ci_u32_e32 v2, vcc_lo, v16, v2, vcc_lo
	v_sub_co_u32 v10, vcc_lo, v1, s14
	s_delay_alu instid0(VALU_DEP_1) | instskip(SKIP_3) | instid1(VALU_DEP_3)
	v_subrev_co_ci_u32_e64 v12, s0, 0, v9, vcc_lo
	v_cmp_le_u32_e64 s0, s14, v1
	v_subrev_co_ci_u32_e32 v9, vcc_lo, s15, v9, vcc_lo
	v_cmp_le_u32_e32 vcc_lo, s15, v2
	v_cndmask_b32_e64 v13, 0, -1, s0
	v_cmp_le_u32_e64 s0, s14, v10
	v_cndmask_b32_e64 v16, 0, -1, vcc_lo
	v_cmp_eq_u32_e32 vcc_lo, s15, v12
	s_delay_alu instid0(VALU_DEP_3) | instskip(SKIP_1) | instid1(VALU_DEP_1)
	v_cndmask_b32_e64 v14, 0, -1, s0
	v_cmp_le_u32_e64 s0, s15, v12
	v_cndmask_b32_e64 v15, 0, -1, s0
	v_cmp_eq_u32_e64 s0, s15, v2
	s_delay_alu instid0(VALU_DEP_2) | instskip(SKIP_2) | instid1(VALU_DEP_3)
	v_cndmask_b32_e32 v14, v15, v14, vcc_lo
	v_sub_co_u32 v15, vcc_lo, v10, s14
	v_subrev_co_ci_u32_e32 v9, vcc_lo, 0, v9, vcc_lo
	v_cmp_ne_u32_e32 vcc_lo, 0, v14
	v_cndmask_b32_e64 v13, v16, v13, s0
	s_delay_alu instid0(VALU_DEP_3) | instskip(NEXT) | instid1(VALU_DEP_2)
	v_dual_cndmask_b32 v9, v12, v9 :: v_dual_cndmask_b32 v10, v10, v15
	v_cmp_ne_u32_e32 vcc_lo, 0, v13
	s_delay_alu instid0(VALU_DEP_2) | instskip(NEXT) | instid1(VALU_DEP_1)
	v_dual_cndmask_b32 v1, v1, v10 :: v_dual_cndmask_b32 v2, v2, v9
                                        ; implicit-def: $vgpr9_vgpr10
	v_xor_b32_e32 v1, v1, v17
	s_delay_alu instid0(VALU_DEP_2) | instskip(NEXT) | instid1(VALU_DEP_2)
	v_xor_b32_e32 v2, v2, v17
	v_sub_co_u32 v1, vcc_lo, v1, v17
	s_delay_alu instid0(VALU_DEP_2)
	v_sub_co_ci_u32_e32 v2, vcc_lo, v2, v17, vcc_lo
.LBB26_62:                              ;   in Loop: Header=BB26_55 Depth=1
	s_and_not1_saveexec_b32 s0, s3
	s_cbranch_execz .LBB26_53
; %bb.63:                               ;   in Loop: Header=BB26_55 Depth=1
	v_cvt_f32_u32_e32 v1, s20
	s_delay_alu instid0(VALU_DEP_1) | instskip(SKIP_2) | instid1(VALU_DEP_1)
	v_rcp_iflag_f32_e32 v1, v1
	s_waitcnt_depctr 0xfff
	v_mul_f32_e32 v1, 0x4f7ffffe, v1
	v_cvt_u32_f32_e32 v1, v1
	s_delay_alu instid0(VALU_DEP_1) | instskip(NEXT) | instid1(VALU_DEP_1)
	v_mul_lo_u32 v2, s24, v1
	v_mul_hi_u32 v2, v1, v2
	s_delay_alu instid0(VALU_DEP_1) | instskip(NEXT) | instid1(VALU_DEP_1)
	v_add_nc_u32_e32 v1, v1, v2
	v_mul_hi_u32 v1, v9, v1
	s_delay_alu instid0(VALU_DEP_1) | instskip(NEXT) | instid1(VALU_DEP_1)
	v_mul_lo_u32 v1, v1, s20
	v_sub_nc_u32_e32 v1, v9, v1
	s_delay_alu instid0(VALU_DEP_1) | instskip(SKIP_1) | instid1(VALU_DEP_2)
	v_subrev_nc_u32_e32 v2, s20, v1
	v_cmp_le_u32_e32 vcc_lo, s20, v1
	v_cndmask_b32_e32 v1, v1, v2, vcc_lo
	s_delay_alu instid0(VALU_DEP_1) | instskip(SKIP_1) | instid1(VALU_DEP_2)
	v_subrev_nc_u32_e32 v2, s20, v1
	v_cmp_le_u32_e32 vcc_lo, s20, v1
	v_dual_cndmask_b32 v1, v1, v2 :: v_dual_mov_b32 v2, v0
	s_branch .LBB26_53
.LBB26_64:
	s_nop 0
	s_sendmsg sendmsg(MSG_DEALLOC_VGPRS)
	s_endpgm
	.section	.rodata,"a",@progbits
	.p2align	6, 0x0
	.amdhsa_kernel _ZN2at6native12_GLOBAL__N_121reflection_pad1d_flatIaEEvPKT_PS3_lllll
		.amdhsa_group_segment_fixed_size 0
		.amdhsa_private_segment_fixed_size 0
		.amdhsa_kernarg_size 312
		.amdhsa_user_sgpr_count 15
		.amdhsa_user_sgpr_dispatch_ptr 0
		.amdhsa_user_sgpr_queue_ptr 0
		.amdhsa_user_sgpr_kernarg_segment_ptr 1
		.amdhsa_user_sgpr_dispatch_id 0
		.amdhsa_user_sgpr_private_segment_size 0
		.amdhsa_wavefront_size32 1
		.amdhsa_uses_dynamic_stack 0
		.amdhsa_enable_private_segment 0
		.amdhsa_system_sgpr_workgroup_id_x 1
		.amdhsa_system_sgpr_workgroup_id_y 0
		.amdhsa_system_sgpr_workgroup_id_z 0
		.amdhsa_system_sgpr_workgroup_info 0
		.amdhsa_system_vgpr_workitem_id 0
		.amdhsa_next_free_vgpr 44
		.amdhsa_next_free_sgpr 68
		.amdhsa_reserve_vcc 1
		.amdhsa_float_round_mode_32 0
		.amdhsa_float_round_mode_16_64 0
		.amdhsa_float_denorm_mode_32 3
		.amdhsa_float_denorm_mode_16_64 3
		.amdhsa_dx10_clamp 1
		.amdhsa_ieee_mode 1
		.amdhsa_fp16_overflow 0
		.amdhsa_workgroup_processor_mode 1
		.amdhsa_memory_ordered 1
		.amdhsa_forward_progress 0
		.amdhsa_shared_vgpr_count 0
		.amdhsa_exception_fp_ieee_invalid_op 0
		.amdhsa_exception_fp_denorm_src 0
		.amdhsa_exception_fp_ieee_div_zero 0
		.amdhsa_exception_fp_ieee_overflow 0
		.amdhsa_exception_fp_ieee_underflow 0
		.amdhsa_exception_fp_ieee_inexact 0
		.amdhsa_exception_int_div_zero 0
	.end_amdhsa_kernel
	.section	.text._ZN2at6native12_GLOBAL__N_121reflection_pad1d_flatIaEEvPKT_PS3_lllll,"axG",@progbits,_ZN2at6native12_GLOBAL__N_121reflection_pad1d_flatIaEEvPKT_PS3_lllll,comdat
.Lfunc_end26:
	.size	_ZN2at6native12_GLOBAL__N_121reflection_pad1d_flatIaEEvPKT_PS3_lllll, .Lfunc_end26-_ZN2at6native12_GLOBAL__N_121reflection_pad1d_flatIaEEvPKT_PS3_lllll
                                        ; -- End function
	.section	.AMDGPU.csdata,"",@progbits
; Kernel info:
; codeLenInByte = 12952
; NumSgprs: 70
; NumVgprs: 44
; ScratchSize: 0
; MemoryBound: 0
; FloatMode: 240
; IeeeMode: 1
; LDSByteSize: 0 bytes/workgroup (compile time only)
; SGPRBlocks: 8
; VGPRBlocks: 5
; NumSGPRsForWavesPerEU: 70
; NumVGPRsForWavesPerEU: 44
; Occupancy: 16
; WaveLimiterHint : 0
; COMPUTE_PGM_RSRC2:SCRATCH_EN: 0
; COMPUTE_PGM_RSRC2:USER_SGPR: 15
; COMPUTE_PGM_RSRC2:TRAP_HANDLER: 0
; COMPUTE_PGM_RSRC2:TGID_X_EN: 1
; COMPUTE_PGM_RSRC2:TGID_Y_EN: 0
; COMPUTE_PGM_RSRC2:TGID_Z_EN: 0
; COMPUTE_PGM_RSRC2:TIDIG_COMP_CNT: 0
	.section	.text._ZN2at6native12_GLOBAL__N_127reflection_pad1d_out_kernelIiEEvPKT_PS3_lll,"axG",@progbits,_ZN2at6native12_GLOBAL__N_127reflection_pad1d_out_kernelIiEEvPKT_PS3_lll,comdat
	.globl	_ZN2at6native12_GLOBAL__N_127reflection_pad1d_out_kernelIiEEvPKT_PS3_lll ; -- Begin function _ZN2at6native12_GLOBAL__N_127reflection_pad1d_out_kernelIiEEvPKT_PS3_lll
	.p2align	8
	.type	_ZN2at6native12_GLOBAL__N_127reflection_pad1d_out_kernelIiEEvPKT_PS3_lll,@function
_ZN2at6native12_GLOBAL__N_127reflection_pad1d_out_kernelIiEEvPKT_PS3_lll: ; @_ZN2at6native12_GLOBAL__N_127reflection_pad1d_out_kernelIiEEvPKT_PS3_lll
; %bb.0:
	s_clause 0x2
	s_load_b32 s12, s[0:1], 0x34
	s_load_b256 s[4:11], s[0:1], 0x0
	s_load_b64 s[16:17], s[0:1], 0x20
	v_mov_b32_e32 v1, 0
	s_add_u32 s2, s0, 40
	s_addc_u32 s3, s1, 0
	s_waitcnt lgkmcnt(0)
	s_and_b32 s0, s12, 0xffff
	s_add_u32 s12, s10, s8
	v_mad_u64_u32 v[2:3], null, s0, s13, v[0:1]
	s_addc_u32 s13, s11, s9
	s_add_u32 s0, s12, s16
	s_addc_u32 s1, s13, s17
	s_mov_b32 s16, exec_lo
	s_delay_alu instid0(VALU_DEP_1)
	v_cmpx_gt_i64_e64 s[0:1], v[2:3]
	s_cbranch_execz .LBB27_2
; %bb.1:
	s_load_b32 s16, s[2:3], 0x4
	v_sub_co_u32 v0, vcc_lo, v2, s12
	v_subrev_co_ci_u32_e32 v1, vcc_lo, s13, v3, vcc_lo
	v_sub_co_u32 v4, vcc_lo, v2, s10
	v_subrev_co_ci_u32_e32 v5, vcc_lo, s11, v3, vcc_lo
	s_delay_alu instid0(VALU_DEP_4) | instskip(NEXT) | instid1(VALU_DEP_4)
	v_add_co_u32 v0, vcc_lo, v0, 1
	v_add_co_ci_u32_e32 v1, vcc_lo, 0, v1, vcc_lo
	s_sub_u32 s2, 0, s10
	s_subb_u32 s3, 0, s11
	v_cmp_gt_i64_e64 s17, s[10:11], 0
	s_delay_alu instid0(VALU_DEP_2)
	v_ashrrev_i32_e32 v6, 31, v1
	v_ashrrev_i32_e32 v7, 31, v5
	s_waitcnt lgkmcnt(0)
	s_mul_i32 s15, s16, s15
	v_cmp_gt_i64_e64 s16, s[2:3], 0
	s_add_i32 s14, s15, s14
	v_xor_b32_e32 v0, v0, v6
	s_mul_i32 s9, s14, s9
	s_mul_hi_u32 s15, s14, s8
	s_mul_i32 s1, s1, s14
	s_mul_hi_u32 s18, s0, s14
	v_xor_b32_e32 v1, v1, v6
	s_add_i32 s9, s15, s9
	s_add_i32 s1, s18, s1
	s_and_b32 s15, s16, exec_lo
	s_cselect_b32 s15, s3, 0
	s_cselect_b32 s16, s2, 0
	s_and_b32 s2, s17, exec_lo
	v_sub_co_u32 v0, vcc_lo, v0, v6
	s_cselect_b32 s3, s11, 0
	s_cselect_b32 s2, s10, 0
	v_sub_co_ci_u32_e32 v1, vcc_lo, v1, v6, vcc_lo
	s_not_b64 s[2:3], s[2:3]
	s_add_u32 s10, s12, s10
	s_addc_u32 s11, s13, s11
	v_add_co_u32 v0, vcc_lo, v2, v0
	s_add_u32 s2, s10, s2
	s_addc_u32 s3, s11, s3
	v_add_co_ci_u32_e32 v1, vcc_lo, v3, v1, vcc_lo
	s_add_u32 s2, s2, s16
	v_xor_b32_e32 v4, v4, v7
	s_addc_u32 s3, s3, s15
	v_sub_co_u32 v0, vcc_lo, s2, v0
	v_xor_b32_e32 v5, v5, v7
	v_sub_co_ci_u32_e32 v1, vcc_lo, s3, v1, vcc_lo
	v_sub_co_u32 v4, vcc_lo, v4, v7
	s_delay_alu instid0(VALU_DEP_3) | instskip(NEXT) | instid1(VALU_DEP_3)
	v_sub_co_ci_u32_e32 v5, vcc_lo, v5, v7, vcc_lo
	v_lshlrev_b64 v[0:1], 2, v[0:1]
	s_mul_i32 s8, s14, s8
	s_mul_i32 s0, s0, s14
	s_delay_alu instid0(VALU_DEP_2)
	v_lshlrev_b64 v[4:5], 2, v[4:5]
	s_lshl_b64 s[2:3], s[8:9], 2
	s_lshl_b64 s[0:1], s[0:1], 2
	v_add_co_u32 v0, vcc_lo, s4, v0
	v_add_co_ci_u32_e32 v1, vcc_lo, s5, v1, vcc_lo
	s_add_u32 s0, s6, s0
	s_delay_alu instid0(VALU_DEP_2) | instskip(NEXT) | instid1(VALU_DEP_2)
	v_add_co_u32 v0, vcc_lo, v0, v4
	v_add_co_ci_u32_e32 v1, vcc_lo, v1, v5, vcc_lo
	s_addc_u32 s1, s7, s1
	s_delay_alu instid0(VALU_DEP_2) | instskip(NEXT) | instid1(VALU_DEP_2)
	v_add_co_u32 v0, vcc_lo, v0, s2
	v_add_co_ci_u32_e32 v1, vcc_lo, s3, v1, vcc_lo
	global_load_b32 v4, v[0:1], off
	v_lshlrev_b64 v[0:1], 2, v[2:3]
	s_delay_alu instid0(VALU_DEP_1) | instskip(NEXT) | instid1(VALU_DEP_2)
	v_add_co_u32 v0, vcc_lo, s0, v0
	v_add_co_ci_u32_e32 v1, vcc_lo, s1, v1, vcc_lo
	s_waitcnt vmcnt(0)
	global_store_b32 v[0:1], v4, off
.LBB27_2:
	s_nop 0
	s_sendmsg sendmsg(MSG_DEALLOC_VGPRS)
	s_endpgm
	.section	.rodata,"a",@progbits
	.p2align	6, 0x0
	.amdhsa_kernel _ZN2at6native12_GLOBAL__N_127reflection_pad1d_out_kernelIiEEvPKT_PS3_lll
		.amdhsa_group_segment_fixed_size 0
		.amdhsa_private_segment_fixed_size 0
		.amdhsa_kernarg_size 296
		.amdhsa_user_sgpr_count 13
		.amdhsa_user_sgpr_dispatch_ptr 0
		.amdhsa_user_sgpr_queue_ptr 0
		.amdhsa_user_sgpr_kernarg_segment_ptr 1
		.amdhsa_user_sgpr_dispatch_id 0
		.amdhsa_user_sgpr_private_segment_size 0
		.amdhsa_wavefront_size32 1
		.amdhsa_uses_dynamic_stack 0
		.amdhsa_enable_private_segment 0
		.amdhsa_system_sgpr_workgroup_id_x 1
		.amdhsa_system_sgpr_workgroup_id_y 1
		.amdhsa_system_sgpr_workgroup_id_z 1
		.amdhsa_system_sgpr_workgroup_info 0
		.amdhsa_system_vgpr_workitem_id 0
		.amdhsa_next_free_vgpr 8
		.amdhsa_next_free_sgpr 19
		.amdhsa_reserve_vcc 1
		.amdhsa_float_round_mode_32 0
		.amdhsa_float_round_mode_16_64 0
		.amdhsa_float_denorm_mode_32 3
		.amdhsa_float_denorm_mode_16_64 3
		.amdhsa_dx10_clamp 1
		.amdhsa_ieee_mode 1
		.amdhsa_fp16_overflow 0
		.amdhsa_workgroup_processor_mode 1
		.amdhsa_memory_ordered 1
		.amdhsa_forward_progress 0
		.amdhsa_shared_vgpr_count 0
		.amdhsa_exception_fp_ieee_invalid_op 0
		.amdhsa_exception_fp_denorm_src 0
		.amdhsa_exception_fp_ieee_div_zero 0
		.amdhsa_exception_fp_ieee_overflow 0
		.amdhsa_exception_fp_ieee_underflow 0
		.amdhsa_exception_fp_ieee_inexact 0
		.amdhsa_exception_int_div_zero 0
	.end_amdhsa_kernel
	.section	.text._ZN2at6native12_GLOBAL__N_127reflection_pad1d_out_kernelIiEEvPKT_PS3_lll,"axG",@progbits,_ZN2at6native12_GLOBAL__N_127reflection_pad1d_out_kernelIiEEvPKT_PS3_lll,comdat
.Lfunc_end27:
	.size	_ZN2at6native12_GLOBAL__N_127reflection_pad1d_out_kernelIiEEvPKT_PS3_lll, .Lfunc_end27-_ZN2at6native12_GLOBAL__N_127reflection_pad1d_out_kernelIiEEvPKT_PS3_lll
                                        ; -- End function
	.section	.AMDGPU.csdata,"",@progbits
; Kernel info:
; codeLenInByte = 480
; NumSgprs: 21
; NumVgprs: 8
; ScratchSize: 0
; MemoryBound: 0
; FloatMode: 240
; IeeeMode: 1
; LDSByteSize: 0 bytes/workgroup (compile time only)
; SGPRBlocks: 2
; VGPRBlocks: 0
; NumSGPRsForWavesPerEU: 21
; NumVGPRsForWavesPerEU: 8
; Occupancy: 16
; WaveLimiterHint : 0
; COMPUTE_PGM_RSRC2:SCRATCH_EN: 0
; COMPUTE_PGM_RSRC2:USER_SGPR: 13
; COMPUTE_PGM_RSRC2:TRAP_HANDLER: 0
; COMPUTE_PGM_RSRC2:TGID_X_EN: 1
; COMPUTE_PGM_RSRC2:TGID_Y_EN: 1
; COMPUTE_PGM_RSRC2:TGID_Z_EN: 1
; COMPUTE_PGM_RSRC2:TIDIG_COMP_CNT: 0
	.section	.text._ZN2at6native12_GLOBAL__N_121reflection_pad1d_flatIiEEvPKT_PS3_lllll,"axG",@progbits,_ZN2at6native12_GLOBAL__N_121reflection_pad1d_flatIiEEvPKT_PS3_lllll,comdat
	.globl	_ZN2at6native12_GLOBAL__N_121reflection_pad1d_flatIiEEvPKT_PS3_lllll ; -- Begin function _ZN2at6native12_GLOBAL__N_121reflection_pad1d_flatIiEEvPKT_PS3_lllll
	.p2align	8
	.type	_ZN2at6native12_GLOBAL__N_121reflection_pad1d_flatIiEEvPKT_PS3_lllll,@function
_ZN2at6native12_GLOBAL__N_121reflection_pad1d_flatIiEEvPKT_PS3_lllll: ; @_ZN2at6native12_GLOBAL__N_121reflection_pad1d_flatIiEEvPKT_PS3_lllll
; %bb.0:
	s_clause 0x1
	s_load_b32 s2, s[0:1], 0x44
	s_load_b128 s[16:19], s[0:1], 0x28
	v_mov_b32_e32 v2, 0
	s_add_u32 s12, s0, 56
	s_addc_u32 s13, s1, 0
	s_mov_b32 s22, 0
	s_mov_b32 s4, exec_lo
	v_mov_b32_e32 v1, v2
	s_waitcnt lgkmcnt(0)
	s_and_b32 s14, s2, 0xffff
	s_mul_i32 s2, s18, s17
	s_delay_alu instid0(VALU_DEP_1) | instskip(SKIP_1) | instid1(SALU_CYCLE_1)
	v_mad_u64_u32 v[4:5], null, s14, s15, v[0:1]
	s_mul_hi_u32 s3, s18, s16
	s_add_i32 s2, s3, s2
	s_mul_i32 s3, s19, s16
	s_delay_alu instid0(SALU_CYCLE_1)
	s_add_i32 s3, s2, s3
	s_mul_i32 s2, s18, s16
	s_delay_alu instid0(VALU_DEP_1) | instid1(SALU_CYCLE_1)
	v_cmpx_gt_i64_e64 s[2:3], v[4:5]
	s_cbranch_execz .LBB28_13
; %bb.1:
	s_load_b256 s[4:11], s[0:1], 0x0
	v_cvt_f32_u32_e32 v0, s16
	s_load_b32 s15, s[12:13], 0x0
	s_delay_alu instid0(VALU_DEP_1) | instskip(SKIP_4) | instid1(VALU_DEP_1)
	v_rcp_iflag_f32_e32 v0, v0
	s_waitcnt_depctr 0xfff
	v_mul_f32_e32 v0, 0x4f7ffffe, v0
	s_waitcnt lgkmcnt(0)
	s_lshl_b64 s[0:1], s[8:9], 1
	v_cvt_u32_f32_e32 v3, v0
	s_add_u32 s12, s0, -2
	s_addc_u32 s13, s1, -1
	s_sub_u32 s1, 0, s16
	s_subb_u32 s23, 0, s17
	s_sub_u32 s24, 0, s10
	s_subb_u32 s25, 0, s11
	s_sub_i32 s0, 0, s16
	v_lshlrev_b64 v[0:1], 2, v[4:5]
	v_mul_lo_u32 v6, s0, v3
	v_cmp_gt_i64_e64 s26, s[12:13], 0
	s_mul_hi_u32 s11, s14, s15
	s_mul_i32 s10, s14, s15
	s_ashr_i32 s14, s17, 31
	v_add_co_u32 v0, vcc_lo, s6, v0
	v_add_co_ci_u32_e32 v1, vcc_lo, s7, v1, vcc_lo
	s_delay_alu instid0(VALU_DEP_4) | instskip(SKIP_3) | instid1(VALU_DEP_1)
	v_mul_hi_u32 v6, v3, v6
	s_lshl_b64 s[6:7], s[10:11], 2
	s_ashr_i32 s18, s13, 31
	s_sub_i32 s27, 0, s12
	v_add_nc_u32_e32 v12, v3, v6
	s_branch .LBB28_4
.LBB28_2:                               ;   in Loop: Header=BB28_4 Depth=1
	s_or_b32 exec_lo, exec_lo, s0
	s_delay_alu instid0(VALU_DEP_1) | instskip(NEXT) | instid1(VALU_DEP_1)
	v_ashrrev_i32_e32 v3, 31, v11
	v_and_b32_e32 v8, s12, v3
	v_and_b32_e32 v3, s13, v3
	s_delay_alu instid0(VALU_DEP_2) | instskip(NEXT) | instid1(VALU_DEP_2)
	v_add_co_u32 v8, vcc_lo, v8, v10
	v_add_co_ci_u32_e32 v9, vcc_lo, v3, v11, vcc_lo
	s_delay_alu instid0(VALU_DEP_2) | instskip(NEXT) | instid1(VALU_DEP_2)
	v_sub_co_u32 v3, vcc_lo, s12, v8
	v_sub_co_ci_u32_e32 v10, vcc_lo, s13, v9, vcc_lo
	v_cmp_gt_i64_e32 vcc_lo, s[8:9], v[8:9]
	s_delay_alu instid0(VALU_DEP_2)
	v_dual_cndmask_b32 v9, v10, v9 :: v_dual_cndmask_b32 v8, v3, v8
.LBB28_3:                               ;   in Loop: Header=BB28_4 Depth=1
	v_mul_lo_u32 v3, v7, s8
	v_mul_lo_u32 v7, v6, s9
	v_mad_u64_u32 v[10:11], null, v6, s8, 0
	s_delay_alu instid0(VALU_DEP_4) | instskip(NEXT) | instid1(VALU_DEP_2)
	v_lshlrev_b64 v[8:9], 2, v[8:9]
	v_add3_u32 v11, v11, v7, v3
	s_delay_alu instid0(VALU_DEP_1) | instskip(NEXT) | instid1(VALU_DEP_1)
	v_lshlrev_b64 v[6:7], 2, v[10:11]
	v_add_co_u32 v3, vcc_lo, s4, v6
	s_delay_alu instid0(VALU_DEP_2) | instskip(NEXT) | instid1(VALU_DEP_2)
	v_add_co_ci_u32_e32 v7, vcc_lo, s5, v7, vcc_lo
	v_add_co_u32 v6, vcc_lo, v3, v8
	s_delay_alu instid0(VALU_DEP_2)
	v_add_co_ci_u32_e32 v7, vcc_lo, v7, v9, vcc_lo
	v_add_co_u32 v4, vcc_lo, v4, s10
	v_add_co_ci_u32_e32 v5, vcc_lo, s11, v5, vcc_lo
	global_load_b32 v3, v[6:7], off
	v_cmp_le_i64_e32 vcc_lo, s[2:3], v[4:5]
	s_or_b32 s22, vcc_lo, s22
	s_waitcnt vmcnt(0)
	global_store_b32 v[0:1], v3, off
	v_add_co_u32 v0, s0, v0, s6
	s_delay_alu instid0(VALU_DEP_1)
	v_add_co_ci_u32_e64 v1, s0, s7, v1, s0
	s_and_not1_b32 exec_lo, exec_lo, s22
	s_cbranch_execz .LBB28_13
.LBB28_4:                               ; =>This Inner Loop Header: Depth=1
	v_or_b32_e32 v3, s17, v5
                                        ; implicit-def: $vgpr6_vgpr7
	s_mov_b32 s0, exec_lo
	s_delay_alu instid0(VALU_DEP_1)
	v_cmpx_ne_u64_e32 0, v[2:3]
	s_xor_b32 s19, exec_lo, s0
	s_cbranch_execz .LBB28_6
; %bb.5:                                ;   in Loop: Header=BB28_4 Depth=1
	s_add_u32 s20, s16, s14
	s_mov_b32 s15, s14
	s_addc_u32 s21, s17, s14
	s_delay_alu instid0(SALU_CYCLE_1) | instskip(NEXT) | instid1(SALU_CYCLE_1)
	s_xor_b64 s[20:21], s[20:21], s[14:15]
	v_cvt_f32_u32_e32 v3, s20
	v_cvt_f32_u32_e32 v6, s21
	s_sub_u32 s0, 0, s20
	s_subb_u32 s15, 0, s21
	s_delay_alu instid0(VALU_DEP_1) | instskip(NEXT) | instid1(VALU_DEP_1)
	v_fmac_f32_e32 v3, 0x4f800000, v6
	v_rcp_f32_e32 v3, v3
	s_waitcnt_depctr 0xfff
	v_mul_f32_e32 v3, 0x5f7ffffc, v3
	s_delay_alu instid0(VALU_DEP_1) | instskip(NEXT) | instid1(VALU_DEP_1)
	v_mul_f32_e32 v6, 0x2f800000, v3
	v_trunc_f32_e32 v6, v6
	s_delay_alu instid0(VALU_DEP_1) | instskip(SKIP_1) | instid1(VALU_DEP_2)
	v_fmac_f32_e32 v3, 0xcf800000, v6
	v_cvt_u32_f32_e32 v6, v6
	v_cvt_u32_f32_e32 v3, v3
	s_delay_alu instid0(VALU_DEP_2) | instskip(NEXT) | instid1(VALU_DEP_2)
	v_mul_lo_u32 v7, s0, v6
	v_mul_hi_u32 v8, s0, v3
	v_mul_lo_u32 v9, s15, v3
	s_delay_alu instid0(VALU_DEP_2) | instskip(SKIP_1) | instid1(VALU_DEP_2)
	v_add_nc_u32_e32 v7, v8, v7
	v_mul_lo_u32 v8, s0, v3
	v_add_nc_u32_e32 v7, v7, v9
	s_delay_alu instid0(VALU_DEP_2) | instskip(NEXT) | instid1(VALU_DEP_2)
	v_mul_hi_u32 v9, v3, v8
	v_mul_lo_u32 v10, v3, v7
	v_mul_hi_u32 v11, v3, v7
	v_mul_hi_u32 v13, v6, v8
	v_mul_lo_u32 v8, v6, v8
	v_mul_hi_u32 v14, v6, v7
	v_mul_lo_u32 v7, v6, v7
	v_add_co_u32 v9, vcc_lo, v9, v10
	v_add_co_ci_u32_e32 v10, vcc_lo, 0, v11, vcc_lo
	s_delay_alu instid0(VALU_DEP_2) | instskip(NEXT) | instid1(VALU_DEP_2)
	v_add_co_u32 v8, vcc_lo, v9, v8
	v_add_co_ci_u32_e32 v8, vcc_lo, v10, v13, vcc_lo
	v_add_co_ci_u32_e32 v9, vcc_lo, 0, v14, vcc_lo
	v_ashrrev_i32_e32 v13, 31, v5
	s_delay_alu instid0(VALU_DEP_3) | instskip(NEXT) | instid1(VALU_DEP_3)
	v_add_co_u32 v7, vcc_lo, v8, v7
	v_add_co_ci_u32_e32 v8, vcc_lo, 0, v9, vcc_lo
	s_delay_alu instid0(VALU_DEP_2) | instskip(NEXT) | instid1(VALU_DEP_2)
	v_add_co_u32 v3, vcc_lo, v3, v7
	v_add_co_ci_u32_e32 v6, vcc_lo, v6, v8, vcc_lo
	s_delay_alu instid0(VALU_DEP_2) | instskip(SKIP_1) | instid1(VALU_DEP_3)
	v_mul_hi_u32 v7, s0, v3
	v_mul_lo_u32 v9, s15, v3
	v_mul_lo_u32 v8, s0, v6
	s_delay_alu instid0(VALU_DEP_1) | instskip(SKIP_1) | instid1(VALU_DEP_2)
	v_add_nc_u32_e32 v7, v7, v8
	v_mul_lo_u32 v8, s0, v3
	v_add_nc_u32_e32 v7, v7, v9
	s_delay_alu instid0(VALU_DEP_2) | instskip(NEXT) | instid1(VALU_DEP_2)
	v_mul_hi_u32 v9, v3, v8
	v_mul_lo_u32 v10, v3, v7
	v_mul_hi_u32 v11, v3, v7
	v_mul_hi_u32 v14, v6, v8
	v_mul_lo_u32 v8, v6, v8
	v_mul_hi_u32 v15, v6, v7
	v_mul_lo_u32 v7, v6, v7
	v_add_co_u32 v9, vcc_lo, v9, v10
	v_add_co_ci_u32_e32 v10, vcc_lo, 0, v11, vcc_lo
	s_delay_alu instid0(VALU_DEP_2) | instskip(NEXT) | instid1(VALU_DEP_2)
	v_add_co_u32 v8, vcc_lo, v9, v8
	v_add_co_ci_u32_e32 v8, vcc_lo, v10, v14, vcc_lo
	v_add_co_ci_u32_e32 v9, vcc_lo, 0, v15, vcc_lo
	v_add_co_u32 v10, vcc_lo, v4, v13
	v_add_co_ci_u32_e32 v11, vcc_lo, v5, v13, vcc_lo
	s_delay_alu instid0(VALU_DEP_4) | instskip(NEXT) | instid1(VALU_DEP_4)
	v_add_co_u32 v7, vcc_lo, v8, v7
	v_add_co_ci_u32_e32 v8, vcc_lo, 0, v9, vcc_lo
	s_delay_alu instid0(VALU_DEP_4) | instskip(NEXT) | instid1(VALU_DEP_3)
	v_xor_b32_e32 v14, v10, v13
	v_add_co_u32 v3, vcc_lo, v3, v7
	s_delay_alu instid0(VALU_DEP_3) | instskip(SKIP_1) | instid1(VALU_DEP_3)
	v_add_co_ci_u32_e32 v15, vcc_lo, v6, v8, vcc_lo
	v_xor_b32_e32 v16, v11, v13
	v_mul_hi_u32 v17, v14, v3
	s_delay_alu instid0(VALU_DEP_3) | instskip(NEXT) | instid1(VALU_DEP_3)
	v_mad_u64_u32 v[6:7], null, v14, v15, 0
	v_mad_u64_u32 v[8:9], null, v16, v3, 0
	v_mad_u64_u32 v[10:11], null, v16, v15, 0
	s_delay_alu instid0(VALU_DEP_3) | instskip(NEXT) | instid1(VALU_DEP_4)
	v_add_co_u32 v3, vcc_lo, v17, v6
	v_add_co_ci_u32_e32 v6, vcc_lo, 0, v7, vcc_lo
	s_delay_alu instid0(VALU_DEP_2) | instskip(NEXT) | instid1(VALU_DEP_2)
	v_add_co_u32 v3, vcc_lo, v3, v8
	v_add_co_ci_u32_e32 v3, vcc_lo, v6, v9, vcc_lo
	v_add_co_ci_u32_e32 v6, vcc_lo, 0, v11, vcc_lo
	s_delay_alu instid0(VALU_DEP_2) | instskip(NEXT) | instid1(VALU_DEP_2)
	v_add_co_u32 v3, vcc_lo, v3, v10
	v_add_co_ci_u32_e32 v8, vcc_lo, 0, v6, vcc_lo
	s_delay_alu instid0(VALU_DEP_2) | instskip(SKIP_1) | instid1(VALU_DEP_3)
	v_mul_lo_u32 v9, s21, v3
	v_mad_u64_u32 v[6:7], null, s20, v3, 0
	v_mul_lo_u32 v10, s20, v8
	s_delay_alu instid0(VALU_DEP_2) | instskip(NEXT) | instid1(VALU_DEP_2)
	v_sub_co_u32 v6, vcc_lo, v14, v6
	v_add3_u32 v7, v7, v10, v9
	s_delay_alu instid0(VALU_DEP_1) | instskip(NEXT) | instid1(VALU_DEP_1)
	v_sub_nc_u32_e32 v9, v16, v7
	v_subrev_co_ci_u32_e64 v9, s0, s21, v9, vcc_lo
	v_add_co_u32 v10, s0, v3, 2
	s_delay_alu instid0(VALU_DEP_1) | instskip(SKIP_3) | instid1(VALU_DEP_3)
	v_add_co_ci_u32_e64 v11, s0, 0, v8, s0
	v_sub_co_u32 v14, s0, v6, s20
	v_sub_co_ci_u32_e32 v7, vcc_lo, v16, v7, vcc_lo
	v_subrev_co_ci_u32_e64 v9, s0, 0, v9, s0
	v_cmp_le_u32_e32 vcc_lo, s20, v14
	s_delay_alu instid0(VALU_DEP_3) | instskip(SKIP_1) | instid1(VALU_DEP_4)
	v_cmp_eq_u32_e64 s0, s21, v7
	v_cndmask_b32_e64 v14, 0, -1, vcc_lo
	v_cmp_le_u32_e32 vcc_lo, s21, v9
	v_cndmask_b32_e64 v15, 0, -1, vcc_lo
	v_cmp_le_u32_e32 vcc_lo, s20, v6
	;; [unrolled: 2-line block ×3, first 2 shown]
	v_cndmask_b32_e64 v16, 0, -1, vcc_lo
	v_cmp_eq_u32_e32 vcc_lo, s21, v9
	s_delay_alu instid0(VALU_DEP_2) | instskip(SKIP_3) | instid1(VALU_DEP_3)
	v_cndmask_b32_e64 v6, v16, v6, s0
	v_cndmask_b32_e32 v9, v15, v14, vcc_lo
	v_add_co_u32 v14, vcc_lo, v3, 1
	v_add_co_ci_u32_e32 v15, vcc_lo, 0, v8, vcc_lo
	v_cmp_ne_u32_e32 vcc_lo, 0, v9
	s_delay_alu instid0(VALU_DEP_2) | instskip(NEXT) | instid1(VALU_DEP_4)
	v_cndmask_b32_e32 v7, v15, v11, vcc_lo
	v_cndmask_b32_e32 v9, v14, v10, vcc_lo
	v_cmp_ne_u32_e32 vcc_lo, 0, v6
	v_xor_b32_e32 v10, s14, v13
	s_delay_alu instid0(VALU_DEP_3) | instskip(NEXT) | instid1(VALU_DEP_1)
	v_dual_cndmask_b32 v3, v3, v9 :: v_dual_cndmask_b32 v6, v8, v7
	v_xor_b32_e32 v3, v3, v10
	s_delay_alu instid0(VALU_DEP_2) | instskip(NEXT) | instid1(VALU_DEP_2)
	v_xor_b32_e32 v7, v6, v10
	v_sub_co_u32 v6, vcc_lo, v3, v10
	s_delay_alu instid0(VALU_DEP_2)
	v_sub_co_ci_u32_e32 v7, vcc_lo, v7, v10, vcc_lo
.LBB28_6:                               ;   in Loop: Header=BB28_4 Depth=1
	s_and_not1_saveexec_b32 s0, s19
; %bb.7:                                ;   in Loop: Header=BB28_4 Depth=1
	v_mul_hi_u32 v3, v4, v12
	s_delay_alu instid0(VALU_DEP_1) | instskip(NEXT) | instid1(VALU_DEP_1)
	v_mul_lo_u32 v6, v3, s16
	v_sub_nc_u32_e32 v6, v4, v6
	s_delay_alu instid0(VALU_DEP_1) | instskip(SKIP_1) | instid1(VALU_DEP_2)
	v_subrev_nc_u32_e32 v8, s16, v6
	v_cmp_le_u32_e32 vcc_lo, s16, v6
	v_dual_cndmask_b32 v6, v6, v8 :: v_dual_add_nc_u32 v7, 1, v3
	s_delay_alu instid0(VALU_DEP_1) | instskip(NEXT) | instid1(VALU_DEP_2)
	v_cndmask_b32_e32 v3, v3, v7, vcc_lo
	v_cmp_le_u32_e32 vcc_lo, s16, v6
	s_delay_alu instid0(VALU_DEP_2) | instskip(NEXT) | instid1(VALU_DEP_1)
	v_add_nc_u32_e32 v7, 1, v3
	v_dual_cndmask_b32 v6, v3, v7 :: v_dual_mov_b32 v7, v2
; %bb.8:                                ;   in Loop: Header=BB28_4 Depth=1
	s_or_b32 exec_lo, exec_lo, s0
	v_mov_b32_e32 v8, 0
	v_mov_b32_e32 v9, 0
	s_and_not1_b32 vcc_lo, exec_lo, s26
	s_cbranch_vccnz .LBB28_3
; %bb.9:                                ;   in Loop: Header=BB28_4 Depth=1
	v_add_co_u32 v10, vcc_lo, s24, v4
	v_add_co_ci_u32_e32 v11, vcc_lo, s25, v5, vcc_lo
	v_mul_lo_u32 v3, s1, v7
	v_mul_lo_u32 v13, s23, v6
	s_mov_b32 s0, exec_lo
	s_delay_alu instid0(VALU_DEP_3) | instskip(NEXT) | instid1(VALU_DEP_1)
	v_mad_u64_u32 v[8:9], null, s1, v6, v[10:11]
                                        ; implicit-def: $vgpr10_vgpr11
	v_add3_u32 v9, v13, v9, v3
	s_delay_alu instid0(VALU_DEP_1) | instskip(NEXT) | instid1(VALU_DEP_1)
	v_or_b32_e32 v3, s13, v9
	v_cmpx_ne_u64_e32 0, v[2:3]
	s_xor_b32 s15, exec_lo, s0
	s_cbranch_execz .LBB28_11
; %bb.10:                               ;   in Loop: Header=BB28_4 Depth=1
	s_add_u32 s20, s12, s18
	s_mov_b32 s19, s18
	s_addc_u32 s21, s13, s18
	s_delay_alu instid0(SALU_CYCLE_1) | instskip(NEXT) | instid1(SALU_CYCLE_1)
	s_xor_b64 s[20:21], s[20:21], s[18:19]
	v_cvt_f32_u32_e32 v3, s20
	v_cvt_f32_u32_e32 v10, s21
	s_sub_u32 s0, 0, s20
	s_subb_u32 s19, 0, s21
	s_delay_alu instid0(VALU_DEP_1) | instskip(NEXT) | instid1(VALU_DEP_1)
	v_fmac_f32_e32 v3, 0x4f800000, v10
	v_rcp_f32_e32 v3, v3
	s_waitcnt_depctr 0xfff
	v_mul_f32_e32 v3, 0x5f7ffffc, v3
	s_delay_alu instid0(VALU_DEP_1) | instskip(NEXT) | instid1(VALU_DEP_1)
	v_mul_f32_e32 v10, 0x2f800000, v3
	v_trunc_f32_e32 v10, v10
	s_delay_alu instid0(VALU_DEP_1) | instskip(SKIP_1) | instid1(VALU_DEP_2)
	v_fmac_f32_e32 v3, 0xcf800000, v10
	v_cvt_u32_f32_e32 v10, v10
	v_cvt_u32_f32_e32 v3, v3
	s_delay_alu instid0(VALU_DEP_2) | instskip(NEXT) | instid1(VALU_DEP_2)
	v_mul_lo_u32 v11, s0, v10
	v_mul_hi_u32 v13, s0, v3
	v_mul_lo_u32 v14, s19, v3
	s_delay_alu instid0(VALU_DEP_2) | instskip(SKIP_1) | instid1(VALU_DEP_2)
	v_add_nc_u32_e32 v11, v13, v11
	v_mul_lo_u32 v13, s0, v3
	v_add_nc_u32_e32 v11, v11, v14
	s_delay_alu instid0(VALU_DEP_2) | instskip(NEXT) | instid1(VALU_DEP_2)
	v_mul_hi_u32 v14, v3, v13
	v_mul_lo_u32 v15, v3, v11
	v_mul_hi_u32 v16, v3, v11
	v_mul_hi_u32 v17, v10, v13
	v_mul_lo_u32 v13, v10, v13
	v_mul_hi_u32 v18, v10, v11
	v_mul_lo_u32 v11, v10, v11
	v_add_co_u32 v14, vcc_lo, v14, v15
	v_add_co_ci_u32_e32 v15, vcc_lo, 0, v16, vcc_lo
	s_delay_alu instid0(VALU_DEP_2) | instskip(NEXT) | instid1(VALU_DEP_2)
	v_add_co_u32 v13, vcc_lo, v14, v13
	v_add_co_ci_u32_e32 v13, vcc_lo, v15, v17, vcc_lo
	v_add_co_ci_u32_e32 v14, vcc_lo, 0, v18, vcc_lo
	v_ashrrev_i32_e32 v17, 31, v9
	s_delay_alu instid0(VALU_DEP_3) | instskip(NEXT) | instid1(VALU_DEP_3)
	v_add_co_u32 v11, vcc_lo, v13, v11
	v_add_co_ci_u32_e32 v13, vcc_lo, 0, v14, vcc_lo
	s_delay_alu instid0(VALU_DEP_2) | instskip(NEXT) | instid1(VALU_DEP_2)
	v_add_co_u32 v3, vcc_lo, v3, v11
	v_add_co_ci_u32_e32 v10, vcc_lo, v10, v13, vcc_lo
	s_delay_alu instid0(VALU_DEP_2) | instskip(SKIP_1) | instid1(VALU_DEP_3)
	v_mul_hi_u32 v11, s0, v3
	v_mul_lo_u32 v14, s19, v3
	v_mul_lo_u32 v13, s0, v10
	s_delay_alu instid0(VALU_DEP_1) | instskip(SKIP_1) | instid1(VALU_DEP_2)
	v_add_nc_u32_e32 v11, v11, v13
	v_mul_lo_u32 v13, s0, v3
	v_add_nc_u32_e32 v11, v11, v14
	s_delay_alu instid0(VALU_DEP_2) | instskip(NEXT) | instid1(VALU_DEP_2)
	v_mul_hi_u32 v14, v3, v13
	v_mul_lo_u32 v15, v3, v11
	v_mul_hi_u32 v16, v3, v11
	v_mul_hi_u32 v18, v10, v13
	v_mul_lo_u32 v13, v10, v13
	v_mul_hi_u32 v19, v10, v11
	v_mul_lo_u32 v11, v10, v11
	v_add_co_u32 v14, vcc_lo, v14, v15
	v_add_co_ci_u32_e32 v15, vcc_lo, 0, v16, vcc_lo
	s_delay_alu instid0(VALU_DEP_2) | instskip(NEXT) | instid1(VALU_DEP_2)
	v_add_co_u32 v13, vcc_lo, v14, v13
	v_add_co_ci_u32_e32 v13, vcc_lo, v15, v18, vcc_lo
	v_add_co_ci_u32_e32 v14, vcc_lo, 0, v19, vcc_lo
	v_add_co_u32 v8, vcc_lo, v8, v17
	v_add_co_ci_u32_e32 v9, vcc_lo, v9, v17, vcc_lo
	s_delay_alu instid0(VALU_DEP_4) | instskip(NEXT) | instid1(VALU_DEP_4)
	v_add_co_u32 v11, vcc_lo, v13, v11
	v_add_co_ci_u32_e32 v13, vcc_lo, 0, v14, vcc_lo
	s_delay_alu instid0(VALU_DEP_4) | instskip(NEXT) | instid1(VALU_DEP_3)
	v_xor_b32_e32 v15, v8, v17
	v_add_co_u32 v3, vcc_lo, v3, v11
	s_delay_alu instid0(VALU_DEP_3) | instskip(SKIP_1) | instid1(VALU_DEP_3)
	v_add_co_ci_u32_e32 v16, vcc_lo, v10, v13, vcc_lo
	v_xor_b32_e32 v18, v9, v17
	v_mul_hi_u32 v19, v15, v3
	s_delay_alu instid0(VALU_DEP_3) | instskip(NEXT) | instid1(VALU_DEP_3)
	v_mad_u64_u32 v[8:9], null, v15, v16, 0
	v_mad_u64_u32 v[10:11], null, v18, v3, 0
	;; [unrolled: 1-line block ×3, first 2 shown]
	s_delay_alu instid0(VALU_DEP_3) | instskip(NEXT) | instid1(VALU_DEP_4)
	v_add_co_u32 v3, vcc_lo, v19, v8
	v_add_co_ci_u32_e32 v8, vcc_lo, 0, v9, vcc_lo
	s_delay_alu instid0(VALU_DEP_2) | instskip(NEXT) | instid1(VALU_DEP_2)
	v_add_co_u32 v3, vcc_lo, v3, v10
	v_add_co_ci_u32_e32 v3, vcc_lo, v8, v11, vcc_lo
	v_add_co_ci_u32_e32 v8, vcc_lo, 0, v14, vcc_lo
	s_delay_alu instid0(VALU_DEP_2) | instskip(NEXT) | instid1(VALU_DEP_2)
	v_add_co_u32 v3, vcc_lo, v3, v13
	v_add_co_ci_u32_e32 v10, vcc_lo, 0, v8, vcc_lo
	s_delay_alu instid0(VALU_DEP_2) | instskip(SKIP_1) | instid1(VALU_DEP_3)
	v_mul_lo_u32 v11, s21, v3
	v_mad_u64_u32 v[8:9], null, s20, v3, 0
	v_mul_lo_u32 v3, s20, v10
	s_delay_alu instid0(VALU_DEP_2) | instskip(NEXT) | instid1(VALU_DEP_2)
	v_sub_co_u32 v8, vcc_lo, v15, v8
	v_add3_u32 v3, v9, v3, v11
	s_delay_alu instid0(VALU_DEP_1) | instskip(NEXT) | instid1(VALU_DEP_1)
	v_sub_nc_u32_e32 v9, v18, v3
	v_subrev_co_ci_u32_e64 v9, s0, s21, v9, vcc_lo
	v_sub_co_ci_u32_e32 v3, vcc_lo, v18, v3, vcc_lo
	v_sub_co_u32 v10, vcc_lo, v8, s20
	s_delay_alu instid0(VALU_DEP_1) | instskip(SKIP_3) | instid1(VALU_DEP_3)
	v_subrev_co_ci_u32_e64 v11, s0, 0, v9, vcc_lo
	v_cmp_le_u32_e64 s0, s20, v8
	v_subrev_co_ci_u32_e32 v9, vcc_lo, s21, v9, vcc_lo
	v_cmp_le_u32_e32 vcc_lo, s21, v3
	v_cndmask_b32_e64 v13, 0, -1, s0
	v_cmp_le_u32_e64 s0, s20, v10
	v_cndmask_b32_e64 v16, 0, -1, vcc_lo
	v_cmp_eq_u32_e32 vcc_lo, s21, v11
	s_delay_alu instid0(VALU_DEP_3) | instskip(SKIP_1) | instid1(VALU_DEP_1)
	v_cndmask_b32_e64 v14, 0, -1, s0
	v_cmp_le_u32_e64 s0, s21, v11
	v_cndmask_b32_e64 v15, 0, -1, s0
	v_cmp_eq_u32_e64 s0, s21, v3
	s_delay_alu instid0(VALU_DEP_2) | instskip(SKIP_2) | instid1(VALU_DEP_3)
	v_cndmask_b32_e32 v14, v15, v14, vcc_lo
	v_sub_co_u32 v15, vcc_lo, v10, s20
	v_subrev_co_ci_u32_e32 v9, vcc_lo, 0, v9, vcc_lo
	v_cmp_ne_u32_e32 vcc_lo, 0, v14
	v_cndmask_b32_e64 v13, v16, v13, s0
	s_delay_alu instid0(VALU_DEP_3) | instskip(NEXT) | instid1(VALU_DEP_2)
	v_dual_cndmask_b32 v9, v11, v9 :: v_dual_cndmask_b32 v10, v10, v15
	v_cmp_ne_u32_e32 vcc_lo, 0, v13
	s_delay_alu instid0(VALU_DEP_2) | instskip(NEXT) | instid1(VALU_DEP_1)
	v_dual_cndmask_b32 v8, v8, v10 :: v_dual_cndmask_b32 v3, v3, v9
	v_xor_b32_e32 v8, v8, v17
	s_delay_alu instid0(VALU_DEP_2) | instskip(NEXT) | instid1(VALU_DEP_2)
	v_xor_b32_e32 v3, v3, v17
	v_sub_co_u32 v10, vcc_lo, v8, v17
	s_delay_alu instid0(VALU_DEP_2)
	v_sub_co_ci_u32_e32 v11, vcc_lo, v3, v17, vcc_lo
                                        ; implicit-def: $vgpr8_vgpr9
.LBB28_11:                              ;   in Loop: Header=BB28_4 Depth=1
	s_and_not1_saveexec_b32 s0, s15
	s_cbranch_execz .LBB28_2
; %bb.12:                               ;   in Loop: Header=BB28_4 Depth=1
	v_cvt_f32_u32_e32 v3, s12
	v_mov_b32_e32 v11, v2
	s_delay_alu instid0(VALU_DEP_2) | instskip(SKIP_2) | instid1(VALU_DEP_1)
	v_rcp_iflag_f32_e32 v3, v3
	s_waitcnt_depctr 0xfff
	v_mul_f32_e32 v3, 0x4f7ffffe, v3
	v_cvt_u32_f32_e32 v3, v3
	s_delay_alu instid0(VALU_DEP_1) | instskip(NEXT) | instid1(VALU_DEP_1)
	v_mul_lo_u32 v9, s27, v3
	v_mul_hi_u32 v9, v3, v9
	s_delay_alu instid0(VALU_DEP_1) | instskip(NEXT) | instid1(VALU_DEP_1)
	v_add_nc_u32_e32 v3, v3, v9
	v_mul_hi_u32 v3, v8, v3
	s_delay_alu instid0(VALU_DEP_1) | instskip(NEXT) | instid1(VALU_DEP_1)
	v_mul_lo_u32 v3, v3, s12
	v_sub_nc_u32_e32 v3, v8, v3
	s_delay_alu instid0(VALU_DEP_1) | instskip(SKIP_1) | instid1(VALU_DEP_2)
	v_subrev_nc_u32_e32 v8, s12, v3
	v_cmp_le_u32_e32 vcc_lo, s12, v3
	v_cndmask_b32_e32 v3, v3, v8, vcc_lo
	s_delay_alu instid0(VALU_DEP_1) | instskip(SKIP_1) | instid1(VALU_DEP_2)
	v_subrev_nc_u32_e32 v8, s12, v3
	v_cmp_le_u32_e32 vcc_lo, s12, v3
	v_cndmask_b32_e32 v10, v3, v8, vcc_lo
	s_branch .LBB28_2
.LBB28_13:
	s_nop 0
	s_sendmsg sendmsg(MSG_DEALLOC_VGPRS)
	s_endpgm
	.section	.rodata,"a",@progbits
	.p2align	6, 0x0
	.amdhsa_kernel _ZN2at6native12_GLOBAL__N_121reflection_pad1d_flatIiEEvPKT_PS3_lllll
		.amdhsa_group_segment_fixed_size 0
		.amdhsa_private_segment_fixed_size 0
		.amdhsa_kernarg_size 312
		.amdhsa_user_sgpr_count 15
		.amdhsa_user_sgpr_dispatch_ptr 0
		.amdhsa_user_sgpr_queue_ptr 0
		.amdhsa_user_sgpr_kernarg_segment_ptr 1
		.amdhsa_user_sgpr_dispatch_id 0
		.amdhsa_user_sgpr_private_segment_size 0
		.amdhsa_wavefront_size32 1
		.amdhsa_uses_dynamic_stack 0
		.amdhsa_enable_private_segment 0
		.amdhsa_system_sgpr_workgroup_id_x 1
		.amdhsa_system_sgpr_workgroup_id_y 0
		.amdhsa_system_sgpr_workgroup_id_z 0
		.amdhsa_system_sgpr_workgroup_info 0
		.amdhsa_system_vgpr_workitem_id 0
		.amdhsa_next_free_vgpr 20
		.amdhsa_next_free_sgpr 28
		.amdhsa_reserve_vcc 1
		.amdhsa_float_round_mode_32 0
		.amdhsa_float_round_mode_16_64 0
		.amdhsa_float_denorm_mode_32 3
		.amdhsa_float_denorm_mode_16_64 3
		.amdhsa_dx10_clamp 1
		.amdhsa_ieee_mode 1
		.amdhsa_fp16_overflow 0
		.amdhsa_workgroup_processor_mode 1
		.amdhsa_memory_ordered 1
		.amdhsa_forward_progress 0
		.amdhsa_shared_vgpr_count 0
		.amdhsa_exception_fp_ieee_invalid_op 0
		.amdhsa_exception_fp_denorm_src 0
		.amdhsa_exception_fp_ieee_div_zero 0
		.amdhsa_exception_fp_ieee_overflow 0
		.amdhsa_exception_fp_ieee_underflow 0
		.amdhsa_exception_fp_ieee_inexact 0
		.amdhsa_exception_int_div_zero 0
	.end_amdhsa_kernel
	.section	.text._ZN2at6native12_GLOBAL__N_121reflection_pad1d_flatIiEEvPKT_PS3_lllll,"axG",@progbits,_ZN2at6native12_GLOBAL__N_121reflection_pad1d_flatIiEEvPKT_PS3_lllll,comdat
.Lfunc_end28:
	.size	_ZN2at6native12_GLOBAL__N_121reflection_pad1d_flatIiEEvPKT_PS3_lllll, .Lfunc_end28-_ZN2at6native12_GLOBAL__N_121reflection_pad1d_flatIiEEvPKT_PS3_lllll
                                        ; -- End function
	.section	.AMDGPU.csdata,"",@progbits
; Kernel info:
; codeLenInByte = 2464
; NumSgprs: 30
; NumVgprs: 20
; ScratchSize: 0
; MemoryBound: 0
; FloatMode: 240
; IeeeMode: 1
; LDSByteSize: 0 bytes/workgroup (compile time only)
; SGPRBlocks: 3
; VGPRBlocks: 2
; NumSGPRsForWavesPerEU: 30
; NumVGPRsForWavesPerEU: 20
; Occupancy: 16
; WaveLimiterHint : 0
; COMPUTE_PGM_RSRC2:SCRATCH_EN: 0
; COMPUTE_PGM_RSRC2:USER_SGPR: 15
; COMPUTE_PGM_RSRC2:TRAP_HANDLER: 0
; COMPUTE_PGM_RSRC2:TGID_X_EN: 1
; COMPUTE_PGM_RSRC2:TGID_Y_EN: 0
; COMPUTE_PGM_RSRC2:TGID_Z_EN: 0
; COMPUTE_PGM_RSRC2:TIDIG_COMP_CNT: 0
	.section	.text._ZN2at6native12_GLOBAL__N_127reflection_pad1d_out_kernelIlEEvPKT_PS3_lll,"axG",@progbits,_ZN2at6native12_GLOBAL__N_127reflection_pad1d_out_kernelIlEEvPKT_PS3_lll,comdat
	.globl	_ZN2at6native12_GLOBAL__N_127reflection_pad1d_out_kernelIlEEvPKT_PS3_lll ; -- Begin function _ZN2at6native12_GLOBAL__N_127reflection_pad1d_out_kernelIlEEvPKT_PS3_lll
	.p2align	8
	.type	_ZN2at6native12_GLOBAL__N_127reflection_pad1d_out_kernelIlEEvPKT_PS3_lll,@function
_ZN2at6native12_GLOBAL__N_127reflection_pad1d_out_kernelIlEEvPKT_PS3_lll: ; @_ZN2at6native12_GLOBAL__N_127reflection_pad1d_out_kernelIlEEvPKT_PS3_lll
; %bb.0:
	s_clause 0x2
	s_load_b32 s12, s[0:1], 0x34
	s_load_b256 s[4:11], s[0:1], 0x0
	s_load_b64 s[16:17], s[0:1], 0x20
	v_mov_b32_e32 v1, 0
	s_add_u32 s2, s0, 40
	s_addc_u32 s3, s1, 0
	s_waitcnt lgkmcnt(0)
	s_and_b32 s0, s12, 0xffff
	s_add_u32 s12, s10, s8
	v_mad_u64_u32 v[2:3], null, s0, s13, v[0:1]
	s_addc_u32 s13, s11, s9
	s_add_u32 s0, s12, s16
	s_addc_u32 s1, s13, s17
	s_mov_b32 s16, exec_lo
	s_delay_alu instid0(VALU_DEP_1)
	v_cmpx_gt_i64_e64 s[0:1], v[2:3]
	s_cbranch_execz .LBB29_2
; %bb.1:
	s_load_b32 s16, s[2:3], 0x4
	v_sub_co_u32 v0, vcc_lo, v2, s12
	v_subrev_co_ci_u32_e32 v1, vcc_lo, s13, v3, vcc_lo
	v_sub_co_u32 v4, vcc_lo, v2, s10
	v_subrev_co_ci_u32_e32 v5, vcc_lo, s11, v3, vcc_lo
	s_delay_alu instid0(VALU_DEP_4) | instskip(NEXT) | instid1(VALU_DEP_4)
	v_add_co_u32 v0, vcc_lo, v0, 1
	v_add_co_ci_u32_e32 v1, vcc_lo, 0, v1, vcc_lo
	s_sub_u32 s2, 0, s10
	s_subb_u32 s3, 0, s11
	v_cmp_gt_i64_e64 s17, s[10:11], 0
	s_delay_alu instid0(VALU_DEP_2)
	v_ashrrev_i32_e32 v6, 31, v1
	v_ashrrev_i32_e32 v7, 31, v5
	s_waitcnt lgkmcnt(0)
	s_mul_i32 s15, s16, s15
	v_cmp_gt_i64_e64 s16, s[2:3], 0
	s_add_i32 s14, s15, s14
	v_xor_b32_e32 v0, v0, v6
	s_mul_i32 s9, s14, s9
	s_mul_hi_u32 s15, s14, s8
	s_mul_i32 s1, s1, s14
	s_mul_hi_u32 s18, s0, s14
	v_xor_b32_e32 v1, v1, v6
	s_add_i32 s9, s15, s9
	s_add_i32 s1, s18, s1
	s_and_b32 s15, s16, exec_lo
	s_cselect_b32 s15, s3, 0
	s_cselect_b32 s16, s2, 0
	s_and_b32 s2, s17, exec_lo
	v_sub_co_u32 v0, vcc_lo, v0, v6
	s_cselect_b32 s3, s11, 0
	s_cselect_b32 s2, s10, 0
	v_sub_co_ci_u32_e32 v1, vcc_lo, v1, v6, vcc_lo
	s_not_b64 s[2:3], s[2:3]
	s_add_u32 s10, s12, s10
	s_addc_u32 s11, s13, s11
	v_add_co_u32 v0, vcc_lo, v2, v0
	s_add_u32 s2, s10, s2
	s_addc_u32 s3, s11, s3
	v_add_co_ci_u32_e32 v1, vcc_lo, v3, v1, vcc_lo
	s_add_u32 s2, s2, s16
	v_xor_b32_e32 v4, v4, v7
	s_addc_u32 s3, s3, s15
	v_sub_co_u32 v0, vcc_lo, s2, v0
	v_xor_b32_e32 v5, v5, v7
	v_sub_co_ci_u32_e32 v1, vcc_lo, s3, v1, vcc_lo
	v_sub_co_u32 v4, vcc_lo, v4, v7
	s_delay_alu instid0(VALU_DEP_3) | instskip(NEXT) | instid1(VALU_DEP_3)
	v_sub_co_ci_u32_e32 v5, vcc_lo, v5, v7, vcc_lo
	v_lshlrev_b64 v[0:1], 3, v[0:1]
	s_mul_i32 s8, s14, s8
	s_mul_i32 s0, s0, s14
	s_delay_alu instid0(VALU_DEP_2)
	v_lshlrev_b64 v[4:5], 3, v[4:5]
	s_lshl_b64 s[2:3], s[8:9], 3
	v_lshlrev_b64 v[2:3], 3, v[2:3]
	v_add_co_u32 v0, vcc_lo, s4, v0
	v_add_co_ci_u32_e32 v1, vcc_lo, s5, v1, vcc_lo
	s_lshl_b64 s[0:1], s[0:1], 3
	s_delay_alu instid0(VALU_DEP_2) | instskip(NEXT) | instid1(VALU_DEP_2)
	v_add_co_u32 v0, vcc_lo, v0, v4
	v_add_co_ci_u32_e32 v1, vcc_lo, v1, v5, vcc_lo
	s_add_u32 s0, s6, s0
	s_delay_alu instid0(VALU_DEP_2) | instskip(NEXT) | instid1(VALU_DEP_2)
	v_add_co_u32 v0, vcc_lo, v0, s2
	v_add_co_ci_u32_e32 v1, vcc_lo, s3, v1, vcc_lo
	s_addc_u32 s1, s7, s1
	v_add_co_u32 v2, vcc_lo, s0, v2
	global_load_b64 v[0:1], v[0:1], off
	v_add_co_ci_u32_e32 v3, vcc_lo, s1, v3, vcc_lo
	s_waitcnt vmcnt(0)
	global_store_b64 v[2:3], v[0:1], off
.LBB29_2:
	s_nop 0
	s_sendmsg sendmsg(MSG_DEALLOC_VGPRS)
	s_endpgm
	.section	.rodata,"a",@progbits
	.p2align	6, 0x0
	.amdhsa_kernel _ZN2at6native12_GLOBAL__N_127reflection_pad1d_out_kernelIlEEvPKT_PS3_lll
		.amdhsa_group_segment_fixed_size 0
		.amdhsa_private_segment_fixed_size 0
		.amdhsa_kernarg_size 296
		.amdhsa_user_sgpr_count 13
		.amdhsa_user_sgpr_dispatch_ptr 0
		.amdhsa_user_sgpr_queue_ptr 0
		.amdhsa_user_sgpr_kernarg_segment_ptr 1
		.amdhsa_user_sgpr_dispatch_id 0
		.amdhsa_user_sgpr_private_segment_size 0
		.amdhsa_wavefront_size32 1
		.amdhsa_uses_dynamic_stack 0
		.amdhsa_enable_private_segment 0
		.amdhsa_system_sgpr_workgroup_id_x 1
		.amdhsa_system_sgpr_workgroup_id_y 1
		.amdhsa_system_sgpr_workgroup_id_z 1
		.amdhsa_system_sgpr_workgroup_info 0
		.amdhsa_system_vgpr_workitem_id 0
		.amdhsa_next_free_vgpr 8
		.amdhsa_next_free_sgpr 19
		.amdhsa_reserve_vcc 1
		.amdhsa_float_round_mode_32 0
		.amdhsa_float_round_mode_16_64 0
		.amdhsa_float_denorm_mode_32 3
		.amdhsa_float_denorm_mode_16_64 3
		.amdhsa_dx10_clamp 1
		.amdhsa_ieee_mode 1
		.amdhsa_fp16_overflow 0
		.amdhsa_workgroup_processor_mode 1
		.amdhsa_memory_ordered 1
		.amdhsa_forward_progress 0
		.amdhsa_shared_vgpr_count 0
		.amdhsa_exception_fp_ieee_invalid_op 0
		.amdhsa_exception_fp_denorm_src 0
		.amdhsa_exception_fp_ieee_div_zero 0
		.amdhsa_exception_fp_ieee_overflow 0
		.amdhsa_exception_fp_ieee_underflow 0
		.amdhsa_exception_fp_ieee_inexact 0
		.amdhsa_exception_int_div_zero 0
	.end_amdhsa_kernel
	.section	.text._ZN2at6native12_GLOBAL__N_127reflection_pad1d_out_kernelIlEEvPKT_PS3_lll,"axG",@progbits,_ZN2at6native12_GLOBAL__N_127reflection_pad1d_out_kernelIlEEvPKT_PS3_lll,comdat
.Lfunc_end29:
	.size	_ZN2at6native12_GLOBAL__N_127reflection_pad1d_out_kernelIlEEvPKT_PS3_lll, .Lfunc_end29-_ZN2at6native12_GLOBAL__N_127reflection_pad1d_out_kernelIlEEvPKT_PS3_lll
                                        ; -- End function
	.section	.AMDGPU.csdata,"",@progbits
; Kernel info:
; codeLenInByte = 476
; NumSgprs: 21
; NumVgprs: 8
; ScratchSize: 0
; MemoryBound: 0
; FloatMode: 240
; IeeeMode: 1
; LDSByteSize: 0 bytes/workgroup (compile time only)
; SGPRBlocks: 2
; VGPRBlocks: 0
; NumSGPRsForWavesPerEU: 21
; NumVGPRsForWavesPerEU: 8
; Occupancy: 16
; WaveLimiterHint : 0
; COMPUTE_PGM_RSRC2:SCRATCH_EN: 0
; COMPUTE_PGM_RSRC2:USER_SGPR: 13
; COMPUTE_PGM_RSRC2:TRAP_HANDLER: 0
; COMPUTE_PGM_RSRC2:TGID_X_EN: 1
; COMPUTE_PGM_RSRC2:TGID_Y_EN: 1
; COMPUTE_PGM_RSRC2:TGID_Z_EN: 1
; COMPUTE_PGM_RSRC2:TIDIG_COMP_CNT: 0
	.section	.text._ZN2at6native12_GLOBAL__N_121reflection_pad1d_flatIlEEvPKT_PS3_lllll,"axG",@progbits,_ZN2at6native12_GLOBAL__N_121reflection_pad1d_flatIlEEvPKT_PS3_lllll,comdat
	.globl	_ZN2at6native12_GLOBAL__N_121reflection_pad1d_flatIlEEvPKT_PS3_lllll ; -- Begin function _ZN2at6native12_GLOBAL__N_121reflection_pad1d_flatIlEEvPKT_PS3_lllll
	.p2align	8
	.type	_ZN2at6native12_GLOBAL__N_121reflection_pad1d_flatIlEEvPKT_PS3_lllll,@function
_ZN2at6native12_GLOBAL__N_121reflection_pad1d_flatIlEEvPKT_PS3_lllll: ; @_ZN2at6native12_GLOBAL__N_121reflection_pad1d_flatIlEEvPKT_PS3_lllll
; %bb.0:
	s_clause 0x1
	s_load_b32 s2, s[0:1], 0x44
	s_load_b128 s[16:19], s[0:1], 0x28
	v_mov_b32_e32 v2, 0
	s_add_u32 s12, s0, 56
	s_addc_u32 s13, s1, 0
	s_mov_b32 s22, 0
	s_mov_b32 s4, exec_lo
	v_mov_b32_e32 v1, v2
	s_waitcnt lgkmcnt(0)
	s_and_b32 s14, s2, 0xffff
	s_mul_i32 s2, s18, s17
	s_delay_alu instid0(VALU_DEP_1) | instskip(SKIP_1) | instid1(SALU_CYCLE_1)
	v_mad_u64_u32 v[4:5], null, s14, s15, v[0:1]
	s_mul_hi_u32 s3, s18, s16
	s_add_i32 s2, s3, s2
	s_mul_i32 s3, s19, s16
	s_delay_alu instid0(SALU_CYCLE_1)
	s_add_i32 s3, s2, s3
	s_mul_i32 s2, s18, s16
	s_delay_alu instid0(VALU_DEP_1) | instid1(SALU_CYCLE_1)
	v_cmpx_gt_i64_e64 s[2:3], v[4:5]
	s_cbranch_execz .LBB30_13
; %bb.1:
	s_load_b256 s[4:11], s[0:1], 0x0
	v_cvt_f32_u32_e32 v0, s16
	s_load_b32 s15, s[12:13], 0x0
	s_delay_alu instid0(VALU_DEP_1) | instskip(SKIP_4) | instid1(VALU_DEP_1)
	v_rcp_iflag_f32_e32 v0, v0
	s_waitcnt_depctr 0xfff
	v_mul_f32_e32 v0, 0x4f7ffffe, v0
	s_waitcnt lgkmcnt(0)
	s_lshl_b64 s[0:1], s[8:9], 1
	v_cvt_u32_f32_e32 v3, v0
	s_add_u32 s12, s0, -2
	s_addc_u32 s13, s1, -1
	s_sub_u32 s1, 0, s16
	s_subb_u32 s23, 0, s17
	s_sub_u32 s24, 0, s10
	s_subb_u32 s25, 0, s11
	s_sub_i32 s0, 0, s16
	v_lshlrev_b64 v[0:1], 3, v[4:5]
	v_mul_lo_u32 v6, s0, v3
	v_cmp_gt_i64_e64 s26, s[12:13], 0
	s_mul_hi_u32 s11, s14, s15
	s_mul_i32 s10, s14, s15
	s_ashr_i32 s14, s17, 31
	v_add_co_u32 v0, vcc_lo, s6, v0
	v_add_co_ci_u32_e32 v1, vcc_lo, s7, v1, vcc_lo
	s_delay_alu instid0(VALU_DEP_4) | instskip(SKIP_3) | instid1(VALU_DEP_1)
	v_mul_hi_u32 v6, v3, v6
	s_lshl_b64 s[6:7], s[10:11], 3
	s_ashr_i32 s18, s13, 31
	s_sub_i32 s27, 0, s12
	v_add_nc_u32_e32 v12, v3, v6
	s_branch .LBB30_4
.LBB30_2:                               ;   in Loop: Header=BB30_4 Depth=1
	s_or_b32 exec_lo, exec_lo, s0
	s_delay_alu instid0(VALU_DEP_1) | instskip(NEXT) | instid1(VALU_DEP_1)
	v_ashrrev_i32_e32 v3, 31, v11
	v_and_b32_e32 v8, s12, v3
	v_and_b32_e32 v3, s13, v3
	s_delay_alu instid0(VALU_DEP_2) | instskip(NEXT) | instid1(VALU_DEP_2)
	v_add_co_u32 v8, vcc_lo, v8, v10
	v_add_co_ci_u32_e32 v9, vcc_lo, v3, v11, vcc_lo
	s_delay_alu instid0(VALU_DEP_2) | instskip(NEXT) | instid1(VALU_DEP_2)
	v_sub_co_u32 v3, vcc_lo, s12, v8
	v_sub_co_ci_u32_e32 v10, vcc_lo, s13, v9, vcc_lo
	v_cmp_gt_i64_e32 vcc_lo, s[8:9], v[8:9]
	s_delay_alu instid0(VALU_DEP_2)
	v_dual_cndmask_b32 v9, v10, v9 :: v_dual_cndmask_b32 v8, v3, v8
.LBB30_3:                               ;   in Loop: Header=BB30_4 Depth=1
	v_mul_lo_u32 v3, v7, s8
	v_mul_lo_u32 v7, v6, s9
	v_mad_u64_u32 v[10:11], null, v6, s8, 0
	s_delay_alu instid0(VALU_DEP_4) | instskip(NEXT) | instid1(VALU_DEP_2)
	v_lshlrev_b64 v[8:9], 3, v[8:9]
	v_add3_u32 v11, v11, v7, v3
	s_delay_alu instid0(VALU_DEP_1) | instskip(NEXT) | instid1(VALU_DEP_1)
	v_lshlrev_b64 v[6:7], 3, v[10:11]
	v_add_co_u32 v3, vcc_lo, s4, v6
	s_delay_alu instid0(VALU_DEP_2) | instskip(NEXT) | instid1(VALU_DEP_2)
	v_add_co_ci_u32_e32 v7, vcc_lo, s5, v7, vcc_lo
	v_add_co_u32 v6, vcc_lo, v3, v8
	s_delay_alu instid0(VALU_DEP_2)
	v_add_co_ci_u32_e32 v7, vcc_lo, v7, v9, vcc_lo
	v_add_co_u32 v4, vcc_lo, v4, s10
	v_add_co_ci_u32_e32 v5, vcc_lo, s11, v5, vcc_lo
	global_load_b64 v[6:7], v[6:7], off
	v_cmp_le_i64_e32 vcc_lo, s[2:3], v[4:5]
	s_or_b32 s22, vcc_lo, s22
	s_waitcnt vmcnt(0)
	global_store_b64 v[0:1], v[6:7], off
	v_add_co_u32 v0, s0, v0, s6
	s_delay_alu instid0(VALU_DEP_1)
	v_add_co_ci_u32_e64 v1, s0, s7, v1, s0
	s_and_not1_b32 exec_lo, exec_lo, s22
	s_cbranch_execz .LBB30_13
.LBB30_4:                               ; =>This Inner Loop Header: Depth=1
	v_or_b32_e32 v3, s17, v5
                                        ; implicit-def: $vgpr6_vgpr7
	s_mov_b32 s0, exec_lo
	s_delay_alu instid0(VALU_DEP_1)
	v_cmpx_ne_u64_e32 0, v[2:3]
	s_xor_b32 s19, exec_lo, s0
	s_cbranch_execz .LBB30_6
; %bb.5:                                ;   in Loop: Header=BB30_4 Depth=1
	s_add_u32 s20, s16, s14
	s_mov_b32 s15, s14
	s_addc_u32 s21, s17, s14
	s_delay_alu instid0(SALU_CYCLE_1) | instskip(NEXT) | instid1(SALU_CYCLE_1)
	s_xor_b64 s[20:21], s[20:21], s[14:15]
	v_cvt_f32_u32_e32 v3, s20
	v_cvt_f32_u32_e32 v6, s21
	s_sub_u32 s0, 0, s20
	s_subb_u32 s15, 0, s21
	s_delay_alu instid0(VALU_DEP_1) | instskip(NEXT) | instid1(VALU_DEP_1)
	v_fmac_f32_e32 v3, 0x4f800000, v6
	v_rcp_f32_e32 v3, v3
	s_waitcnt_depctr 0xfff
	v_mul_f32_e32 v3, 0x5f7ffffc, v3
	s_delay_alu instid0(VALU_DEP_1) | instskip(NEXT) | instid1(VALU_DEP_1)
	v_mul_f32_e32 v6, 0x2f800000, v3
	v_trunc_f32_e32 v6, v6
	s_delay_alu instid0(VALU_DEP_1) | instskip(SKIP_1) | instid1(VALU_DEP_2)
	v_fmac_f32_e32 v3, 0xcf800000, v6
	v_cvt_u32_f32_e32 v6, v6
	v_cvt_u32_f32_e32 v3, v3
	s_delay_alu instid0(VALU_DEP_2) | instskip(NEXT) | instid1(VALU_DEP_2)
	v_mul_lo_u32 v7, s0, v6
	v_mul_hi_u32 v8, s0, v3
	v_mul_lo_u32 v9, s15, v3
	s_delay_alu instid0(VALU_DEP_2) | instskip(SKIP_1) | instid1(VALU_DEP_2)
	v_add_nc_u32_e32 v7, v8, v7
	v_mul_lo_u32 v8, s0, v3
	v_add_nc_u32_e32 v7, v7, v9
	s_delay_alu instid0(VALU_DEP_2) | instskip(NEXT) | instid1(VALU_DEP_2)
	v_mul_hi_u32 v9, v3, v8
	v_mul_lo_u32 v10, v3, v7
	v_mul_hi_u32 v11, v3, v7
	v_mul_hi_u32 v13, v6, v8
	v_mul_lo_u32 v8, v6, v8
	v_mul_hi_u32 v14, v6, v7
	v_mul_lo_u32 v7, v6, v7
	v_add_co_u32 v9, vcc_lo, v9, v10
	v_add_co_ci_u32_e32 v10, vcc_lo, 0, v11, vcc_lo
	s_delay_alu instid0(VALU_DEP_2) | instskip(NEXT) | instid1(VALU_DEP_2)
	v_add_co_u32 v8, vcc_lo, v9, v8
	v_add_co_ci_u32_e32 v8, vcc_lo, v10, v13, vcc_lo
	v_add_co_ci_u32_e32 v9, vcc_lo, 0, v14, vcc_lo
	v_ashrrev_i32_e32 v13, 31, v5
	s_delay_alu instid0(VALU_DEP_3) | instskip(NEXT) | instid1(VALU_DEP_3)
	v_add_co_u32 v7, vcc_lo, v8, v7
	v_add_co_ci_u32_e32 v8, vcc_lo, 0, v9, vcc_lo
	s_delay_alu instid0(VALU_DEP_2) | instskip(NEXT) | instid1(VALU_DEP_2)
	v_add_co_u32 v3, vcc_lo, v3, v7
	v_add_co_ci_u32_e32 v6, vcc_lo, v6, v8, vcc_lo
	s_delay_alu instid0(VALU_DEP_2) | instskip(SKIP_1) | instid1(VALU_DEP_3)
	v_mul_hi_u32 v7, s0, v3
	v_mul_lo_u32 v9, s15, v3
	v_mul_lo_u32 v8, s0, v6
	s_delay_alu instid0(VALU_DEP_1) | instskip(SKIP_1) | instid1(VALU_DEP_2)
	v_add_nc_u32_e32 v7, v7, v8
	v_mul_lo_u32 v8, s0, v3
	v_add_nc_u32_e32 v7, v7, v9
	s_delay_alu instid0(VALU_DEP_2) | instskip(NEXT) | instid1(VALU_DEP_2)
	v_mul_hi_u32 v9, v3, v8
	v_mul_lo_u32 v10, v3, v7
	v_mul_hi_u32 v11, v3, v7
	v_mul_hi_u32 v14, v6, v8
	v_mul_lo_u32 v8, v6, v8
	v_mul_hi_u32 v15, v6, v7
	v_mul_lo_u32 v7, v6, v7
	v_add_co_u32 v9, vcc_lo, v9, v10
	v_add_co_ci_u32_e32 v10, vcc_lo, 0, v11, vcc_lo
	s_delay_alu instid0(VALU_DEP_2) | instskip(NEXT) | instid1(VALU_DEP_2)
	v_add_co_u32 v8, vcc_lo, v9, v8
	v_add_co_ci_u32_e32 v8, vcc_lo, v10, v14, vcc_lo
	v_add_co_ci_u32_e32 v9, vcc_lo, 0, v15, vcc_lo
	v_add_co_u32 v10, vcc_lo, v4, v13
	v_add_co_ci_u32_e32 v11, vcc_lo, v5, v13, vcc_lo
	s_delay_alu instid0(VALU_DEP_4) | instskip(NEXT) | instid1(VALU_DEP_4)
	v_add_co_u32 v7, vcc_lo, v8, v7
	v_add_co_ci_u32_e32 v8, vcc_lo, 0, v9, vcc_lo
	s_delay_alu instid0(VALU_DEP_4) | instskip(NEXT) | instid1(VALU_DEP_3)
	v_xor_b32_e32 v14, v10, v13
	v_add_co_u32 v3, vcc_lo, v3, v7
	s_delay_alu instid0(VALU_DEP_3) | instskip(SKIP_1) | instid1(VALU_DEP_3)
	v_add_co_ci_u32_e32 v15, vcc_lo, v6, v8, vcc_lo
	v_xor_b32_e32 v16, v11, v13
	v_mul_hi_u32 v17, v14, v3
	s_delay_alu instid0(VALU_DEP_3) | instskip(NEXT) | instid1(VALU_DEP_3)
	v_mad_u64_u32 v[6:7], null, v14, v15, 0
	v_mad_u64_u32 v[8:9], null, v16, v3, 0
	v_mad_u64_u32 v[10:11], null, v16, v15, 0
	s_delay_alu instid0(VALU_DEP_3) | instskip(NEXT) | instid1(VALU_DEP_4)
	v_add_co_u32 v3, vcc_lo, v17, v6
	v_add_co_ci_u32_e32 v6, vcc_lo, 0, v7, vcc_lo
	s_delay_alu instid0(VALU_DEP_2) | instskip(NEXT) | instid1(VALU_DEP_2)
	v_add_co_u32 v3, vcc_lo, v3, v8
	v_add_co_ci_u32_e32 v3, vcc_lo, v6, v9, vcc_lo
	v_add_co_ci_u32_e32 v6, vcc_lo, 0, v11, vcc_lo
	s_delay_alu instid0(VALU_DEP_2) | instskip(NEXT) | instid1(VALU_DEP_2)
	v_add_co_u32 v3, vcc_lo, v3, v10
	v_add_co_ci_u32_e32 v8, vcc_lo, 0, v6, vcc_lo
	s_delay_alu instid0(VALU_DEP_2) | instskip(SKIP_1) | instid1(VALU_DEP_3)
	v_mul_lo_u32 v9, s21, v3
	v_mad_u64_u32 v[6:7], null, s20, v3, 0
	v_mul_lo_u32 v10, s20, v8
	s_delay_alu instid0(VALU_DEP_2) | instskip(NEXT) | instid1(VALU_DEP_2)
	v_sub_co_u32 v6, vcc_lo, v14, v6
	v_add3_u32 v7, v7, v10, v9
	s_delay_alu instid0(VALU_DEP_1) | instskip(NEXT) | instid1(VALU_DEP_1)
	v_sub_nc_u32_e32 v9, v16, v7
	v_subrev_co_ci_u32_e64 v9, s0, s21, v9, vcc_lo
	v_add_co_u32 v10, s0, v3, 2
	s_delay_alu instid0(VALU_DEP_1) | instskip(SKIP_3) | instid1(VALU_DEP_3)
	v_add_co_ci_u32_e64 v11, s0, 0, v8, s0
	v_sub_co_u32 v14, s0, v6, s20
	v_sub_co_ci_u32_e32 v7, vcc_lo, v16, v7, vcc_lo
	v_subrev_co_ci_u32_e64 v9, s0, 0, v9, s0
	v_cmp_le_u32_e32 vcc_lo, s20, v14
	s_delay_alu instid0(VALU_DEP_3) | instskip(SKIP_1) | instid1(VALU_DEP_4)
	v_cmp_eq_u32_e64 s0, s21, v7
	v_cndmask_b32_e64 v14, 0, -1, vcc_lo
	v_cmp_le_u32_e32 vcc_lo, s21, v9
	v_cndmask_b32_e64 v15, 0, -1, vcc_lo
	v_cmp_le_u32_e32 vcc_lo, s20, v6
	;; [unrolled: 2-line block ×3, first 2 shown]
	v_cndmask_b32_e64 v16, 0, -1, vcc_lo
	v_cmp_eq_u32_e32 vcc_lo, s21, v9
	s_delay_alu instid0(VALU_DEP_2) | instskip(SKIP_3) | instid1(VALU_DEP_3)
	v_cndmask_b32_e64 v6, v16, v6, s0
	v_cndmask_b32_e32 v9, v15, v14, vcc_lo
	v_add_co_u32 v14, vcc_lo, v3, 1
	v_add_co_ci_u32_e32 v15, vcc_lo, 0, v8, vcc_lo
	v_cmp_ne_u32_e32 vcc_lo, 0, v9
	s_delay_alu instid0(VALU_DEP_2) | instskip(NEXT) | instid1(VALU_DEP_4)
	v_cndmask_b32_e32 v7, v15, v11, vcc_lo
	v_cndmask_b32_e32 v9, v14, v10, vcc_lo
	v_cmp_ne_u32_e32 vcc_lo, 0, v6
	v_xor_b32_e32 v10, s14, v13
	s_delay_alu instid0(VALU_DEP_3) | instskip(NEXT) | instid1(VALU_DEP_1)
	v_dual_cndmask_b32 v3, v3, v9 :: v_dual_cndmask_b32 v6, v8, v7
	v_xor_b32_e32 v3, v3, v10
	s_delay_alu instid0(VALU_DEP_2) | instskip(NEXT) | instid1(VALU_DEP_2)
	v_xor_b32_e32 v7, v6, v10
	v_sub_co_u32 v6, vcc_lo, v3, v10
	s_delay_alu instid0(VALU_DEP_2)
	v_sub_co_ci_u32_e32 v7, vcc_lo, v7, v10, vcc_lo
.LBB30_6:                               ;   in Loop: Header=BB30_4 Depth=1
	s_and_not1_saveexec_b32 s0, s19
; %bb.7:                                ;   in Loop: Header=BB30_4 Depth=1
	v_mul_hi_u32 v3, v4, v12
	s_delay_alu instid0(VALU_DEP_1) | instskip(NEXT) | instid1(VALU_DEP_1)
	v_mul_lo_u32 v6, v3, s16
	v_sub_nc_u32_e32 v6, v4, v6
	s_delay_alu instid0(VALU_DEP_1) | instskip(SKIP_1) | instid1(VALU_DEP_2)
	v_subrev_nc_u32_e32 v8, s16, v6
	v_cmp_le_u32_e32 vcc_lo, s16, v6
	v_dual_cndmask_b32 v6, v6, v8 :: v_dual_add_nc_u32 v7, 1, v3
	s_delay_alu instid0(VALU_DEP_1) | instskip(NEXT) | instid1(VALU_DEP_2)
	v_cndmask_b32_e32 v3, v3, v7, vcc_lo
	v_cmp_le_u32_e32 vcc_lo, s16, v6
	s_delay_alu instid0(VALU_DEP_2) | instskip(NEXT) | instid1(VALU_DEP_1)
	v_add_nc_u32_e32 v7, 1, v3
	v_dual_cndmask_b32 v6, v3, v7 :: v_dual_mov_b32 v7, v2
; %bb.8:                                ;   in Loop: Header=BB30_4 Depth=1
	s_or_b32 exec_lo, exec_lo, s0
	v_mov_b32_e32 v8, 0
	v_mov_b32_e32 v9, 0
	s_and_not1_b32 vcc_lo, exec_lo, s26
	s_cbranch_vccnz .LBB30_3
; %bb.9:                                ;   in Loop: Header=BB30_4 Depth=1
	v_add_co_u32 v10, vcc_lo, s24, v4
	v_add_co_ci_u32_e32 v11, vcc_lo, s25, v5, vcc_lo
	v_mul_lo_u32 v3, s1, v7
	v_mul_lo_u32 v13, s23, v6
	s_mov_b32 s0, exec_lo
	s_delay_alu instid0(VALU_DEP_3) | instskip(NEXT) | instid1(VALU_DEP_1)
	v_mad_u64_u32 v[8:9], null, s1, v6, v[10:11]
                                        ; implicit-def: $vgpr10_vgpr11
	v_add3_u32 v9, v13, v9, v3
	s_delay_alu instid0(VALU_DEP_1) | instskip(NEXT) | instid1(VALU_DEP_1)
	v_or_b32_e32 v3, s13, v9
	v_cmpx_ne_u64_e32 0, v[2:3]
	s_xor_b32 s15, exec_lo, s0
	s_cbranch_execz .LBB30_11
; %bb.10:                               ;   in Loop: Header=BB30_4 Depth=1
	s_add_u32 s20, s12, s18
	s_mov_b32 s19, s18
	s_addc_u32 s21, s13, s18
	s_delay_alu instid0(SALU_CYCLE_1) | instskip(NEXT) | instid1(SALU_CYCLE_1)
	s_xor_b64 s[20:21], s[20:21], s[18:19]
	v_cvt_f32_u32_e32 v3, s20
	v_cvt_f32_u32_e32 v10, s21
	s_sub_u32 s0, 0, s20
	s_subb_u32 s19, 0, s21
	s_delay_alu instid0(VALU_DEP_1) | instskip(NEXT) | instid1(VALU_DEP_1)
	v_fmac_f32_e32 v3, 0x4f800000, v10
	v_rcp_f32_e32 v3, v3
	s_waitcnt_depctr 0xfff
	v_mul_f32_e32 v3, 0x5f7ffffc, v3
	s_delay_alu instid0(VALU_DEP_1) | instskip(NEXT) | instid1(VALU_DEP_1)
	v_mul_f32_e32 v10, 0x2f800000, v3
	v_trunc_f32_e32 v10, v10
	s_delay_alu instid0(VALU_DEP_1) | instskip(SKIP_1) | instid1(VALU_DEP_2)
	v_fmac_f32_e32 v3, 0xcf800000, v10
	v_cvt_u32_f32_e32 v10, v10
	v_cvt_u32_f32_e32 v3, v3
	s_delay_alu instid0(VALU_DEP_2) | instskip(NEXT) | instid1(VALU_DEP_2)
	v_mul_lo_u32 v11, s0, v10
	v_mul_hi_u32 v13, s0, v3
	v_mul_lo_u32 v14, s19, v3
	s_delay_alu instid0(VALU_DEP_2) | instskip(SKIP_1) | instid1(VALU_DEP_2)
	v_add_nc_u32_e32 v11, v13, v11
	v_mul_lo_u32 v13, s0, v3
	v_add_nc_u32_e32 v11, v11, v14
	s_delay_alu instid0(VALU_DEP_2) | instskip(NEXT) | instid1(VALU_DEP_2)
	v_mul_hi_u32 v14, v3, v13
	v_mul_lo_u32 v15, v3, v11
	v_mul_hi_u32 v16, v3, v11
	v_mul_hi_u32 v17, v10, v13
	v_mul_lo_u32 v13, v10, v13
	v_mul_hi_u32 v18, v10, v11
	v_mul_lo_u32 v11, v10, v11
	v_add_co_u32 v14, vcc_lo, v14, v15
	v_add_co_ci_u32_e32 v15, vcc_lo, 0, v16, vcc_lo
	s_delay_alu instid0(VALU_DEP_2) | instskip(NEXT) | instid1(VALU_DEP_2)
	v_add_co_u32 v13, vcc_lo, v14, v13
	v_add_co_ci_u32_e32 v13, vcc_lo, v15, v17, vcc_lo
	v_add_co_ci_u32_e32 v14, vcc_lo, 0, v18, vcc_lo
	v_ashrrev_i32_e32 v17, 31, v9
	s_delay_alu instid0(VALU_DEP_3) | instskip(NEXT) | instid1(VALU_DEP_3)
	v_add_co_u32 v11, vcc_lo, v13, v11
	v_add_co_ci_u32_e32 v13, vcc_lo, 0, v14, vcc_lo
	s_delay_alu instid0(VALU_DEP_2) | instskip(NEXT) | instid1(VALU_DEP_2)
	v_add_co_u32 v3, vcc_lo, v3, v11
	v_add_co_ci_u32_e32 v10, vcc_lo, v10, v13, vcc_lo
	s_delay_alu instid0(VALU_DEP_2) | instskip(SKIP_1) | instid1(VALU_DEP_3)
	v_mul_hi_u32 v11, s0, v3
	v_mul_lo_u32 v14, s19, v3
	v_mul_lo_u32 v13, s0, v10
	s_delay_alu instid0(VALU_DEP_1) | instskip(SKIP_1) | instid1(VALU_DEP_2)
	v_add_nc_u32_e32 v11, v11, v13
	v_mul_lo_u32 v13, s0, v3
	v_add_nc_u32_e32 v11, v11, v14
	s_delay_alu instid0(VALU_DEP_2) | instskip(NEXT) | instid1(VALU_DEP_2)
	v_mul_hi_u32 v14, v3, v13
	v_mul_lo_u32 v15, v3, v11
	v_mul_hi_u32 v16, v3, v11
	v_mul_hi_u32 v18, v10, v13
	v_mul_lo_u32 v13, v10, v13
	v_mul_hi_u32 v19, v10, v11
	v_mul_lo_u32 v11, v10, v11
	v_add_co_u32 v14, vcc_lo, v14, v15
	v_add_co_ci_u32_e32 v15, vcc_lo, 0, v16, vcc_lo
	s_delay_alu instid0(VALU_DEP_2) | instskip(NEXT) | instid1(VALU_DEP_2)
	v_add_co_u32 v13, vcc_lo, v14, v13
	v_add_co_ci_u32_e32 v13, vcc_lo, v15, v18, vcc_lo
	v_add_co_ci_u32_e32 v14, vcc_lo, 0, v19, vcc_lo
	v_add_co_u32 v8, vcc_lo, v8, v17
	v_add_co_ci_u32_e32 v9, vcc_lo, v9, v17, vcc_lo
	s_delay_alu instid0(VALU_DEP_4) | instskip(NEXT) | instid1(VALU_DEP_4)
	v_add_co_u32 v11, vcc_lo, v13, v11
	v_add_co_ci_u32_e32 v13, vcc_lo, 0, v14, vcc_lo
	s_delay_alu instid0(VALU_DEP_4) | instskip(NEXT) | instid1(VALU_DEP_3)
	v_xor_b32_e32 v15, v8, v17
	v_add_co_u32 v3, vcc_lo, v3, v11
	s_delay_alu instid0(VALU_DEP_3) | instskip(SKIP_1) | instid1(VALU_DEP_3)
	v_add_co_ci_u32_e32 v16, vcc_lo, v10, v13, vcc_lo
	v_xor_b32_e32 v18, v9, v17
	v_mul_hi_u32 v19, v15, v3
	s_delay_alu instid0(VALU_DEP_3) | instskip(NEXT) | instid1(VALU_DEP_3)
	v_mad_u64_u32 v[8:9], null, v15, v16, 0
	v_mad_u64_u32 v[10:11], null, v18, v3, 0
	;; [unrolled: 1-line block ×3, first 2 shown]
	s_delay_alu instid0(VALU_DEP_3) | instskip(NEXT) | instid1(VALU_DEP_4)
	v_add_co_u32 v3, vcc_lo, v19, v8
	v_add_co_ci_u32_e32 v8, vcc_lo, 0, v9, vcc_lo
	s_delay_alu instid0(VALU_DEP_2) | instskip(NEXT) | instid1(VALU_DEP_2)
	v_add_co_u32 v3, vcc_lo, v3, v10
	v_add_co_ci_u32_e32 v3, vcc_lo, v8, v11, vcc_lo
	v_add_co_ci_u32_e32 v8, vcc_lo, 0, v14, vcc_lo
	s_delay_alu instid0(VALU_DEP_2) | instskip(NEXT) | instid1(VALU_DEP_2)
	v_add_co_u32 v3, vcc_lo, v3, v13
	v_add_co_ci_u32_e32 v10, vcc_lo, 0, v8, vcc_lo
	s_delay_alu instid0(VALU_DEP_2) | instskip(SKIP_1) | instid1(VALU_DEP_3)
	v_mul_lo_u32 v11, s21, v3
	v_mad_u64_u32 v[8:9], null, s20, v3, 0
	v_mul_lo_u32 v3, s20, v10
	s_delay_alu instid0(VALU_DEP_2) | instskip(NEXT) | instid1(VALU_DEP_2)
	v_sub_co_u32 v8, vcc_lo, v15, v8
	v_add3_u32 v3, v9, v3, v11
	s_delay_alu instid0(VALU_DEP_1) | instskip(NEXT) | instid1(VALU_DEP_1)
	v_sub_nc_u32_e32 v9, v18, v3
	v_subrev_co_ci_u32_e64 v9, s0, s21, v9, vcc_lo
	v_sub_co_ci_u32_e32 v3, vcc_lo, v18, v3, vcc_lo
	v_sub_co_u32 v10, vcc_lo, v8, s20
	s_delay_alu instid0(VALU_DEP_1) | instskip(SKIP_3) | instid1(VALU_DEP_3)
	v_subrev_co_ci_u32_e64 v11, s0, 0, v9, vcc_lo
	v_cmp_le_u32_e64 s0, s20, v8
	v_subrev_co_ci_u32_e32 v9, vcc_lo, s21, v9, vcc_lo
	v_cmp_le_u32_e32 vcc_lo, s21, v3
	v_cndmask_b32_e64 v13, 0, -1, s0
	v_cmp_le_u32_e64 s0, s20, v10
	v_cndmask_b32_e64 v16, 0, -1, vcc_lo
	v_cmp_eq_u32_e32 vcc_lo, s21, v11
	s_delay_alu instid0(VALU_DEP_3) | instskip(SKIP_1) | instid1(VALU_DEP_1)
	v_cndmask_b32_e64 v14, 0, -1, s0
	v_cmp_le_u32_e64 s0, s21, v11
	v_cndmask_b32_e64 v15, 0, -1, s0
	v_cmp_eq_u32_e64 s0, s21, v3
	s_delay_alu instid0(VALU_DEP_2) | instskip(SKIP_2) | instid1(VALU_DEP_3)
	v_cndmask_b32_e32 v14, v15, v14, vcc_lo
	v_sub_co_u32 v15, vcc_lo, v10, s20
	v_subrev_co_ci_u32_e32 v9, vcc_lo, 0, v9, vcc_lo
	v_cmp_ne_u32_e32 vcc_lo, 0, v14
	v_cndmask_b32_e64 v13, v16, v13, s0
	s_delay_alu instid0(VALU_DEP_3) | instskip(NEXT) | instid1(VALU_DEP_2)
	v_dual_cndmask_b32 v9, v11, v9 :: v_dual_cndmask_b32 v10, v10, v15
	v_cmp_ne_u32_e32 vcc_lo, 0, v13
	s_delay_alu instid0(VALU_DEP_2) | instskip(NEXT) | instid1(VALU_DEP_1)
	v_dual_cndmask_b32 v8, v8, v10 :: v_dual_cndmask_b32 v3, v3, v9
	v_xor_b32_e32 v8, v8, v17
	s_delay_alu instid0(VALU_DEP_2) | instskip(NEXT) | instid1(VALU_DEP_2)
	v_xor_b32_e32 v3, v3, v17
	v_sub_co_u32 v10, vcc_lo, v8, v17
	s_delay_alu instid0(VALU_DEP_2)
	v_sub_co_ci_u32_e32 v11, vcc_lo, v3, v17, vcc_lo
                                        ; implicit-def: $vgpr8_vgpr9
.LBB30_11:                              ;   in Loop: Header=BB30_4 Depth=1
	s_and_not1_saveexec_b32 s0, s15
	s_cbranch_execz .LBB30_2
; %bb.12:                               ;   in Loop: Header=BB30_4 Depth=1
	v_cvt_f32_u32_e32 v3, s12
	v_mov_b32_e32 v11, v2
	s_delay_alu instid0(VALU_DEP_2) | instskip(SKIP_2) | instid1(VALU_DEP_1)
	v_rcp_iflag_f32_e32 v3, v3
	s_waitcnt_depctr 0xfff
	v_mul_f32_e32 v3, 0x4f7ffffe, v3
	v_cvt_u32_f32_e32 v3, v3
	s_delay_alu instid0(VALU_DEP_1) | instskip(NEXT) | instid1(VALU_DEP_1)
	v_mul_lo_u32 v9, s27, v3
	v_mul_hi_u32 v9, v3, v9
	s_delay_alu instid0(VALU_DEP_1) | instskip(NEXT) | instid1(VALU_DEP_1)
	v_add_nc_u32_e32 v3, v3, v9
	v_mul_hi_u32 v3, v8, v3
	s_delay_alu instid0(VALU_DEP_1) | instskip(NEXT) | instid1(VALU_DEP_1)
	v_mul_lo_u32 v3, v3, s12
	v_sub_nc_u32_e32 v3, v8, v3
	s_delay_alu instid0(VALU_DEP_1) | instskip(SKIP_1) | instid1(VALU_DEP_2)
	v_subrev_nc_u32_e32 v8, s12, v3
	v_cmp_le_u32_e32 vcc_lo, s12, v3
	v_cndmask_b32_e32 v3, v3, v8, vcc_lo
	s_delay_alu instid0(VALU_DEP_1) | instskip(SKIP_1) | instid1(VALU_DEP_2)
	v_subrev_nc_u32_e32 v8, s12, v3
	v_cmp_le_u32_e32 vcc_lo, s12, v3
	v_cndmask_b32_e32 v10, v3, v8, vcc_lo
	s_branch .LBB30_2
.LBB30_13:
	s_nop 0
	s_sendmsg sendmsg(MSG_DEALLOC_VGPRS)
	s_endpgm
	.section	.rodata,"a",@progbits
	.p2align	6, 0x0
	.amdhsa_kernel _ZN2at6native12_GLOBAL__N_121reflection_pad1d_flatIlEEvPKT_PS3_lllll
		.amdhsa_group_segment_fixed_size 0
		.amdhsa_private_segment_fixed_size 0
		.amdhsa_kernarg_size 312
		.amdhsa_user_sgpr_count 15
		.amdhsa_user_sgpr_dispatch_ptr 0
		.amdhsa_user_sgpr_queue_ptr 0
		.amdhsa_user_sgpr_kernarg_segment_ptr 1
		.amdhsa_user_sgpr_dispatch_id 0
		.amdhsa_user_sgpr_private_segment_size 0
		.amdhsa_wavefront_size32 1
		.amdhsa_uses_dynamic_stack 0
		.amdhsa_enable_private_segment 0
		.amdhsa_system_sgpr_workgroup_id_x 1
		.amdhsa_system_sgpr_workgroup_id_y 0
		.amdhsa_system_sgpr_workgroup_id_z 0
		.amdhsa_system_sgpr_workgroup_info 0
		.amdhsa_system_vgpr_workitem_id 0
		.amdhsa_next_free_vgpr 20
		.amdhsa_next_free_sgpr 28
		.amdhsa_reserve_vcc 1
		.amdhsa_float_round_mode_32 0
		.amdhsa_float_round_mode_16_64 0
		.amdhsa_float_denorm_mode_32 3
		.amdhsa_float_denorm_mode_16_64 3
		.amdhsa_dx10_clamp 1
		.amdhsa_ieee_mode 1
		.amdhsa_fp16_overflow 0
		.amdhsa_workgroup_processor_mode 1
		.amdhsa_memory_ordered 1
		.amdhsa_forward_progress 0
		.amdhsa_shared_vgpr_count 0
		.amdhsa_exception_fp_ieee_invalid_op 0
		.amdhsa_exception_fp_denorm_src 0
		.amdhsa_exception_fp_ieee_div_zero 0
		.amdhsa_exception_fp_ieee_overflow 0
		.amdhsa_exception_fp_ieee_underflow 0
		.amdhsa_exception_fp_ieee_inexact 0
		.amdhsa_exception_int_div_zero 0
	.end_amdhsa_kernel
	.section	.text._ZN2at6native12_GLOBAL__N_121reflection_pad1d_flatIlEEvPKT_PS3_lllll,"axG",@progbits,_ZN2at6native12_GLOBAL__N_121reflection_pad1d_flatIlEEvPKT_PS3_lllll,comdat
.Lfunc_end30:
	.size	_ZN2at6native12_GLOBAL__N_121reflection_pad1d_flatIlEEvPKT_PS3_lllll, .Lfunc_end30-_ZN2at6native12_GLOBAL__N_121reflection_pad1d_flatIlEEvPKT_PS3_lllll
                                        ; -- End function
	.section	.AMDGPU.csdata,"",@progbits
; Kernel info:
; codeLenInByte = 2464
; NumSgprs: 30
; NumVgprs: 20
; ScratchSize: 0
; MemoryBound: 0
; FloatMode: 240
; IeeeMode: 1
; LDSByteSize: 0 bytes/workgroup (compile time only)
; SGPRBlocks: 3
; VGPRBlocks: 2
; NumSGPRsForWavesPerEU: 30
; NumVGPRsForWavesPerEU: 20
; Occupancy: 16
; WaveLimiterHint : 0
; COMPUTE_PGM_RSRC2:SCRATCH_EN: 0
; COMPUTE_PGM_RSRC2:USER_SGPR: 15
; COMPUTE_PGM_RSRC2:TRAP_HANDLER: 0
; COMPUTE_PGM_RSRC2:TGID_X_EN: 1
; COMPUTE_PGM_RSRC2:TGID_Y_EN: 0
; COMPUTE_PGM_RSRC2:TGID_Z_EN: 0
; COMPUTE_PGM_RSRC2:TIDIG_COMP_CNT: 0
	.section	.text._ZN2at6native12_GLOBAL__N_127reflection_pad1d_out_kernelIsEEvPKT_PS3_lll,"axG",@progbits,_ZN2at6native12_GLOBAL__N_127reflection_pad1d_out_kernelIsEEvPKT_PS3_lll,comdat
	.globl	_ZN2at6native12_GLOBAL__N_127reflection_pad1d_out_kernelIsEEvPKT_PS3_lll ; -- Begin function _ZN2at6native12_GLOBAL__N_127reflection_pad1d_out_kernelIsEEvPKT_PS3_lll
	.p2align	8
	.type	_ZN2at6native12_GLOBAL__N_127reflection_pad1d_out_kernelIsEEvPKT_PS3_lll,@function
_ZN2at6native12_GLOBAL__N_127reflection_pad1d_out_kernelIsEEvPKT_PS3_lll: ; @_ZN2at6native12_GLOBAL__N_127reflection_pad1d_out_kernelIsEEvPKT_PS3_lll
; %bb.0:
	s_clause 0x2
	s_load_b32 s12, s[0:1], 0x34
	s_load_b256 s[4:11], s[0:1], 0x0
	s_load_b64 s[16:17], s[0:1], 0x20
	v_mov_b32_e32 v1, 0
	s_add_u32 s2, s0, 40
	s_addc_u32 s3, s1, 0
	s_waitcnt lgkmcnt(0)
	s_and_b32 s0, s12, 0xffff
	s_add_u32 s12, s10, s8
	v_mad_u64_u32 v[2:3], null, s0, s13, v[0:1]
	s_addc_u32 s13, s11, s9
	s_add_u32 s0, s12, s16
	s_addc_u32 s1, s13, s17
	s_mov_b32 s16, exec_lo
	s_delay_alu instid0(VALU_DEP_1)
	v_cmpx_gt_i64_e64 s[0:1], v[2:3]
	s_cbranch_execz .LBB31_2
; %bb.1:
	s_load_b32 s16, s[2:3], 0x4
	v_sub_co_u32 v0, vcc_lo, v2, s12
	v_subrev_co_ci_u32_e32 v1, vcc_lo, s13, v3, vcc_lo
	v_sub_co_u32 v4, vcc_lo, v2, s10
	v_subrev_co_ci_u32_e32 v5, vcc_lo, s11, v3, vcc_lo
	s_delay_alu instid0(VALU_DEP_4) | instskip(NEXT) | instid1(VALU_DEP_4)
	v_add_co_u32 v0, vcc_lo, v0, 1
	v_add_co_ci_u32_e32 v1, vcc_lo, 0, v1, vcc_lo
	s_sub_u32 s2, 0, s10
	s_subb_u32 s3, 0, s11
	v_cmp_gt_i64_e64 s17, s[10:11], 0
	s_delay_alu instid0(VALU_DEP_2)
	v_ashrrev_i32_e32 v6, 31, v1
	v_ashrrev_i32_e32 v7, 31, v5
	s_waitcnt lgkmcnt(0)
	s_mul_i32 s15, s16, s15
	v_cmp_gt_i64_e64 s16, s[2:3], 0
	s_add_i32 s14, s15, s14
	v_xor_b32_e32 v0, v0, v6
	s_mul_i32 s9, s14, s9
	s_mul_hi_u32 s15, s14, s8
	s_mul_i32 s1, s1, s14
	s_mul_hi_u32 s18, s0, s14
	v_xor_b32_e32 v1, v1, v6
	s_add_i32 s9, s15, s9
	s_add_i32 s1, s18, s1
	s_and_b32 s15, s16, exec_lo
	s_cselect_b32 s15, s3, 0
	s_cselect_b32 s16, s2, 0
	s_and_b32 s2, s17, exec_lo
	v_sub_co_u32 v0, vcc_lo, v0, v6
	s_cselect_b32 s3, s11, 0
	s_cselect_b32 s2, s10, 0
	v_sub_co_ci_u32_e32 v1, vcc_lo, v1, v6, vcc_lo
	s_not_b64 s[2:3], s[2:3]
	s_add_u32 s10, s12, s10
	s_addc_u32 s11, s13, s11
	v_add_co_u32 v0, vcc_lo, v2, v0
	s_add_u32 s2, s10, s2
	s_addc_u32 s3, s11, s3
	v_add_co_ci_u32_e32 v1, vcc_lo, v3, v1, vcc_lo
	s_add_u32 s2, s2, s16
	v_xor_b32_e32 v4, v4, v7
	s_addc_u32 s3, s3, s15
	v_sub_co_u32 v0, vcc_lo, s2, v0
	v_xor_b32_e32 v5, v5, v7
	v_sub_co_ci_u32_e32 v1, vcc_lo, s3, v1, vcc_lo
	v_sub_co_u32 v4, vcc_lo, v4, v7
	s_delay_alu instid0(VALU_DEP_3) | instskip(NEXT) | instid1(VALU_DEP_3)
	v_sub_co_ci_u32_e32 v5, vcc_lo, v5, v7, vcc_lo
	v_lshlrev_b64 v[0:1], 1, v[0:1]
	s_mul_i32 s8, s14, s8
	s_mul_i32 s0, s0, s14
	s_delay_alu instid0(VALU_DEP_2)
	v_lshlrev_b64 v[4:5], 1, v[4:5]
	s_lshl_b64 s[2:3], s[8:9], 1
	s_lshl_b64 s[0:1], s[0:1], 1
	v_add_co_u32 v0, vcc_lo, s4, v0
	v_add_co_ci_u32_e32 v1, vcc_lo, s5, v1, vcc_lo
	s_add_u32 s0, s6, s0
	s_delay_alu instid0(VALU_DEP_2) | instskip(NEXT) | instid1(VALU_DEP_2)
	v_add_co_u32 v0, vcc_lo, v0, v4
	v_add_co_ci_u32_e32 v1, vcc_lo, v1, v5, vcc_lo
	s_addc_u32 s1, s7, s1
	s_delay_alu instid0(VALU_DEP_2) | instskip(NEXT) | instid1(VALU_DEP_2)
	v_add_co_u32 v0, vcc_lo, v0, s2
	v_add_co_ci_u32_e32 v1, vcc_lo, s3, v1, vcc_lo
	global_load_u16 v4, v[0:1], off
	v_lshlrev_b64 v[0:1], 1, v[2:3]
	s_delay_alu instid0(VALU_DEP_1) | instskip(NEXT) | instid1(VALU_DEP_2)
	v_add_co_u32 v0, vcc_lo, s0, v0
	v_add_co_ci_u32_e32 v1, vcc_lo, s1, v1, vcc_lo
	s_waitcnt vmcnt(0)
	global_store_b16 v[0:1], v4, off
.LBB31_2:
	s_nop 0
	s_sendmsg sendmsg(MSG_DEALLOC_VGPRS)
	s_endpgm
	.section	.rodata,"a",@progbits
	.p2align	6, 0x0
	.amdhsa_kernel _ZN2at6native12_GLOBAL__N_127reflection_pad1d_out_kernelIsEEvPKT_PS3_lll
		.amdhsa_group_segment_fixed_size 0
		.amdhsa_private_segment_fixed_size 0
		.amdhsa_kernarg_size 296
		.amdhsa_user_sgpr_count 13
		.amdhsa_user_sgpr_dispatch_ptr 0
		.amdhsa_user_sgpr_queue_ptr 0
		.amdhsa_user_sgpr_kernarg_segment_ptr 1
		.amdhsa_user_sgpr_dispatch_id 0
		.amdhsa_user_sgpr_private_segment_size 0
		.amdhsa_wavefront_size32 1
		.amdhsa_uses_dynamic_stack 0
		.amdhsa_enable_private_segment 0
		.amdhsa_system_sgpr_workgroup_id_x 1
		.amdhsa_system_sgpr_workgroup_id_y 1
		.amdhsa_system_sgpr_workgroup_id_z 1
		.amdhsa_system_sgpr_workgroup_info 0
		.amdhsa_system_vgpr_workitem_id 0
		.amdhsa_next_free_vgpr 8
		.amdhsa_next_free_sgpr 19
		.amdhsa_reserve_vcc 1
		.amdhsa_float_round_mode_32 0
		.amdhsa_float_round_mode_16_64 0
		.amdhsa_float_denorm_mode_32 3
		.amdhsa_float_denorm_mode_16_64 3
		.amdhsa_dx10_clamp 1
		.amdhsa_ieee_mode 1
		.amdhsa_fp16_overflow 0
		.amdhsa_workgroup_processor_mode 1
		.amdhsa_memory_ordered 1
		.amdhsa_forward_progress 0
		.amdhsa_shared_vgpr_count 0
		.amdhsa_exception_fp_ieee_invalid_op 0
		.amdhsa_exception_fp_denorm_src 0
		.amdhsa_exception_fp_ieee_div_zero 0
		.amdhsa_exception_fp_ieee_overflow 0
		.amdhsa_exception_fp_ieee_underflow 0
		.amdhsa_exception_fp_ieee_inexact 0
		.amdhsa_exception_int_div_zero 0
	.end_amdhsa_kernel
	.section	.text._ZN2at6native12_GLOBAL__N_127reflection_pad1d_out_kernelIsEEvPKT_PS3_lll,"axG",@progbits,_ZN2at6native12_GLOBAL__N_127reflection_pad1d_out_kernelIsEEvPKT_PS3_lll,comdat
.Lfunc_end31:
	.size	_ZN2at6native12_GLOBAL__N_127reflection_pad1d_out_kernelIsEEvPKT_PS3_lll, .Lfunc_end31-_ZN2at6native12_GLOBAL__N_127reflection_pad1d_out_kernelIsEEvPKT_PS3_lll
                                        ; -- End function
	.section	.AMDGPU.csdata,"",@progbits
; Kernel info:
; codeLenInByte = 480
; NumSgprs: 21
; NumVgprs: 8
; ScratchSize: 0
; MemoryBound: 0
; FloatMode: 240
; IeeeMode: 1
; LDSByteSize: 0 bytes/workgroup (compile time only)
; SGPRBlocks: 2
; VGPRBlocks: 0
; NumSGPRsForWavesPerEU: 21
; NumVGPRsForWavesPerEU: 8
; Occupancy: 16
; WaveLimiterHint : 0
; COMPUTE_PGM_RSRC2:SCRATCH_EN: 0
; COMPUTE_PGM_RSRC2:USER_SGPR: 13
; COMPUTE_PGM_RSRC2:TRAP_HANDLER: 0
; COMPUTE_PGM_RSRC2:TGID_X_EN: 1
; COMPUTE_PGM_RSRC2:TGID_Y_EN: 1
; COMPUTE_PGM_RSRC2:TGID_Z_EN: 1
; COMPUTE_PGM_RSRC2:TIDIG_COMP_CNT: 0
	.section	.text._ZN2at6native12_GLOBAL__N_121reflection_pad1d_flatIsEEvPKT_PS3_lllll,"axG",@progbits,_ZN2at6native12_GLOBAL__N_121reflection_pad1d_flatIsEEvPKT_PS3_lllll,comdat
	.globl	_ZN2at6native12_GLOBAL__N_121reflection_pad1d_flatIsEEvPKT_PS3_lllll ; -- Begin function _ZN2at6native12_GLOBAL__N_121reflection_pad1d_flatIsEEvPKT_PS3_lllll
	.p2align	8
	.type	_ZN2at6native12_GLOBAL__N_121reflection_pad1d_flatIsEEvPKT_PS3_lllll,@function
_ZN2at6native12_GLOBAL__N_121reflection_pad1d_flatIsEEvPKT_PS3_lllll: ; @_ZN2at6native12_GLOBAL__N_121reflection_pad1d_flatIsEEvPKT_PS3_lllll
; %bb.0:
	s_clause 0x1
	s_load_b32 s8, s[0:1], 0x44
	s_load_b128 s[4:7], s[0:1], 0x28
	v_mov_b32_e32 v1, 0
	s_add_u32 s2, s0, 56
	s_addc_u32 s3, s1, 0
	s_waitcnt lgkmcnt(0)
	s_and_b32 s8, s8, 0xffff
	s_mul_i32 s9, s6, s5
	v_mad_u64_u32 v[2:3], null, s8, s15, v[0:1]
	s_mul_hi_u32 s10, s6, s4
	s_mul_i32 s7, s7, s4
	s_add_i32 s9, s10, s9
	s_mul_i32 s6, s6, s4
	s_add_i32 s7, s9, s7
	s_mov_b32 s9, exec_lo
	s_delay_alu instid0(VALU_DEP_1)
	v_cmpx_gt_i64_e64 s[6:7], v[2:3]
	s_cbranch_execz .LBB32_44
; %bb.1:
	s_load_b32 s2, s[2:3], 0x0
	s_waitcnt lgkmcnt(0)
	s_add_u32 s3, s15, s2
	s_mul_hi_u32 s17, s8, s2
	v_mad_u64_u32 v[6:7], null, s3, s8, v[0:1]
	s_addc_u32 s3, 0, 0
	s_mul_i32 s16, s8, s2
	s_mov_b32 s2, exec_lo
	s_delay_alu instid0(VALU_DEP_1) | instskip(NEXT) | instid1(VALU_DEP_1)
	v_mov_b32_e32 v0, v7
	v_mad_u64_u32 v[4:5], null, s3, s8, v[0:1]
	s_delay_alu instid0(VALU_DEP_1) | instskip(NEXT) | instid1(VALU_DEP_1)
	v_mov_b32_e32 v7, v4
	v_cmp_gt_i64_e32 vcc_lo, s[6:7], v[6:7]
	v_cndmask_b32_e64 v0, v4, s7, vcc_lo
	v_cndmask_b32_e64 v4, 0, 1, vcc_lo
	;; [unrolled: 1-line block ×3, first 2 shown]
	s_delay_alu instid0(VALU_DEP_2) | instskip(SKIP_1) | instid1(VALU_DEP_2)
	v_add_co_u32 v8, vcc_lo, v6, v4
	v_add_co_ci_u32_e32 v9, vcc_lo, 0, v7, vcc_lo
	v_sub_co_u32 v5, vcc_lo, v5, v8
	s_delay_alu instid0(VALU_DEP_2) | instskip(SKIP_1) | instid1(VALU_DEP_2)
	v_sub_co_ci_u32_e32 v8, vcc_lo, v0, v9, vcc_lo
	v_mov_b32_e32 v9, v1
                                        ; implicit-def: $vgpr0_vgpr1
	v_or_b32_e32 v10, s17, v8
	s_delay_alu instid0(VALU_DEP_1)
	v_cmpx_ne_u64_e32 0, v[9:10]
	s_xor_b32 s3, exec_lo, s2
	s_cbranch_execz .LBB32_3
; %bb.2:
	v_cvt_f32_u32_e32 v0, s16
	v_cvt_f32_u32_e32 v1, s17
	s_sub_u32 s2, 0, s16
	s_subb_u32 s8, 0, s17
	s_delay_alu instid0(VALU_DEP_1) | instskip(NEXT) | instid1(VALU_DEP_1)
	v_fmamk_f32 v0, v1, 0x4f800000, v0
	v_rcp_f32_e32 v0, v0
	s_waitcnt_depctr 0xfff
	v_mul_f32_e32 v0, 0x5f7ffffc, v0
	s_delay_alu instid0(VALU_DEP_1) | instskip(NEXT) | instid1(VALU_DEP_1)
	v_mul_f32_e32 v1, 0x2f800000, v0
	v_trunc_f32_e32 v1, v1
	s_delay_alu instid0(VALU_DEP_1) | instskip(SKIP_1) | instid1(VALU_DEP_2)
	v_fmamk_f32 v0, v1, 0xcf800000, v0
	v_cvt_u32_f32_e32 v1, v1
	v_cvt_u32_f32_e32 v0, v0
	s_delay_alu instid0(VALU_DEP_2) | instskip(NEXT) | instid1(VALU_DEP_2)
	v_mul_lo_u32 v9, s2, v1
	v_mul_hi_u32 v10, s2, v0
	v_mul_lo_u32 v11, s8, v0
	s_delay_alu instid0(VALU_DEP_2) | instskip(SKIP_1) | instid1(VALU_DEP_2)
	v_add_nc_u32_e32 v9, v10, v9
	v_mul_lo_u32 v10, s2, v0
	v_add_nc_u32_e32 v9, v9, v11
	s_delay_alu instid0(VALU_DEP_2) | instskip(NEXT) | instid1(VALU_DEP_2)
	v_mul_hi_u32 v11, v0, v10
	v_mul_lo_u32 v12, v0, v9
	v_mul_hi_u32 v13, v0, v9
	v_mul_hi_u32 v14, v1, v10
	v_mul_lo_u32 v10, v1, v10
	v_mul_hi_u32 v15, v1, v9
	v_mul_lo_u32 v9, v1, v9
	v_add_co_u32 v11, vcc_lo, v11, v12
	v_add_co_ci_u32_e32 v12, vcc_lo, 0, v13, vcc_lo
	s_delay_alu instid0(VALU_DEP_2) | instskip(NEXT) | instid1(VALU_DEP_2)
	v_add_co_u32 v10, vcc_lo, v11, v10
	v_add_co_ci_u32_e32 v10, vcc_lo, v12, v14, vcc_lo
	v_add_co_ci_u32_e32 v11, vcc_lo, 0, v15, vcc_lo
	s_delay_alu instid0(VALU_DEP_2) | instskip(NEXT) | instid1(VALU_DEP_2)
	v_add_co_u32 v9, vcc_lo, v10, v9
	v_add_co_ci_u32_e32 v10, vcc_lo, 0, v11, vcc_lo
	s_delay_alu instid0(VALU_DEP_2) | instskip(NEXT) | instid1(VALU_DEP_2)
	v_add_co_u32 v0, vcc_lo, v0, v9
	v_add_co_ci_u32_e32 v1, vcc_lo, v1, v10, vcc_lo
	s_delay_alu instid0(VALU_DEP_2) | instskip(SKIP_1) | instid1(VALU_DEP_3)
	v_mul_hi_u32 v9, s2, v0
	v_mul_lo_u32 v11, s8, v0
	v_mul_lo_u32 v10, s2, v1
	s_delay_alu instid0(VALU_DEP_1) | instskip(SKIP_1) | instid1(VALU_DEP_2)
	v_add_nc_u32_e32 v9, v9, v10
	v_mul_lo_u32 v10, s2, v0
	v_add_nc_u32_e32 v9, v9, v11
	s_delay_alu instid0(VALU_DEP_2) | instskip(NEXT) | instid1(VALU_DEP_2)
	v_mul_hi_u32 v11, v0, v10
	v_mul_lo_u32 v12, v0, v9
	v_mul_hi_u32 v13, v0, v9
	v_mul_hi_u32 v14, v1, v10
	v_mul_lo_u32 v10, v1, v10
	v_mul_hi_u32 v15, v1, v9
	v_mul_lo_u32 v9, v1, v9
	v_add_co_u32 v11, vcc_lo, v11, v12
	v_add_co_ci_u32_e32 v12, vcc_lo, 0, v13, vcc_lo
	s_delay_alu instid0(VALU_DEP_2) | instskip(NEXT) | instid1(VALU_DEP_2)
	v_add_co_u32 v10, vcc_lo, v11, v10
	v_add_co_ci_u32_e32 v10, vcc_lo, v12, v14, vcc_lo
	v_add_co_ci_u32_e32 v11, vcc_lo, 0, v15, vcc_lo
	s_delay_alu instid0(VALU_DEP_2) | instskip(NEXT) | instid1(VALU_DEP_2)
	v_add_co_u32 v9, vcc_lo, v10, v9
	v_add_co_ci_u32_e32 v10, vcc_lo, 0, v11, vcc_lo
	s_delay_alu instid0(VALU_DEP_2) | instskip(NEXT) | instid1(VALU_DEP_2)
	v_add_co_u32 v11, vcc_lo, v0, v9
	v_add_co_ci_u32_e32 v13, vcc_lo, v1, v10, vcc_lo
	s_delay_alu instid0(VALU_DEP_2) | instskip(SKIP_1) | instid1(VALU_DEP_3)
	v_mul_hi_u32 v14, v5, v11
	v_mad_u64_u32 v[9:10], null, v8, v11, 0
	v_mad_u64_u32 v[0:1], null, v5, v13, 0
	;; [unrolled: 1-line block ×3, first 2 shown]
	s_delay_alu instid0(VALU_DEP_2) | instskip(NEXT) | instid1(VALU_DEP_3)
	v_add_co_u32 v0, vcc_lo, v14, v0
	v_add_co_ci_u32_e32 v1, vcc_lo, 0, v1, vcc_lo
	s_delay_alu instid0(VALU_DEP_2) | instskip(NEXT) | instid1(VALU_DEP_2)
	v_add_co_u32 v0, vcc_lo, v0, v9
	v_add_co_ci_u32_e32 v0, vcc_lo, v1, v10, vcc_lo
	v_add_co_ci_u32_e32 v1, vcc_lo, 0, v12, vcc_lo
	s_delay_alu instid0(VALU_DEP_2) | instskip(NEXT) | instid1(VALU_DEP_2)
	v_add_co_u32 v9, vcc_lo, v0, v11
	v_add_co_ci_u32_e32 v10, vcc_lo, 0, v1, vcc_lo
	s_delay_alu instid0(VALU_DEP_2) | instskip(SKIP_1) | instid1(VALU_DEP_3)
	v_mul_lo_u32 v11, s17, v9
	v_mad_u64_u32 v[0:1], null, s16, v9, 0
	v_mul_lo_u32 v12, s16, v10
	s_delay_alu instid0(VALU_DEP_2) | instskip(NEXT) | instid1(VALU_DEP_2)
	v_sub_co_u32 v0, vcc_lo, v5, v0
	v_add3_u32 v1, v1, v12, v11
	s_delay_alu instid0(VALU_DEP_1) | instskip(NEXT) | instid1(VALU_DEP_1)
	v_sub_nc_u32_e32 v11, v8, v1
	v_subrev_co_ci_u32_e64 v5, s2, s17, v11, vcc_lo
	v_add_co_u32 v11, s2, v9, 2
	s_delay_alu instid0(VALU_DEP_1) | instskip(SKIP_3) | instid1(VALU_DEP_3)
	v_add_co_ci_u32_e64 v12, s2, 0, v10, s2
	v_sub_co_u32 v13, s2, v0, s16
	v_sub_co_ci_u32_e32 v1, vcc_lo, v8, v1, vcc_lo
	v_subrev_co_ci_u32_e64 v5, s2, 0, v5, s2
	v_cmp_le_u32_e32 vcc_lo, s16, v13
	s_delay_alu instid0(VALU_DEP_3) | instskip(SKIP_1) | instid1(VALU_DEP_4)
	v_cmp_eq_u32_e64 s2, s17, v1
	v_cndmask_b32_e64 v8, 0, -1, vcc_lo
	v_cmp_le_u32_e32 vcc_lo, s17, v5
	v_cndmask_b32_e64 v13, 0, -1, vcc_lo
	v_cmp_le_u32_e32 vcc_lo, s16, v0
	;; [unrolled: 2-line block ×3, first 2 shown]
	v_cndmask_b32_e64 v14, 0, -1, vcc_lo
	v_cmp_eq_u32_e32 vcc_lo, s17, v5
	s_delay_alu instid0(VALU_DEP_2) | instskip(SKIP_3) | instid1(VALU_DEP_3)
	v_cndmask_b32_e64 v0, v14, v0, s2
	v_cndmask_b32_e32 v5, v13, v8, vcc_lo
	v_add_co_u32 v8, vcc_lo, v9, 1
	v_add_co_ci_u32_e32 v13, vcc_lo, 0, v10, vcc_lo
	v_cmp_ne_u32_e32 vcc_lo, 0, v5
	s_delay_alu instid0(VALU_DEP_3) | instskip(NEXT) | instid1(VALU_DEP_3)
	v_cndmask_b32_e32 v5, v8, v11, vcc_lo
	v_cndmask_b32_e32 v1, v13, v12, vcc_lo
	v_cmp_ne_u32_e32 vcc_lo, 0, v0
	s_delay_alu instid0(VALU_DEP_2) | instskip(NEXT) | instid1(VALU_DEP_4)
	v_cndmask_b32_e32 v1, v10, v1, vcc_lo
	v_cndmask_b32_e32 v0, v9, v5, vcc_lo
                                        ; implicit-def: $vgpr5
.LBB32_3:
	s_or_saveexec_b32 s2, s3
	s_load_b128 s[8:11], s[0:1], 0x0
	s_xor_b32 exec_lo, exec_lo, s2
	s_cbranch_execz .LBB32_5
; %bb.4:
	v_cvt_f32_u32_e32 v0, s16
	s_sub_i32 s3, 0, s16
	s_delay_alu instid0(VALU_DEP_1) | instskip(SKIP_2) | instid1(VALU_DEP_1)
	v_rcp_iflag_f32_e32 v0, v0
	s_waitcnt_depctr 0xfff
	v_mul_f32_e32 v0, 0x4f7ffffe, v0
	v_cvt_u32_f32_e32 v0, v0
	s_delay_alu instid0(VALU_DEP_1) | instskip(NEXT) | instid1(VALU_DEP_1)
	v_mul_lo_u32 v1, s3, v0
	v_mul_hi_u32 v1, v0, v1
	s_delay_alu instid0(VALU_DEP_1) | instskip(NEXT) | instid1(VALU_DEP_1)
	v_add_nc_u32_e32 v0, v0, v1
	v_mul_hi_u32 v0, v5, v0
	s_delay_alu instid0(VALU_DEP_1) | instskip(NEXT) | instid1(VALU_DEP_1)
	v_mul_lo_u32 v1, v0, s16
	v_sub_nc_u32_e32 v1, v5, v1
	v_add_nc_u32_e32 v5, 1, v0
	s_delay_alu instid0(VALU_DEP_2) | instskip(SKIP_1) | instid1(VALU_DEP_2)
	v_subrev_nc_u32_e32 v8, s16, v1
	v_cmp_le_u32_e32 vcc_lo, s16, v1
	v_dual_cndmask_b32 v1, v1, v8 :: v_dual_cndmask_b32 v0, v0, v5
	s_delay_alu instid0(VALU_DEP_1) | instskip(NEXT) | instid1(VALU_DEP_2)
	v_cmp_le_u32_e32 vcc_lo, s16, v1
	v_add_nc_u32_e32 v5, 1, v0
	s_delay_alu instid0(VALU_DEP_1)
	v_dual_mov_b32 v1, 0 :: v_dual_cndmask_b32 v0, v0, v5
.LBB32_5:
	s_or_b32 exec_lo, exec_lo, s2
	s_load_b128 s[12:15], s[0:1], 0x10
	s_delay_alu instid0(VALU_DEP_1) | instskip(NEXT) | instid1(VALU_DEP_2)
	v_add_co_u32 v0, vcc_lo, v0, v4
	v_add_co_ci_u32_e32 v1, vcc_lo, 0, v1, vcc_lo
                                        ; implicit-def: $vgpr4_vgpr5
                                        ; implicit-def: $sgpr20_sgpr21
                                        ; implicit-def: $sgpr18_sgpr19
	s_mov_b32 s22, exec_lo
	s_delay_alu instid0(VALU_DEP_2) | instskip(NEXT) | instid1(VALU_DEP_2)
	v_add_co_u32 v0, vcc_lo, v0, 1
	v_add_co_ci_u32_e32 v1, vcc_lo, 0, v1, vcc_lo
	s_waitcnt lgkmcnt(0)
	s_lshl_b64 s[0:1], s[12:13], 1
	s_delay_alu instid0(SALU_CYCLE_1)
	s_add_u32 s2, s0, -2
	s_addc_u32 s3, s1, -1
	s_mov_b32 s0, 0
	v_cmp_lt_i64_e64 s34, s[2:3], 1
	v_cmp_gt_i64_e64 s1, s[2:3], 0
	v_cmpx_lt_u64_e32 1, v[0:1]
	s_xor_b32 s33, exec_lo, s22
	s_cbranch_execz .LBB32_29
; %bb.6:
	v_add_co_u32 v4, vcc_lo, v2, s16
	v_lshlrev_b64 v[8:9], 1, v[2:3]
	v_add_co_ci_u32_e32 v5, vcc_lo, s17, v3, vcc_lo
	v_sub_co_u32 v14, vcc_lo, v2, s14
	v_dual_mov_b32 v13, v1 :: v_dual_and_b32 v12, -2, v0
	v_subrev_co_ci_u32_e32 v15, vcc_lo, s15, v3, vcc_lo
	v_add_co_u32 v16, vcc_lo, s10, v8
	v_add_co_ci_u32_e32 v17, vcc_lo, s11, v9, vcc_lo
	v_sub_co_u32 v18, vcc_lo, v6, s14
	v_dual_mov_b32 v20, 0 :: v_dual_mov_b32 v23, v13
	v_subrev_co_ci_u32_e32 v19, vcc_lo, s15, v7, vcc_lo
	v_dual_mov_b32 v22, v12 :: v_dual_mov_b32 v7, v5
	v_dual_mov_b32 v6, v4 :: v_dual_mov_b32 v5, v3
	v_mov_b32_e32 v4, v2
	s_lshl_b64 s[18:19], s[16:17], 1
	s_xor_b32 s39, s34, -1
	s_sub_u32 s20, 0, s4
	s_mov_b32 s35, s18
	s_mov_b32 s36, s19
	;; [unrolled: 1-line block ×8, first 2 shown]
	s_subb_u32 s21, 0, s5
	s_lshl_b64 s[26:27], s[16:17], 2
	s_mov_b32 s40, 0
	s_ashr_i32 s28, s5, 31
	s_sub_i32 s41, 0, s4
	s_branch .LBB32_9
.LBB32_7:                               ;   in Loop: Header=BB32_9 Depth=1
	s_or_b32 exec_lo, exec_lo, s0
.LBB32_8:                               ;   in Loop: Header=BB32_9 Depth=1
	s_delay_alu instid0(VALU_DEP_1) | instskip(SKIP_3) | instid1(VALU_DEP_4)
	v_ashrrev_i32_e32 v21, 31, v11
	v_ashrrev_i32_e32 v28, 31, v9
	v_mul_lo_u32 v25, v25, s22
	v_mul_lo_u32 v33, v24, s23
	v_and_b32_e32 v29, s37, v21
	v_and_b32_e32 v21, s38, v21
	;; [unrolled: 1-line block ×4, first 2 shown]
	s_delay_alu instid0(VALU_DEP_4) | instskip(NEXT) | instid1(VALU_DEP_4)
	v_add_co_u32 v10, vcc_lo, v29, v10
	v_add_co_ci_u32_e32 v11, vcc_lo, v21, v11, vcc_lo
	s_delay_alu instid0(VALU_DEP_3) | instskip(SKIP_1) | instid1(VALU_DEP_4)
	v_add_co_u32 v8, vcc_lo, v28, v8
	v_add_co_ci_u32_e32 v9, vcc_lo, v30, v9, vcc_lo
	v_sub_co_u32 v21, vcc_lo, s37, v10
	s_delay_alu instid0(VALU_DEP_4) | instskip(NEXT) | instid1(VALU_DEP_4)
	v_sub_co_ci_u32_e32 v30, vcc_lo, s38, v11, vcc_lo
	v_sub_co_u32 v31, vcc_lo, s2, v8
	v_mad_u64_u32 v[28:29], null, v24, s22, 0
	v_sub_co_ci_u32_e32 v32, vcc_lo, s3, v9, vcc_lo
	v_cmp_gt_i64_e32 vcc_lo, s[22:23], v[8:9]
	v_cmp_gt_i64_e64 s0, s[24:25], v[10:11]
	s_delay_alu instid0(VALU_DEP_4) | instskip(SKIP_2) | instid1(VALU_DEP_4)
	v_add3_u32 v29, v29, v33, v25
	v_mad_u64_u32 v[24:25], null, v26, s24, 0
	v_dual_cndmask_b32 v9, v32, v9 :: v_dual_cndmask_b32 v8, v31, v8
	v_cndmask_b32_e64 v21, v21, v10, s0
	v_cndmask_b32_e64 v30, v30, v11, s0
	v_mul_lo_u32 v31, v27, s24
	s_delay_alu instid0(VALU_DEP_4)
	v_cndmask_b32_e64 v9, v9, 0, s34
	v_cndmask_b32_e64 v8, v8, 0, s34
	v_mul_lo_u32 v32, v26, s25
	v_lshlrev_b64 v[10:11], 1, v[28:29]
	v_cndmask_b32_e64 v27, v30, 0, s34
	v_cndmask_b32_e64 v26, v21, 0, s34
	v_lshlrev_b64 v[8:9], 1, v[8:9]
	s_delay_alu instid0(VALU_DEP_4) | instskip(SKIP_2) | instid1(VALU_DEP_3)
	v_add_co_u32 v10, vcc_lo, s8, v10
	v_add_co_ci_u32_e32 v11, vcc_lo, s9, v11, vcc_lo
	v_add3_u32 v25, v25, v32, v31
	v_add_co_u32 v8, vcc_lo, v10, v8
	s_delay_alu instid0(VALU_DEP_3) | instskip(NEXT) | instid1(VALU_DEP_3)
	v_add_co_ci_u32_e32 v9, vcc_lo, v11, v9, vcc_lo
	v_lshlrev_b64 v[10:11], 1, v[24:25]
	v_lshlrev_b64 v[24:25], 1, v[26:27]
	global_load_u16 v21, v[8:9], off
	v_add_co_u32 v8, vcc_lo, s8, v10
	v_add_co_ci_u32_e32 v9, vcc_lo, s9, v11, vcc_lo
	s_delay_alu instid0(VALU_DEP_2) | instskip(NEXT) | instid1(VALU_DEP_2)
	v_add_co_u32 v8, vcc_lo, v8, v24
	v_add_co_ci_u32_e32 v9, vcc_lo, v9, v25, vcc_lo
	global_load_u16 v10, v[8:9], off
	v_add_co_u32 v8, vcc_lo, v16, s18
	v_add_co_ci_u32_e32 v9, vcc_lo, s19, v17, vcc_lo
	v_add_co_u32 v6, vcc_lo, v6, s35
	v_add_co_ci_u32_e32 v7, vcc_lo, s36, v7, vcc_lo
	;; [unrolled: 2-line block ×3, first 2 shown]
	v_add_co_u32 v22, vcc_lo, v22, -2
	v_add_co_ci_u32_e32 v23, vcc_lo, -1, v23, vcc_lo
	v_add_co_u32 v14, vcc_lo, v14, s18
	v_add_co_ci_u32_e32 v15, vcc_lo, s19, v15, vcc_lo
	s_delay_alu instid0(VALU_DEP_3) | instskip(SKIP_4) | instid1(VALU_DEP_1)
	v_cmp_eq_u64_e32 vcc_lo, 0, v[22:23]
	s_or_b32 s40, vcc_lo, s40
	s_waitcnt vmcnt(1)
	global_store_b16 v[16:17], v21, off
	v_add_co_u32 v16, s0, v16, s26
	v_add_co_ci_u32_e64 v17, s0, s27, v17, s0
	v_add_co_u32 v18, s0, v18, s18
	s_delay_alu instid0(VALU_DEP_1)
	v_add_co_ci_u32_e64 v19, s0, s19, v19, s0
	s_waitcnt vmcnt(0)
	global_store_b16 v[8:9], v10, off
	s_and_not1_b32 exec_lo, exec_lo, s40
	s_cbranch_execz .LBB32_28
.LBB32_9:                               ; =>This Inner Loop Header: Depth=1
	v_or_b32_e32 v21, s5, v5
                                        ; implicit-def: $vgpr24_vgpr25
	s_mov_b32 s0, exec_lo
	s_delay_alu instid0(VALU_DEP_1)
	v_cmpx_ne_u64_e32 0, v[20:21]
	s_xor_b32 s42, exec_lo, s0
	s_cbranch_execz .LBB32_11
; %bb.10:                               ;   in Loop: Header=BB32_9 Depth=1
	s_add_u32 s30, s4, s28
	s_mov_b32 s29, s28
	s_addc_u32 s31, s5, s28
	s_delay_alu instid0(SALU_CYCLE_1) | instskip(NEXT) | instid1(SALU_CYCLE_1)
	s_xor_b64 s[30:31], s[30:31], s[28:29]
	v_cvt_f32_u32_e32 v8, s30
	v_cvt_f32_u32_e32 v9, s31
	s_sub_u32 s0, 0, s30
	s_subb_u32 s29, 0, s31
	s_delay_alu instid0(VALU_DEP_1) | instskip(NEXT) | instid1(VALU_DEP_1)
	v_fmac_f32_e32 v8, 0x4f800000, v9
	v_rcp_f32_e32 v8, v8
	s_waitcnt_depctr 0xfff
	v_mul_f32_e32 v8, 0x5f7ffffc, v8
	s_delay_alu instid0(VALU_DEP_1) | instskip(NEXT) | instid1(VALU_DEP_1)
	v_mul_f32_e32 v9, 0x2f800000, v8
	v_trunc_f32_e32 v9, v9
	s_delay_alu instid0(VALU_DEP_1) | instskip(SKIP_1) | instid1(VALU_DEP_2)
	v_fmac_f32_e32 v8, 0xcf800000, v9
	v_cvt_u32_f32_e32 v9, v9
	v_cvt_u32_f32_e32 v8, v8
	s_delay_alu instid0(VALU_DEP_2) | instskip(NEXT) | instid1(VALU_DEP_2)
	v_mul_lo_u32 v10, s0, v9
	v_mul_hi_u32 v11, s0, v8
	v_mul_lo_u32 v21, s29, v8
	s_delay_alu instid0(VALU_DEP_2) | instskip(SKIP_1) | instid1(VALU_DEP_2)
	v_add_nc_u32_e32 v10, v11, v10
	v_mul_lo_u32 v11, s0, v8
	v_add_nc_u32_e32 v10, v10, v21
	s_delay_alu instid0(VALU_DEP_2) | instskip(NEXT) | instid1(VALU_DEP_2)
	v_mul_hi_u32 v21, v8, v11
	v_mul_lo_u32 v24, v8, v10
	v_mul_hi_u32 v25, v8, v10
	v_mul_hi_u32 v26, v9, v11
	v_mul_lo_u32 v11, v9, v11
	v_mul_hi_u32 v27, v9, v10
	v_mul_lo_u32 v10, v9, v10
	v_add_co_u32 v21, vcc_lo, v21, v24
	v_add_co_ci_u32_e32 v24, vcc_lo, 0, v25, vcc_lo
	s_delay_alu instid0(VALU_DEP_2) | instskip(NEXT) | instid1(VALU_DEP_2)
	v_add_co_u32 v11, vcc_lo, v21, v11
	v_add_co_ci_u32_e32 v11, vcc_lo, v24, v26, vcc_lo
	v_add_co_ci_u32_e32 v21, vcc_lo, 0, v27, vcc_lo
	v_ashrrev_i32_e32 v26, 31, v5
	s_delay_alu instid0(VALU_DEP_3) | instskip(NEXT) | instid1(VALU_DEP_3)
	v_add_co_u32 v10, vcc_lo, v11, v10
	v_add_co_ci_u32_e32 v11, vcc_lo, 0, v21, vcc_lo
	s_delay_alu instid0(VALU_DEP_2) | instskip(NEXT) | instid1(VALU_DEP_2)
	v_add_co_u32 v8, vcc_lo, v8, v10
	v_add_co_ci_u32_e32 v9, vcc_lo, v9, v11, vcc_lo
	s_delay_alu instid0(VALU_DEP_2) | instskip(SKIP_1) | instid1(VALU_DEP_3)
	v_mul_hi_u32 v10, s0, v8
	v_mul_lo_u32 v21, s29, v8
	v_mul_lo_u32 v11, s0, v9
	s_delay_alu instid0(VALU_DEP_1) | instskip(SKIP_1) | instid1(VALU_DEP_2)
	v_add_nc_u32_e32 v10, v10, v11
	v_mul_lo_u32 v11, s0, v8
	v_add_nc_u32_e32 v10, v10, v21
	s_delay_alu instid0(VALU_DEP_2) | instskip(NEXT) | instid1(VALU_DEP_2)
	v_mul_hi_u32 v21, v8, v11
	v_mul_lo_u32 v24, v8, v10
	v_mul_hi_u32 v25, v8, v10
	v_mul_hi_u32 v27, v9, v11
	v_mul_lo_u32 v11, v9, v11
	v_mul_hi_u32 v28, v9, v10
	v_mul_lo_u32 v10, v9, v10
	v_add_co_u32 v21, vcc_lo, v21, v24
	v_add_co_ci_u32_e32 v24, vcc_lo, 0, v25, vcc_lo
	s_delay_alu instid0(VALU_DEP_2) | instskip(NEXT) | instid1(VALU_DEP_2)
	v_add_co_u32 v11, vcc_lo, v21, v11
	v_add_co_ci_u32_e32 v11, vcc_lo, v24, v27, vcc_lo
	v_add_co_ci_u32_e32 v21, vcc_lo, 0, v28, vcc_lo
	v_add_co_u32 v24, vcc_lo, v4, v26
	v_add_co_ci_u32_e32 v25, vcc_lo, v5, v26, vcc_lo
	s_delay_alu instid0(VALU_DEP_4) | instskip(NEXT) | instid1(VALU_DEP_4)
	v_add_co_u32 v10, vcc_lo, v11, v10
	v_add_co_ci_u32_e32 v11, vcc_lo, 0, v21, vcc_lo
	s_delay_alu instid0(VALU_DEP_4) | instskip(NEXT) | instid1(VALU_DEP_3)
	v_xor_b32_e32 v21, v24, v26
	v_add_co_u32 v24, vcc_lo, v8, v10
	s_delay_alu instid0(VALU_DEP_3) | instskip(SKIP_1) | instid1(VALU_DEP_3)
	v_add_co_ci_u32_e32 v27, vcc_lo, v9, v11, vcc_lo
	v_xor_b32_e32 v28, v25, v26
	v_mul_hi_u32 v29, v21, v24
	s_delay_alu instid0(VALU_DEP_3) | instskip(NEXT) | instid1(VALU_DEP_3)
	v_mad_u64_u32 v[8:9], null, v21, v27, 0
	v_mad_u64_u32 v[10:11], null, v28, v24, 0
	;; [unrolled: 1-line block ×3, first 2 shown]
	s_delay_alu instid0(VALU_DEP_3) | instskip(NEXT) | instid1(VALU_DEP_4)
	v_add_co_u32 v8, vcc_lo, v29, v8
	v_add_co_ci_u32_e32 v9, vcc_lo, 0, v9, vcc_lo
	s_delay_alu instid0(VALU_DEP_2) | instskip(NEXT) | instid1(VALU_DEP_2)
	v_add_co_u32 v8, vcc_lo, v8, v10
	v_add_co_ci_u32_e32 v8, vcc_lo, v9, v11, vcc_lo
	v_add_co_ci_u32_e32 v9, vcc_lo, 0, v25, vcc_lo
	s_delay_alu instid0(VALU_DEP_2) | instskip(NEXT) | instid1(VALU_DEP_2)
	v_add_co_u32 v10, vcc_lo, v8, v24
	v_add_co_ci_u32_e32 v11, vcc_lo, 0, v9, vcc_lo
	s_delay_alu instid0(VALU_DEP_2) | instskip(SKIP_1) | instid1(VALU_DEP_3)
	v_mul_lo_u32 v24, s31, v10
	v_mad_u64_u32 v[8:9], null, s30, v10, 0
	v_mul_lo_u32 v25, s30, v11
	s_delay_alu instid0(VALU_DEP_2) | instskip(NEXT) | instid1(VALU_DEP_2)
	v_sub_co_u32 v8, vcc_lo, v21, v8
	v_add3_u32 v9, v9, v25, v24
	s_delay_alu instid0(VALU_DEP_1) | instskip(NEXT) | instid1(VALU_DEP_1)
	v_sub_nc_u32_e32 v24, v28, v9
	v_subrev_co_ci_u32_e64 v21, s0, s31, v24, vcc_lo
	v_add_co_u32 v24, s0, v10, 2
	s_delay_alu instid0(VALU_DEP_1) | instskip(SKIP_3) | instid1(VALU_DEP_3)
	v_add_co_ci_u32_e64 v25, s0, 0, v11, s0
	v_sub_co_u32 v27, s0, v8, s30
	v_sub_co_ci_u32_e32 v9, vcc_lo, v28, v9, vcc_lo
	v_subrev_co_ci_u32_e64 v21, s0, 0, v21, s0
	v_cmp_le_u32_e32 vcc_lo, s30, v27
	s_delay_alu instid0(VALU_DEP_3) | instskip(SKIP_1) | instid1(VALU_DEP_4)
	v_cmp_eq_u32_e64 s0, s31, v9
	v_cndmask_b32_e64 v27, 0, -1, vcc_lo
	v_cmp_le_u32_e32 vcc_lo, s31, v21
	v_cndmask_b32_e64 v28, 0, -1, vcc_lo
	v_cmp_le_u32_e32 vcc_lo, s30, v8
	;; [unrolled: 2-line block ×3, first 2 shown]
	v_cndmask_b32_e64 v29, 0, -1, vcc_lo
	v_cmp_eq_u32_e32 vcc_lo, s31, v21
	s_delay_alu instid0(VALU_DEP_2) | instskip(SKIP_3) | instid1(VALU_DEP_3)
	v_cndmask_b32_e64 v8, v29, v8, s0
	v_cndmask_b32_e32 v21, v28, v27, vcc_lo
	v_add_co_u32 v27, vcc_lo, v10, 1
	v_add_co_ci_u32_e32 v28, vcc_lo, 0, v11, vcc_lo
	v_cmp_ne_u32_e32 vcc_lo, 0, v21
	s_delay_alu instid0(VALU_DEP_2) | instskip(NEXT) | instid1(VALU_DEP_4)
	v_cndmask_b32_e32 v9, v28, v25, vcc_lo
	v_cndmask_b32_e32 v21, v27, v24, vcc_lo
	v_cmp_ne_u32_e32 vcc_lo, 0, v8
	v_xor_b32_e32 v8, s28, v26
	s_delay_alu instid0(VALU_DEP_4) | instskip(NEXT) | instid1(VALU_DEP_4)
	v_cndmask_b32_e32 v9, v11, v9, vcc_lo
	v_cndmask_b32_e32 v10, v10, v21, vcc_lo
	s_delay_alu instid0(VALU_DEP_2) | instskip(NEXT) | instid1(VALU_DEP_2)
	v_xor_b32_e32 v9, v9, v8
	v_xor_b32_e32 v10, v10, v8
	s_delay_alu instid0(VALU_DEP_1) | instskip(NEXT) | instid1(VALU_DEP_3)
	v_sub_co_u32 v24, vcc_lo, v10, v8
	v_sub_co_ci_u32_e32 v25, vcc_lo, v9, v8, vcc_lo
.LBB32_11:                              ;   in Loop: Header=BB32_9 Depth=1
	s_or_saveexec_b32 s0, s42
	v_cvt_f32_u32_e32 v8, s4
	s_delay_alu instid0(VALU_DEP_1)
	v_rcp_iflag_f32_e32 v8, v8
	s_xor_b32 exec_lo, exec_lo, s0
	s_cbranch_execz .LBB32_13
; %bb.12:                               ;   in Loop: Header=BB32_9 Depth=1
	s_waitcnt_depctr 0xfff
	v_mul_f32_e32 v9, 0x4f7ffffe, v8
	v_mov_b32_e32 v25, v20
	s_delay_alu instid0(VALU_DEP_2) | instskip(NEXT) | instid1(VALU_DEP_1)
	v_cvt_u32_f32_e32 v9, v9
	v_mul_lo_u32 v10, s41, v9
	s_delay_alu instid0(VALU_DEP_1) | instskip(NEXT) | instid1(VALU_DEP_1)
	v_mul_hi_u32 v10, v9, v10
	v_add_nc_u32_e32 v9, v9, v10
	s_delay_alu instid0(VALU_DEP_1) | instskip(NEXT) | instid1(VALU_DEP_1)
	v_mul_hi_u32 v9, v4, v9
	v_mul_lo_u32 v10, v9, s4
	v_add_nc_u32_e32 v11, 1, v9
	s_delay_alu instid0(VALU_DEP_2) | instskip(NEXT) | instid1(VALU_DEP_1)
	v_sub_nc_u32_e32 v10, v4, v10
	v_subrev_nc_u32_e32 v21, s4, v10
	v_cmp_le_u32_e32 vcc_lo, s4, v10
	s_delay_alu instid0(VALU_DEP_2) | instskip(NEXT) | instid1(VALU_DEP_1)
	v_dual_cndmask_b32 v10, v10, v21 :: v_dual_cndmask_b32 v9, v9, v11
	v_cmp_le_u32_e32 vcc_lo, s4, v10
	s_delay_alu instid0(VALU_DEP_2) | instskip(NEXT) | instid1(VALU_DEP_1)
	v_add_nc_u32_e32 v11, 1, v9
	v_cndmask_b32_e32 v24, v9, v11, vcc_lo
.LBB32_13:                              ;   in Loop: Header=BB32_9 Depth=1
	s_or_b32 exec_lo, exec_lo, s0
	v_or_b32_e32 v21, s5, v7
                                        ; implicit-def: $vgpr26_vgpr27
	s_mov_b32 s0, exec_lo
	s_delay_alu instid0(VALU_DEP_1)
	v_cmpx_ne_u64_e32 0, v[20:21]
	s_xor_b32 s42, exec_lo, s0
	s_cbranch_execnz .LBB32_17
; %bb.14:                               ;   in Loop: Header=BB32_9 Depth=1
	s_and_not1_saveexec_b32 s0, s42
	s_cbranch_execnz .LBB32_18
.LBB32_15:                              ;   in Loop: Header=BB32_9 Depth=1
	s_or_b32 exec_lo, exec_lo, s0
	s_delay_alu instid0(SALU_CYCLE_1)
	s_and_not1_b32 vcc_lo, exec_lo, s39
                                        ; implicit-def: $vgpr8_vgpr9_vgpr10_vgpr11
	s_cbranch_vccz .LBB32_19
.LBB32_16:                              ;   in Loop: Header=BB32_9 Depth=1
	s_and_not1_b32 vcc_lo, exec_lo, s39
	s_cbranch_vccnz .LBB32_8
	s_branch .LBB32_24
.LBB32_17:                              ;   in Loop: Header=BB32_9 Depth=1
	s_add_u32 s30, s4, s28
	s_mov_b32 s29, s28
	s_addc_u32 s31, s5, s28
	s_delay_alu instid0(SALU_CYCLE_1) | instskip(NEXT) | instid1(SALU_CYCLE_1)
	s_xor_b64 s[30:31], s[30:31], s[28:29]
	v_cvt_f32_u32_e32 v8, s30
	v_cvt_f32_u32_e32 v9, s31
	s_sub_u32 s0, 0, s30
	s_subb_u32 s29, 0, s31
	s_waitcnt_depctr 0xfff
	v_fmac_f32_e32 v8, 0x4f800000, v9
	s_delay_alu instid0(VALU_DEP_1) | instskip(SKIP_2) | instid1(VALU_DEP_1)
	v_rcp_f32_e32 v8, v8
	s_waitcnt_depctr 0xfff
	v_mul_f32_e32 v8, 0x5f7ffffc, v8
	v_mul_f32_e32 v9, 0x2f800000, v8
	s_delay_alu instid0(VALU_DEP_1) | instskip(NEXT) | instid1(VALU_DEP_1)
	v_trunc_f32_e32 v9, v9
	v_fmac_f32_e32 v8, 0xcf800000, v9
	v_cvt_u32_f32_e32 v9, v9
	s_delay_alu instid0(VALU_DEP_2) | instskip(NEXT) | instid1(VALU_DEP_2)
	v_cvt_u32_f32_e32 v8, v8
	v_mul_lo_u32 v10, s0, v9
	s_delay_alu instid0(VALU_DEP_2) | instskip(SKIP_1) | instid1(VALU_DEP_2)
	v_mul_hi_u32 v11, s0, v8
	v_mul_lo_u32 v21, s29, v8
	v_add_nc_u32_e32 v10, v11, v10
	v_mul_lo_u32 v11, s0, v8
	s_delay_alu instid0(VALU_DEP_2) | instskip(NEXT) | instid1(VALU_DEP_2)
	v_add_nc_u32_e32 v10, v10, v21
	v_mul_hi_u32 v21, v8, v11
	s_delay_alu instid0(VALU_DEP_2)
	v_mul_lo_u32 v26, v8, v10
	v_mul_hi_u32 v27, v8, v10
	v_mul_hi_u32 v28, v9, v11
	v_mul_lo_u32 v11, v9, v11
	v_mul_hi_u32 v29, v9, v10
	v_mul_lo_u32 v10, v9, v10
	v_add_co_u32 v21, vcc_lo, v21, v26
	v_add_co_ci_u32_e32 v26, vcc_lo, 0, v27, vcc_lo
	s_delay_alu instid0(VALU_DEP_2) | instskip(NEXT) | instid1(VALU_DEP_2)
	v_add_co_u32 v11, vcc_lo, v21, v11
	v_add_co_ci_u32_e32 v11, vcc_lo, v26, v28, vcc_lo
	v_add_co_ci_u32_e32 v21, vcc_lo, 0, v29, vcc_lo
	v_ashrrev_i32_e32 v28, 31, v7
	s_delay_alu instid0(VALU_DEP_3) | instskip(NEXT) | instid1(VALU_DEP_3)
	v_add_co_u32 v10, vcc_lo, v11, v10
	v_add_co_ci_u32_e32 v11, vcc_lo, 0, v21, vcc_lo
	s_delay_alu instid0(VALU_DEP_2) | instskip(NEXT) | instid1(VALU_DEP_2)
	v_add_co_u32 v8, vcc_lo, v8, v10
	v_add_co_ci_u32_e32 v9, vcc_lo, v9, v11, vcc_lo
	s_delay_alu instid0(VALU_DEP_2) | instskip(SKIP_1) | instid1(VALU_DEP_3)
	v_mul_hi_u32 v10, s0, v8
	v_mul_lo_u32 v21, s29, v8
	v_mul_lo_u32 v11, s0, v9
	s_delay_alu instid0(VALU_DEP_1) | instskip(SKIP_1) | instid1(VALU_DEP_2)
	v_add_nc_u32_e32 v10, v10, v11
	v_mul_lo_u32 v11, s0, v8
	v_add_nc_u32_e32 v10, v10, v21
	s_delay_alu instid0(VALU_DEP_2) | instskip(NEXT) | instid1(VALU_DEP_2)
	v_mul_hi_u32 v21, v8, v11
	v_mul_lo_u32 v26, v8, v10
	v_mul_hi_u32 v27, v8, v10
	v_mul_hi_u32 v29, v9, v11
	v_mul_lo_u32 v11, v9, v11
	v_mul_hi_u32 v30, v9, v10
	v_mul_lo_u32 v10, v9, v10
	v_add_co_u32 v21, vcc_lo, v21, v26
	v_add_co_ci_u32_e32 v26, vcc_lo, 0, v27, vcc_lo
	s_delay_alu instid0(VALU_DEP_2) | instskip(NEXT) | instid1(VALU_DEP_2)
	v_add_co_u32 v11, vcc_lo, v21, v11
	v_add_co_ci_u32_e32 v11, vcc_lo, v26, v29, vcc_lo
	v_add_co_ci_u32_e32 v21, vcc_lo, 0, v30, vcc_lo
	v_add_co_u32 v26, vcc_lo, v6, v28
	v_add_co_ci_u32_e32 v27, vcc_lo, v7, v28, vcc_lo
	s_delay_alu instid0(VALU_DEP_4) | instskip(NEXT) | instid1(VALU_DEP_4)
	v_add_co_u32 v10, vcc_lo, v11, v10
	v_add_co_ci_u32_e32 v11, vcc_lo, 0, v21, vcc_lo
	s_delay_alu instid0(VALU_DEP_4) | instskip(NEXT) | instid1(VALU_DEP_3)
	v_xor_b32_e32 v21, v26, v28
	v_add_co_u32 v26, vcc_lo, v8, v10
	s_delay_alu instid0(VALU_DEP_3) | instskip(SKIP_1) | instid1(VALU_DEP_3)
	v_add_co_ci_u32_e32 v29, vcc_lo, v9, v11, vcc_lo
	v_xor_b32_e32 v30, v27, v28
	v_mul_hi_u32 v31, v21, v26
	s_delay_alu instid0(VALU_DEP_3) | instskip(NEXT) | instid1(VALU_DEP_3)
	v_mad_u64_u32 v[8:9], null, v21, v29, 0
	v_mad_u64_u32 v[10:11], null, v30, v26, 0
	;; [unrolled: 1-line block ×3, first 2 shown]
	s_delay_alu instid0(VALU_DEP_3) | instskip(NEXT) | instid1(VALU_DEP_4)
	v_add_co_u32 v8, vcc_lo, v31, v8
	v_add_co_ci_u32_e32 v9, vcc_lo, 0, v9, vcc_lo
	s_delay_alu instid0(VALU_DEP_2) | instskip(NEXT) | instid1(VALU_DEP_2)
	v_add_co_u32 v8, vcc_lo, v8, v10
	v_add_co_ci_u32_e32 v8, vcc_lo, v9, v11, vcc_lo
	v_add_co_ci_u32_e32 v9, vcc_lo, 0, v27, vcc_lo
	s_delay_alu instid0(VALU_DEP_2) | instskip(NEXT) | instid1(VALU_DEP_2)
	v_add_co_u32 v10, vcc_lo, v8, v26
	v_add_co_ci_u32_e32 v11, vcc_lo, 0, v9, vcc_lo
	s_delay_alu instid0(VALU_DEP_2) | instskip(SKIP_1) | instid1(VALU_DEP_3)
	v_mul_lo_u32 v26, s31, v10
	v_mad_u64_u32 v[8:9], null, s30, v10, 0
	v_mul_lo_u32 v27, s30, v11
	s_delay_alu instid0(VALU_DEP_2) | instskip(NEXT) | instid1(VALU_DEP_2)
	v_sub_co_u32 v8, vcc_lo, v21, v8
	v_add3_u32 v9, v9, v27, v26
	s_delay_alu instid0(VALU_DEP_1) | instskip(NEXT) | instid1(VALU_DEP_1)
	v_sub_nc_u32_e32 v26, v30, v9
	v_subrev_co_ci_u32_e64 v21, s0, s31, v26, vcc_lo
	v_add_co_u32 v26, s0, v10, 2
	s_delay_alu instid0(VALU_DEP_1) | instskip(SKIP_3) | instid1(VALU_DEP_3)
	v_add_co_ci_u32_e64 v27, s0, 0, v11, s0
	v_sub_co_u32 v29, s0, v8, s30
	v_sub_co_ci_u32_e32 v9, vcc_lo, v30, v9, vcc_lo
	v_subrev_co_ci_u32_e64 v21, s0, 0, v21, s0
	v_cmp_le_u32_e32 vcc_lo, s30, v29
	s_delay_alu instid0(VALU_DEP_3) | instskip(SKIP_1) | instid1(VALU_DEP_4)
	v_cmp_eq_u32_e64 s0, s31, v9
	v_cndmask_b32_e64 v29, 0, -1, vcc_lo
	v_cmp_le_u32_e32 vcc_lo, s31, v21
	v_cndmask_b32_e64 v30, 0, -1, vcc_lo
	v_cmp_le_u32_e32 vcc_lo, s30, v8
	v_cndmask_b32_e64 v8, 0, -1, vcc_lo
	v_cmp_le_u32_e32 vcc_lo, s31, v9
	v_cndmask_b32_e64 v31, 0, -1, vcc_lo
	v_cmp_eq_u32_e32 vcc_lo, s31, v21
	s_delay_alu instid0(VALU_DEP_2) | instskip(SKIP_3) | instid1(VALU_DEP_3)
	v_cndmask_b32_e64 v8, v31, v8, s0
	v_cndmask_b32_e32 v21, v30, v29, vcc_lo
	v_add_co_u32 v29, vcc_lo, v10, 1
	v_add_co_ci_u32_e32 v30, vcc_lo, 0, v11, vcc_lo
	v_cmp_ne_u32_e32 vcc_lo, 0, v21
	s_delay_alu instid0(VALU_DEP_2) | instskip(NEXT) | instid1(VALU_DEP_4)
	v_cndmask_b32_e32 v9, v30, v27, vcc_lo
	v_cndmask_b32_e32 v21, v29, v26, vcc_lo
	v_cmp_ne_u32_e32 vcc_lo, 0, v8
	v_xor_b32_e32 v8, s28, v28
	s_delay_alu instid0(VALU_DEP_4) | instskip(NEXT) | instid1(VALU_DEP_4)
	v_cndmask_b32_e32 v9, v11, v9, vcc_lo
	v_cndmask_b32_e32 v10, v10, v21, vcc_lo
	s_delay_alu instid0(VALU_DEP_2) | instskip(NEXT) | instid1(VALU_DEP_2)
	v_xor_b32_e32 v9, v9, v8
	v_xor_b32_e32 v10, v10, v8
	s_delay_alu instid0(VALU_DEP_1) | instskip(NEXT) | instid1(VALU_DEP_3)
	v_sub_co_u32 v26, vcc_lo, v10, v8
	v_sub_co_ci_u32_e32 v27, vcc_lo, v9, v8, vcc_lo
                                        ; implicit-def: $vgpr8
	s_and_not1_saveexec_b32 s0, s42
	s_cbranch_execz .LBB32_15
.LBB32_18:                              ;   in Loop: Header=BB32_9 Depth=1
	s_waitcnt_depctr 0xfff
	v_dual_mul_f32 v8, 0x4f7ffffe, v8 :: v_dual_mov_b32 v27, v20
	s_delay_alu instid0(VALU_DEP_1) | instskip(NEXT) | instid1(VALU_DEP_1)
	v_cvt_u32_f32_e32 v8, v8
	v_mul_lo_u32 v9, s41, v8
	s_delay_alu instid0(VALU_DEP_1) | instskip(NEXT) | instid1(VALU_DEP_1)
	v_mul_hi_u32 v9, v8, v9
	v_add_nc_u32_e32 v8, v8, v9
	s_delay_alu instid0(VALU_DEP_1) | instskip(NEXT) | instid1(VALU_DEP_1)
	v_mul_hi_u32 v8, v6, v8
	v_mul_lo_u32 v9, v8, s4
	v_add_nc_u32_e32 v10, 1, v8
	s_delay_alu instid0(VALU_DEP_2) | instskip(NEXT) | instid1(VALU_DEP_1)
	v_sub_nc_u32_e32 v9, v6, v9
	v_subrev_nc_u32_e32 v11, s4, v9
	v_cmp_le_u32_e32 vcc_lo, s4, v9
	s_delay_alu instid0(VALU_DEP_2) | instskip(NEXT) | instid1(VALU_DEP_1)
	v_dual_cndmask_b32 v9, v9, v11 :: v_dual_cndmask_b32 v8, v8, v10
	v_cmp_le_u32_e32 vcc_lo, s4, v9
	s_delay_alu instid0(VALU_DEP_2) | instskip(NEXT) | instid1(VALU_DEP_1)
	v_add_nc_u32_e32 v10, 1, v8
	v_cndmask_b32_e32 v26, v8, v10, vcc_lo
	s_or_b32 exec_lo, exec_lo, s0
	s_delay_alu instid0(SALU_CYCLE_1)
	s_and_not1_b32 vcc_lo, exec_lo, s39
                                        ; implicit-def: $vgpr8_vgpr9_vgpr10_vgpr11
	s_cbranch_vccnz .LBB32_16
.LBB32_19:                              ;   in Loop: Header=BB32_9 Depth=1
	v_mad_u64_u32 v[10:11], null, s20, v24, v[14:15]
	v_mul_lo_u32 v8, s20, v25
	v_mul_lo_u32 v9, s21, v24
	s_mov_b32 s0, exec_lo
	s_waitcnt_depctr 0xfff
	v_add3_u32 v11, v9, v11, v8
                                        ; implicit-def: $vgpr8_vgpr9
	s_delay_alu instid0(VALU_DEP_1) | instskip(NEXT) | instid1(VALU_DEP_1)
	v_or_b32_e32 v21, s3, v11
	v_cmpx_ne_u64_e32 0, v[20:21]
	s_xor_b32 s29, exec_lo, s0
	s_cbranch_execz .LBB32_21
; %bb.20:                               ;   in Loop: Header=BB32_9 Depth=1
	s_ashr_i32 s30, s3, 31
	s_delay_alu instid0(SALU_CYCLE_1) | instskip(SKIP_2) | instid1(SALU_CYCLE_1)
	s_add_u32 s42, s2, s30
	s_mov_b32 s31, s30
	s_addc_u32 s43, s3, s30
	s_xor_b64 s[30:31], s[42:43], s[30:31]
	s_delay_alu instid0(SALU_CYCLE_1) | instskip(SKIP_3) | instid1(VALU_DEP_1)
	v_cvt_f32_u32_e32 v8, s30
	v_cvt_f32_u32_e32 v9, s31
	s_sub_u32 s0, 0, s30
	s_subb_u32 s42, 0, s31
	v_fmac_f32_e32 v8, 0x4f800000, v9
	s_delay_alu instid0(VALU_DEP_1) | instskip(SKIP_2) | instid1(VALU_DEP_1)
	v_rcp_f32_e32 v8, v8
	s_waitcnt_depctr 0xfff
	v_mul_f32_e32 v8, 0x5f7ffffc, v8
	v_mul_f32_e32 v9, 0x2f800000, v8
	s_delay_alu instid0(VALU_DEP_1) | instskip(NEXT) | instid1(VALU_DEP_1)
	v_trunc_f32_e32 v9, v9
	v_fmac_f32_e32 v8, 0xcf800000, v9
	v_cvt_u32_f32_e32 v9, v9
	s_delay_alu instid0(VALU_DEP_2) | instskip(NEXT) | instid1(VALU_DEP_2)
	v_cvt_u32_f32_e32 v8, v8
	v_mul_lo_u32 v21, s0, v9
	s_delay_alu instid0(VALU_DEP_2) | instskip(SKIP_1) | instid1(VALU_DEP_2)
	v_mul_hi_u32 v28, s0, v8
	v_mul_lo_u32 v29, s42, v8
	v_add_nc_u32_e32 v21, v28, v21
	v_mul_lo_u32 v28, s0, v8
	s_delay_alu instid0(VALU_DEP_2) | instskip(NEXT) | instid1(VALU_DEP_2)
	v_add_nc_u32_e32 v21, v21, v29
	v_mul_hi_u32 v29, v8, v28
	s_delay_alu instid0(VALU_DEP_2)
	v_mul_lo_u32 v30, v8, v21
	v_mul_hi_u32 v31, v8, v21
	v_mul_hi_u32 v32, v9, v28
	v_mul_lo_u32 v28, v9, v28
	v_mul_hi_u32 v33, v9, v21
	v_mul_lo_u32 v21, v9, v21
	v_add_co_u32 v29, vcc_lo, v29, v30
	v_add_co_ci_u32_e32 v30, vcc_lo, 0, v31, vcc_lo
	s_delay_alu instid0(VALU_DEP_2) | instskip(NEXT) | instid1(VALU_DEP_2)
	v_add_co_u32 v28, vcc_lo, v29, v28
	v_add_co_ci_u32_e32 v28, vcc_lo, v30, v32, vcc_lo
	v_add_co_ci_u32_e32 v29, vcc_lo, 0, v33, vcc_lo
	v_ashrrev_i32_e32 v32, 31, v11
	s_delay_alu instid0(VALU_DEP_3) | instskip(NEXT) | instid1(VALU_DEP_3)
	v_add_co_u32 v21, vcc_lo, v28, v21
	v_add_co_ci_u32_e32 v28, vcc_lo, 0, v29, vcc_lo
	s_delay_alu instid0(VALU_DEP_2) | instskip(NEXT) | instid1(VALU_DEP_2)
	v_add_co_u32 v8, vcc_lo, v8, v21
	v_add_co_ci_u32_e32 v9, vcc_lo, v9, v28, vcc_lo
	s_delay_alu instid0(VALU_DEP_2) | instskip(SKIP_1) | instid1(VALU_DEP_3)
	v_mul_hi_u32 v21, s0, v8
	v_mul_lo_u32 v29, s42, v8
	v_mul_lo_u32 v28, s0, v9
	s_delay_alu instid0(VALU_DEP_1) | instskip(SKIP_1) | instid1(VALU_DEP_2)
	v_add_nc_u32_e32 v21, v21, v28
	v_mul_lo_u32 v28, s0, v8
	v_add_nc_u32_e32 v21, v21, v29
	s_delay_alu instid0(VALU_DEP_2) | instskip(NEXT) | instid1(VALU_DEP_2)
	v_mul_hi_u32 v29, v8, v28
	v_mul_lo_u32 v30, v8, v21
	v_mul_hi_u32 v31, v8, v21
	v_mul_hi_u32 v33, v9, v28
	v_mul_lo_u32 v28, v9, v28
	v_mul_hi_u32 v34, v9, v21
	v_mul_lo_u32 v21, v9, v21
	v_add_co_u32 v29, vcc_lo, v29, v30
	v_add_co_ci_u32_e32 v30, vcc_lo, 0, v31, vcc_lo
	s_delay_alu instid0(VALU_DEP_2) | instskip(NEXT) | instid1(VALU_DEP_2)
	v_add_co_u32 v28, vcc_lo, v29, v28
	v_add_co_ci_u32_e32 v28, vcc_lo, v30, v33, vcc_lo
	v_add_co_ci_u32_e32 v29, vcc_lo, 0, v34, vcc_lo
	v_add_co_u32 v10, vcc_lo, v10, v32
	v_add_co_ci_u32_e32 v11, vcc_lo, v11, v32, vcc_lo
	s_delay_alu instid0(VALU_DEP_4) | instskip(NEXT) | instid1(VALU_DEP_4)
	v_add_co_u32 v21, vcc_lo, v28, v21
	v_add_co_ci_u32_e32 v28, vcc_lo, 0, v29, vcc_lo
	s_delay_alu instid0(VALU_DEP_4) | instskip(NEXT) | instid1(VALU_DEP_3)
	v_xor_b32_e32 v30, v10, v32
	v_add_co_u32 v21, vcc_lo, v8, v21
	s_delay_alu instid0(VALU_DEP_3) | instskip(SKIP_1) | instid1(VALU_DEP_3)
	v_add_co_ci_u32_e32 v31, vcc_lo, v9, v28, vcc_lo
	v_xor_b32_e32 v33, v11, v32
	v_mul_hi_u32 v34, v30, v21
	s_delay_alu instid0(VALU_DEP_3) | instskip(NEXT) | instid1(VALU_DEP_3)
	v_mad_u64_u32 v[8:9], null, v30, v31, 0
	v_mad_u64_u32 v[10:11], null, v33, v21, 0
	;; [unrolled: 1-line block ×3, first 2 shown]
	s_delay_alu instid0(VALU_DEP_3) | instskip(NEXT) | instid1(VALU_DEP_4)
	v_add_co_u32 v8, vcc_lo, v34, v8
	v_add_co_ci_u32_e32 v9, vcc_lo, 0, v9, vcc_lo
	s_delay_alu instid0(VALU_DEP_2) | instskip(NEXT) | instid1(VALU_DEP_2)
	v_add_co_u32 v8, vcc_lo, v8, v10
	v_add_co_ci_u32_e32 v8, vcc_lo, v9, v11, vcc_lo
	v_add_co_ci_u32_e32 v9, vcc_lo, 0, v29, vcc_lo
	s_delay_alu instid0(VALU_DEP_2) | instskip(NEXT) | instid1(VALU_DEP_2)
	v_add_co_u32 v10, vcc_lo, v8, v28
	v_add_co_ci_u32_e32 v11, vcc_lo, 0, v9, vcc_lo
	s_delay_alu instid0(VALU_DEP_2) | instskip(SKIP_1) | instid1(VALU_DEP_3)
	v_mul_lo_u32 v21, s31, v10
	v_mad_u64_u32 v[8:9], null, s30, v10, 0
	v_mul_lo_u32 v10, s30, v11
	s_delay_alu instid0(VALU_DEP_2) | instskip(NEXT) | instid1(VALU_DEP_2)
	v_sub_co_u32 v8, vcc_lo, v30, v8
	v_add3_u32 v9, v9, v10, v21
	s_delay_alu instid0(VALU_DEP_1) | instskip(NEXT) | instid1(VALU_DEP_1)
	v_sub_nc_u32_e32 v10, v33, v9
	v_subrev_co_ci_u32_e64 v10, s0, s31, v10, vcc_lo
	v_sub_co_ci_u32_e32 v9, vcc_lo, v33, v9, vcc_lo
	v_sub_co_u32 v11, vcc_lo, v8, s30
	s_delay_alu instid0(VALU_DEP_1) | instskip(SKIP_3) | instid1(VALU_DEP_3)
	v_subrev_co_ci_u32_e64 v21, s0, 0, v10, vcc_lo
	v_cmp_le_u32_e64 s0, s30, v8
	v_subrev_co_ci_u32_e32 v10, vcc_lo, s31, v10, vcc_lo
	v_cmp_le_u32_e32 vcc_lo, s31, v9
	v_cndmask_b32_e64 v28, 0, -1, s0
	v_cmp_le_u32_e64 s0, s30, v11
	v_cndmask_b32_e64 v31, 0, -1, vcc_lo
	v_cmp_eq_u32_e32 vcc_lo, s31, v21
	s_delay_alu instid0(VALU_DEP_3) | instskip(SKIP_1) | instid1(VALU_DEP_1)
	v_cndmask_b32_e64 v29, 0, -1, s0
	v_cmp_le_u32_e64 s0, s31, v21
	v_cndmask_b32_e64 v30, 0, -1, s0
	v_cmp_eq_u32_e64 s0, s31, v9
	s_delay_alu instid0(VALU_DEP_2) | instskip(SKIP_2) | instid1(VALU_DEP_3)
	v_cndmask_b32_e32 v29, v30, v29, vcc_lo
	v_sub_co_u32 v30, vcc_lo, v11, s30
	v_subrev_co_ci_u32_e32 v10, vcc_lo, 0, v10, vcc_lo
	v_cmp_ne_u32_e32 vcc_lo, 0, v29
	v_cndmask_b32_e64 v28, v31, v28, s0
	s_delay_alu instid0(VALU_DEP_3) | instskip(SKIP_1) | instid1(VALU_DEP_3)
	v_cndmask_b32_e32 v10, v21, v10, vcc_lo
	v_cndmask_b32_e32 v11, v11, v30, vcc_lo
	v_cmp_ne_u32_e32 vcc_lo, 0, v28
	s_delay_alu instid0(VALU_DEP_2) | instskip(NEXT) | instid1(VALU_DEP_1)
	v_dual_cndmask_b32 v8, v8, v11 :: v_dual_cndmask_b32 v9, v9, v10
                                        ; implicit-def: $vgpr10_vgpr11
	v_xor_b32_e32 v8, v8, v32
	s_delay_alu instid0(VALU_DEP_2) | instskip(NEXT) | instid1(VALU_DEP_2)
	v_xor_b32_e32 v9, v9, v32
	v_sub_co_u32 v8, vcc_lo, v8, v32
	s_delay_alu instid0(VALU_DEP_2)
	v_sub_co_ci_u32_e32 v9, vcc_lo, v9, v32, vcc_lo
.LBB32_21:                              ;   in Loop: Header=BB32_9 Depth=1
	s_and_not1_saveexec_b32 s0, s29
	s_cbranch_execz .LBB32_23
; %bb.22:                               ;   in Loop: Header=BB32_9 Depth=1
	v_cvt_f32_u32_e32 v8, s2
	s_sub_i32 s29, 0, s2
	s_delay_alu instid0(VALU_DEP_1) | instskip(SKIP_2) | instid1(VALU_DEP_1)
	v_rcp_iflag_f32_e32 v8, v8
	s_waitcnt_depctr 0xfff
	v_mul_f32_e32 v8, 0x4f7ffffe, v8
	v_cvt_u32_f32_e32 v8, v8
	s_delay_alu instid0(VALU_DEP_1) | instskip(NEXT) | instid1(VALU_DEP_1)
	v_mul_lo_u32 v9, s29, v8
	v_mul_hi_u32 v9, v8, v9
	s_delay_alu instid0(VALU_DEP_1) | instskip(NEXT) | instid1(VALU_DEP_1)
	v_add_nc_u32_e32 v8, v8, v9
	v_mul_hi_u32 v8, v10, v8
	s_delay_alu instid0(VALU_DEP_1) | instskip(NEXT) | instid1(VALU_DEP_1)
	v_mul_lo_u32 v8, v8, s2
	v_sub_nc_u32_e32 v8, v10, v8
	s_delay_alu instid0(VALU_DEP_1) | instskip(SKIP_1) | instid1(VALU_DEP_2)
	v_subrev_nc_u32_e32 v9, s2, v8
	v_cmp_le_u32_e32 vcc_lo, s2, v8
	v_cndmask_b32_e32 v8, v8, v9, vcc_lo
	s_delay_alu instid0(VALU_DEP_1) | instskip(SKIP_1) | instid1(VALU_DEP_2)
	v_subrev_nc_u32_e32 v9, s2, v8
	v_cmp_le_u32_e32 vcc_lo, s2, v8
	v_cndmask_b32_e32 v8, v8, v9, vcc_lo
	v_mov_b32_e32 v9, v20
.LBB32_23:                              ;   in Loop: Header=BB32_9 Depth=1
	s_or_b32 exec_lo, exec_lo, s0
                                        ; kill: def $vgpr10 killed $sgpr0 killed $exec
	s_delay_alu instid0(SALU_CYCLE_1)
	s_and_not1_b32 vcc_lo, exec_lo, s39
	s_cbranch_vccnz .LBB32_8
.LBB32_24:                              ;   in Loop: Header=BB32_9 Depth=1
	v_mad_u64_u32 v[28:29], null, s20, v26, v[18:19]
	v_mul_lo_u32 v10, s20, v27
	v_mul_lo_u32 v11, s21, v26
	s_delay_alu instid0(VALU_DEP_1) | instskip(SKIP_1) | instid1(VALU_DEP_1)
	v_add3_u32 v29, v11, v29, v10
                                        ; kill: def $vgpr10_vgpr11 killed $sgpr0_sgpr1 killed $exec
	s_mov_b32 s0, exec_lo
	v_or_b32_e32 v21, s3, v29
	s_delay_alu instid0(VALU_DEP_1)
	v_cmpx_ne_u64_e32 0, v[20:21]
	s_xor_b32 s29, exec_lo, s0
	s_cbranch_execz .LBB32_26
; %bb.25:                               ;   in Loop: Header=BB32_9 Depth=1
	s_ashr_i32 s30, s3, 31
	s_delay_alu instid0(SALU_CYCLE_1) | instskip(SKIP_2) | instid1(SALU_CYCLE_1)
	s_add_u32 s42, s2, s30
	s_mov_b32 s31, s30
	s_addc_u32 s43, s3, s30
	s_xor_b64 s[30:31], s[42:43], s[30:31]
	s_delay_alu instid0(SALU_CYCLE_1) | instskip(SKIP_3) | instid1(VALU_DEP_1)
	v_cvt_f32_u32_e32 v10, s30
	v_cvt_f32_u32_e32 v11, s31
	s_sub_u32 s0, 0, s30
	s_subb_u32 s42, 0, s31
	v_fmac_f32_e32 v10, 0x4f800000, v11
	s_delay_alu instid0(VALU_DEP_1) | instskip(SKIP_2) | instid1(VALU_DEP_1)
	v_rcp_f32_e32 v10, v10
	s_waitcnt_depctr 0xfff
	v_mul_f32_e32 v10, 0x5f7ffffc, v10
	v_mul_f32_e32 v11, 0x2f800000, v10
	s_delay_alu instid0(VALU_DEP_1) | instskip(NEXT) | instid1(VALU_DEP_1)
	v_trunc_f32_e32 v11, v11
	v_fmac_f32_e32 v10, 0xcf800000, v11
	v_cvt_u32_f32_e32 v11, v11
	s_delay_alu instid0(VALU_DEP_2) | instskip(NEXT) | instid1(VALU_DEP_2)
	v_cvt_u32_f32_e32 v10, v10
	v_mul_lo_u32 v21, s0, v11
	s_delay_alu instid0(VALU_DEP_2) | instskip(SKIP_1) | instid1(VALU_DEP_2)
	v_mul_hi_u32 v30, s0, v10
	v_mul_lo_u32 v31, s42, v10
	v_add_nc_u32_e32 v21, v30, v21
	v_mul_lo_u32 v30, s0, v10
	s_delay_alu instid0(VALU_DEP_2) | instskip(NEXT) | instid1(VALU_DEP_2)
	v_add_nc_u32_e32 v21, v21, v31
	v_mul_hi_u32 v31, v10, v30
	s_delay_alu instid0(VALU_DEP_2)
	v_mul_lo_u32 v32, v10, v21
	v_mul_hi_u32 v33, v10, v21
	v_mul_hi_u32 v34, v11, v30
	v_mul_lo_u32 v30, v11, v30
	v_mul_hi_u32 v35, v11, v21
	v_mul_lo_u32 v21, v11, v21
	v_add_co_u32 v31, vcc_lo, v31, v32
	v_add_co_ci_u32_e32 v32, vcc_lo, 0, v33, vcc_lo
	s_delay_alu instid0(VALU_DEP_2) | instskip(NEXT) | instid1(VALU_DEP_2)
	v_add_co_u32 v30, vcc_lo, v31, v30
	v_add_co_ci_u32_e32 v30, vcc_lo, v32, v34, vcc_lo
	v_add_co_ci_u32_e32 v31, vcc_lo, 0, v35, vcc_lo
	v_ashrrev_i32_e32 v34, 31, v29
	s_delay_alu instid0(VALU_DEP_3) | instskip(NEXT) | instid1(VALU_DEP_3)
	v_add_co_u32 v21, vcc_lo, v30, v21
	v_add_co_ci_u32_e32 v30, vcc_lo, 0, v31, vcc_lo
	s_delay_alu instid0(VALU_DEP_2) | instskip(NEXT) | instid1(VALU_DEP_2)
	v_add_co_u32 v10, vcc_lo, v10, v21
	v_add_co_ci_u32_e32 v11, vcc_lo, v11, v30, vcc_lo
	s_delay_alu instid0(VALU_DEP_2) | instskip(SKIP_1) | instid1(VALU_DEP_3)
	v_mul_hi_u32 v21, s0, v10
	v_mul_lo_u32 v31, s42, v10
	v_mul_lo_u32 v30, s0, v11
	s_delay_alu instid0(VALU_DEP_1) | instskip(SKIP_1) | instid1(VALU_DEP_2)
	v_add_nc_u32_e32 v21, v21, v30
	v_mul_lo_u32 v30, s0, v10
	v_add_nc_u32_e32 v21, v21, v31
	s_delay_alu instid0(VALU_DEP_2) | instskip(NEXT) | instid1(VALU_DEP_2)
	v_mul_hi_u32 v31, v10, v30
	v_mul_lo_u32 v32, v10, v21
	v_mul_hi_u32 v33, v10, v21
	v_mul_hi_u32 v35, v11, v30
	v_mul_lo_u32 v30, v11, v30
	v_mul_hi_u32 v36, v11, v21
	v_mul_lo_u32 v21, v11, v21
	v_add_co_u32 v31, vcc_lo, v31, v32
	v_add_co_ci_u32_e32 v32, vcc_lo, 0, v33, vcc_lo
	s_delay_alu instid0(VALU_DEP_2) | instskip(NEXT) | instid1(VALU_DEP_2)
	v_add_co_u32 v30, vcc_lo, v31, v30
	v_add_co_ci_u32_e32 v30, vcc_lo, v32, v35, vcc_lo
	v_add_co_ci_u32_e32 v31, vcc_lo, 0, v36, vcc_lo
	v_add_co_u32 v28, vcc_lo, v28, v34
	v_add_co_ci_u32_e32 v29, vcc_lo, v29, v34, vcc_lo
	s_delay_alu instid0(VALU_DEP_4) | instskip(NEXT) | instid1(VALU_DEP_4)
	v_add_co_u32 v21, vcc_lo, v30, v21
	v_add_co_ci_u32_e32 v30, vcc_lo, 0, v31, vcc_lo
	s_delay_alu instid0(VALU_DEP_4) | instskip(NEXT) | instid1(VALU_DEP_3)
	v_xor_b32_e32 v32, v28, v34
	v_add_co_u32 v21, vcc_lo, v10, v21
	s_delay_alu instid0(VALU_DEP_3) | instskip(SKIP_1) | instid1(VALU_DEP_3)
	v_add_co_ci_u32_e32 v33, vcc_lo, v11, v30, vcc_lo
	v_xor_b32_e32 v35, v29, v34
	v_mul_hi_u32 v36, v32, v21
	s_delay_alu instid0(VALU_DEP_3) | instskip(NEXT) | instid1(VALU_DEP_3)
	v_mad_u64_u32 v[10:11], null, v32, v33, 0
	v_mad_u64_u32 v[28:29], null, v35, v21, 0
	;; [unrolled: 1-line block ×3, first 2 shown]
	s_delay_alu instid0(VALU_DEP_3) | instskip(NEXT) | instid1(VALU_DEP_4)
	v_add_co_u32 v10, vcc_lo, v36, v10
	v_add_co_ci_u32_e32 v11, vcc_lo, 0, v11, vcc_lo
	s_delay_alu instid0(VALU_DEP_2) | instskip(NEXT) | instid1(VALU_DEP_2)
	v_add_co_u32 v10, vcc_lo, v10, v28
	v_add_co_ci_u32_e32 v10, vcc_lo, v11, v29, vcc_lo
	v_add_co_ci_u32_e32 v11, vcc_lo, 0, v31, vcc_lo
	s_delay_alu instid0(VALU_DEP_2) | instskip(NEXT) | instid1(VALU_DEP_2)
	v_add_co_u32 v21, vcc_lo, v10, v30
	v_add_co_ci_u32_e32 v28, vcc_lo, 0, v11, vcc_lo
	s_delay_alu instid0(VALU_DEP_2) | instskip(SKIP_1) | instid1(VALU_DEP_3)
	v_mul_lo_u32 v29, s31, v21
	v_mad_u64_u32 v[10:11], null, s30, v21, 0
	v_mul_lo_u32 v21, s30, v28
	s_delay_alu instid0(VALU_DEP_2) | instskip(NEXT) | instid1(VALU_DEP_2)
	v_sub_co_u32 v10, vcc_lo, v32, v10
	v_add3_u32 v11, v11, v21, v29
	s_delay_alu instid0(VALU_DEP_1) | instskip(NEXT) | instid1(VALU_DEP_1)
	v_sub_nc_u32_e32 v21, v35, v11
	v_subrev_co_ci_u32_e64 v21, s0, s31, v21, vcc_lo
	v_sub_co_ci_u32_e32 v11, vcc_lo, v35, v11, vcc_lo
	v_sub_co_u32 v28, vcc_lo, v10, s30
	s_delay_alu instid0(VALU_DEP_1) | instskip(SKIP_3) | instid1(VALU_DEP_3)
	v_subrev_co_ci_u32_e64 v29, s0, 0, v21, vcc_lo
	v_cmp_le_u32_e64 s0, s30, v10
	v_subrev_co_ci_u32_e32 v21, vcc_lo, s31, v21, vcc_lo
	v_cmp_le_u32_e32 vcc_lo, s31, v11
	v_cndmask_b32_e64 v30, 0, -1, s0
	v_cmp_le_u32_e64 s0, s30, v28
	v_cndmask_b32_e64 v33, 0, -1, vcc_lo
	v_cmp_eq_u32_e32 vcc_lo, s31, v29
	s_delay_alu instid0(VALU_DEP_3) | instskip(SKIP_1) | instid1(VALU_DEP_1)
	v_cndmask_b32_e64 v31, 0, -1, s0
	v_cmp_le_u32_e64 s0, s31, v29
	v_cndmask_b32_e64 v32, 0, -1, s0
	v_cmp_eq_u32_e64 s0, s31, v11
	s_delay_alu instid0(VALU_DEP_2) | instskip(SKIP_2) | instid1(VALU_DEP_3)
	v_cndmask_b32_e32 v31, v32, v31, vcc_lo
	v_sub_co_u32 v32, vcc_lo, v28, s30
	v_subrev_co_ci_u32_e32 v21, vcc_lo, 0, v21, vcc_lo
	v_cmp_ne_u32_e32 vcc_lo, 0, v31
	v_cndmask_b32_e64 v30, v33, v30, s0
	s_delay_alu instid0(VALU_DEP_3) | instskip(NEXT) | instid1(VALU_DEP_2)
	v_dual_cndmask_b32 v21, v29, v21 :: v_dual_cndmask_b32 v28, v28, v32
	v_cmp_ne_u32_e32 vcc_lo, 0, v30
	s_delay_alu instid0(VALU_DEP_2) | instskip(NEXT) | instid1(VALU_DEP_1)
	v_dual_cndmask_b32 v10, v10, v28 :: v_dual_cndmask_b32 v11, v11, v21
                                        ; implicit-def: $vgpr28_vgpr29
	v_xor_b32_e32 v10, v10, v34
	s_delay_alu instid0(VALU_DEP_2) | instskip(NEXT) | instid1(VALU_DEP_2)
	v_xor_b32_e32 v11, v11, v34
	v_sub_co_u32 v10, vcc_lo, v10, v34
	s_delay_alu instid0(VALU_DEP_2)
	v_sub_co_ci_u32_e32 v11, vcc_lo, v11, v34, vcc_lo
.LBB32_26:                              ;   in Loop: Header=BB32_9 Depth=1
	s_and_not1_saveexec_b32 s0, s29
	s_cbranch_execz .LBB32_7
; %bb.27:                               ;   in Loop: Header=BB32_9 Depth=1
	v_cvt_f32_u32_e32 v10, s2
	s_sub_i32 s29, 0, s2
	s_delay_alu instid0(VALU_DEP_1) | instskip(SKIP_2) | instid1(VALU_DEP_1)
	v_rcp_iflag_f32_e32 v10, v10
	s_waitcnt_depctr 0xfff
	v_mul_f32_e32 v10, 0x4f7ffffe, v10
	v_cvt_u32_f32_e32 v10, v10
	s_delay_alu instid0(VALU_DEP_1) | instskip(NEXT) | instid1(VALU_DEP_1)
	v_mul_lo_u32 v11, s29, v10
	v_mul_hi_u32 v11, v10, v11
	s_delay_alu instid0(VALU_DEP_1) | instskip(NEXT) | instid1(VALU_DEP_1)
	v_add_nc_u32_e32 v10, v10, v11
	v_mul_hi_u32 v10, v28, v10
	s_delay_alu instid0(VALU_DEP_1) | instskip(NEXT) | instid1(VALU_DEP_1)
	v_mul_lo_u32 v10, v10, s2
	v_sub_nc_u32_e32 v10, v28, v10
	s_delay_alu instid0(VALU_DEP_1) | instskip(SKIP_1) | instid1(VALU_DEP_2)
	v_subrev_nc_u32_e32 v11, s2, v10
	v_cmp_le_u32_e32 vcc_lo, s2, v10
	v_cndmask_b32_e32 v10, v10, v11, vcc_lo
	s_delay_alu instid0(VALU_DEP_1) | instskip(SKIP_1) | instid1(VALU_DEP_2)
	v_subrev_nc_u32_e32 v11, s2, v10
	v_cmp_le_u32_e32 vcc_lo, s2, v10
	v_dual_cndmask_b32 v10, v10, v11 :: v_dual_mov_b32 v11, v20
	s_branch .LBB32_7
.LBB32_28:
	s_or_b32 exec_lo, exec_lo, s40
	v_mad_u64_u32 v[4:5], null, v12, s16, v[2:3]
	v_mul_lo_u32 v2, v12, s17
	v_mul_lo_u32 v3, v13, s16
	v_cmp_ne_u64_e32 vcc_lo, v[0:1], v[12:13]
	s_and_b32 s0, vcc_lo, exec_lo
	s_delay_alu instid0(VALU_DEP_2)
	v_add3_u32 v5, v3, v5, v2
                                        ; implicit-def: $vgpr2_vgpr3
.LBB32_29:
	s_or_saveexec_b32 s22, s33
	v_dual_mov_b32 v0, s20 :: v_dual_mov_b32 v1, s21
	v_dual_mov_b32 v6, s18 :: v_dual_mov_b32 v7, s19
	s_xor_b32 exec_lo, exec_lo, s22
; %bb.30:
	s_sub_u32 s18, 0, s4
	s_subb_u32 s19, 0, s5
	s_lshl_b64 s[20:21], s[16:17], 1
	v_dual_mov_b32 v0, s18 :: v_dual_mov_b32 v1, s19
	v_dual_mov_b32 v6, s20 :: v_dual_mov_b32 v7, s21
	;; [unrolled: 1-line block ×3, first 2 shown]
	s_or_b32 s0, s0, exec_lo
; %bb.31:
	s_or_b32 exec_lo, exec_lo, s22
	s_delay_alu instid0(SALU_CYCLE_1)
	s_and_b32 exec_lo, exec_lo, s0
	s_cbranch_execz .LBB32_44
; %bb.32:
	v_cvt_f32_u32_e32 v2, s4
	s_sub_u32 s20, 0, s14
	s_subb_u32 s21, 0, s15
	s_sub_i32 s0, 0, s4
	v_lshlrev_b64 v[8:9], 1, v[4:5]
	v_rcp_iflag_f32_e32 v2, v2
	s_mov_b32 s22, 0
	s_ashr_i32 s14, s3, 31
	s_sub_i32 s23, 0, s2
	s_delay_alu instid0(VALU_DEP_1) | instskip(SKIP_4) | instid1(VALU_DEP_1)
	v_add_co_u32 v8, vcc_lo, s10, v8
	v_add_co_ci_u32_e32 v9, vcc_lo, s11, v9, vcc_lo
	s_ashr_i32 s10, s5, 31
	s_waitcnt_depctr 0xfff
	v_mul_f32_e32 v2, 0x4f7ffffe, v2
	v_cvt_u32_f32_e32 v3, v2
	s_delay_alu instid0(VALU_DEP_1) | instskip(NEXT) | instid1(VALU_DEP_1)
	v_mul_lo_u32 v2, s0, v3
	v_mul_hi_u32 v10, v3, v2
	v_mov_b32_e32 v2, 0
	s_delay_alu instid0(VALU_DEP_2)
	v_add_nc_u32_e32 v16, v3, v10
	s_branch .LBB32_35
.LBB32_33:                              ;   in Loop: Header=BB32_35 Depth=1
	s_or_b32 exec_lo, exec_lo, s0
	s_delay_alu instid0(VALU_DEP_1) | instskip(NEXT) | instid1(VALU_DEP_1)
	v_ashrrev_i32_e32 v3, 31, v15
	v_and_b32_e32 v12, s2, v3
	v_and_b32_e32 v3, s3, v3
	s_delay_alu instid0(VALU_DEP_2) | instskip(NEXT) | instid1(VALU_DEP_2)
	v_add_co_u32 v12, vcc_lo, v12, v14
	v_add_co_ci_u32_e32 v13, vcc_lo, v3, v15, vcc_lo
	s_delay_alu instid0(VALU_DEP_2) | instskip(NEXT) | instid1(VALU_DEP_2)
	v_sub_co_u32 v3, vcc_lo, s2, v12
	v_sub_co_ci_u32_e32 v14, vcc_lo, s3, v13, vcc_lo
	v_cmp_gt_i64_e32 vcc_lo, s[12:13], v[12:13]
	s_delay_alu instid0(VALU_DEP_2)
	v_dual_cndmask_b32 v13, v14, v13 :: v_dual_cndmask_b32 v12, v3, v12
.LBB32_34:                              ;   in Loop: Header=BB32_35 Depth=1
	v_mul_lo_u32 v3, v11, s12
	v_mul_lo_u32 v11, v10, s13
	v_mad_u64_u32 v[14:15], null, v10, s12, 0
	s_delay_alu instid0(VALU_DEP_4) | instskip(NEXT) | instid1(VALU_DEP_2)
	v_lshlrev_b64 v[12:13], 1, v[12:13]
	v_add3_u32 v15, v15, v11, v3
	s_delay_alu instid0(VALU_DEP_1) | instskip(NEXT) | instid1(VALU_DEP_1)
	v_lshlrev_b64 v[10:11], 1, v[14:15]
	v_add_co_u32 v3, vcc_lo, s8, v10
	s_delay_alu instid0(VALU_DEP_2) | instskip(NEXT) | instid1(VALU_DEP_2)
	v_add_co_ci_u32_e32 v11, vcc_lo, s9, v11, vcc_lo
	v_add_co_u32 v10, vcc_lo, v3, v12
	s_delay_alu instid0(VALU_DEP_2)
	v_add_co_ci_u32_e32 v11, vcc_lo, v11, v13, vcc_lo
	v_add_co_u32 v4, vcc_lo, v4, s16
	v_add_co_ci_u32_e32 v5, vcc_lo, s17, v5, vcc_lo
	global_load_u16 v3, v[10:11], off
	v_cmp_le_i64_e32 vcc_lo, s[6:7], v[4:5]
	s_or_b32 s22, vcc_lo, s22
	s_waitcnt vmcnt(0)
	global_store_b16 v[8:9], v3, off
	v_add_co_u32 v8, s0, v8, v6
	s_delay_alu instid0(VALU_DEP_1)
	v_add_co_ci_u32_e64 v9, s0, v9, v7, s0
	s_and_not1_b32 exec_lo, exec_lo, s22
	s_cbranch_execz .LBB32_44
.LBB32_35:                              ; =>This Inner Loop Header: Depth=1
	v_or_b32_e32 v3, s5, v5
                                        ; implicit-def: $vgpr10_vgpr11
	s_mov_b32 s0, exec_lo
	s_delay_alu instid0(VALU_DEP_1)
	v_cmpx_ne_u64_e32 0, v[2:3]
	s_xor_b32 s15, exec_lo, s0
	s_cbranch_execz .LBB32_37
; %bb.36:                               ;   in Loop: Header=BB32_35 Depth=1
	s_add_u32 s18, s4, s10
	s_mov_b32 s11, s10
	s_addc_u32 s19, s5, s10
	s_delay_alu instid0(SALU_CYCLE_1) | instskip(NEXT) | instid1(SALU_CYCLE_1)
	s_xor_b64 s[18:19], s[18:19], s[10:11]
	v_cvt_f32_u32_e32 v3, s18
	v_cvt_f32_u32_e32 v10, s19
	s_sub_u32 s0, 0, s18
	s_subb_u32 s11, 0, s19
	s_delay_alu instid0(VALU_DEP_1) | instskip(NEXT) | instid1(VALU_DEP_1)
	v_fmac_f32_e32 v3, 0x4f800000, v10
	v_rcp_f32_e32 v3, v3
	s_waitcnt_depctr 0xfff
	v_mul_f32_e32 v3, 0x5f7ffffc, v3
	s_delay_alu instid0(VALU_DEP_1) | instskip(NEXT) | instid1(VALU_DEP_1)
	v_mul_f32_e32 v10, 0x2f800000, v3
	v_trunc_f32_e32 v10, v10
	s_delay_alu instid0(VALU_DEP_1) | instskip(SKIP_1) | instid1(VALU_DEP_2)
	v_fmac_f32_e32 v3, 0xcf800000, v10
	v_cvt_u32_f32_e32 v10, v10
	v_cvt_u32_f32_e32 v3, v3
	s_delay_alu instid0(VALU_DEP_2) | instskip(NEXT) | instid1(VALU_DEP_2)
	v_mul_lo_u32 v11, s0, v10
	v_mul_hi_u32 v12, s0, v3
	v_mul_lo_u32 v13, s11, v3
	s_delay_alu instid0(VALU_DEP_2) | instskip(SKIP_1) | instid1(VALU_DEP_2)
	v_add_nc_u32_e32 v11, v12, v11
	v_mul_lo_u32 v12, s0, v3
	v_add_nc_u32_e32 v11, v11, v13
	s_delay_alu instid0(VALU_DEP_2) | instskip(NEXT) | instid1(VALU_DEP_2)
	v_mul_hi_u32 v13, v3, v12
	v_mul_lo_u32 v14, v3, v11
	v_mul_hi_u32 v15, v3, v11
	v_mul_hi_u32 v17, v10, v12
	v_mul_lo_u32 v12, v10, v12
	v_mul_hi_u32 v18, v10, v11
	v_mul_lo_u32 v11, v10, v11
	v_add_co_u32 v13, vcc_lo, v13, v14
	v_add_co_ci_u32_e32 v14, vcc_lo, 0, v15, vcc_lo
	s_delay_alu instid0(VALU_DEP_2) | instskip(NEXT) | instid1(VALU_DEP_2)
	v_add_co_u32 v12, vcc_lo, v13, v12
	v_add_co_ci_u32_e32 v12, vcc_lo, v14, v17, vcc_lo
	v_add_co_ci_u32_e32 v13, vcc_lo, 0, v18, vcc_lo
	v_ashrrev_i32_e32 v17, 31, v5
	s_delay_alu instid0(VALU_DEP_3) | instskip(NEXT) | instid1(VALU_DEP_3)
	v_add_co_u32 v11, vcc_lo, v12, v11
	v_add_co_ci_u32_e32 v12, vcc_lo, 0, v13, vcc_lo
	s_delay_alu instid0(VALU_DEP_2) | instskip(NEXT) | instid1(VALU_DEP_2)
	v_add_co_u32 v3, vcc_lo, v3, v11
	v_add_co_ci_u32_e32 v10, vcc_lo, v10, v12, vcc_lo
	s_delay_alu instid0(VALU_DEP_2) | instskip(SKIP_1) | instid1(VALU_DEP_3)
	v_mul_hi_u32 v11, s0, v3
	v_mul_lo_u32 v13, s11, v3
	v_mul_lo_u32 v12, s0, v10
	s_delay_alu instid0(VALU_DEP_1) | instskip(SKIP_1) | instid1(VALU_DEP_2)
	v_add_nc_u32_e32 v11, v11, v12
	v_mul_lo_u32 v12, s0, v3
	v_add_nc_u32_e32 v11, v11, v13
	s_delay_alu instid0(VALU_DEP_2) | instskip(NEXT) | instid1(VALU_DEP_2)
	v_mul_hi_u32 v13, v3, v12
	v_mul_lo_u32 v14, v3, v11
	v_mul_hi_u32 v15, v3, v11
	v_mul_hi_u32 v18, v10, v12
	v_mul_lo_u32 v12, v10, v12
	v_mul_hi_u32 v19, v10, v11
	v_mul_lo_u32 v11, v10, v11
	v_add_co_u32 v13, vcc_lo, v13, v14
	v_add_co_ci_u32_e32 v14, vcc_lo, 0, v15, vcc_lo
	s_delay_alu instid0(VALU_DEP_2) | instskip(NEXT) | instid1(VALU_DEP_2)
	v_add_co_u32 v12, vcc_lo, v13, v12
	v_add_co_ci_u32_e32 v12, vcc_lo, v14, v18, vcc_lo
	v_add_co_ci_u32_e32 v13, vcc_lo, 0, v19, vcc_lo
	v_add_co_u32 v14, vcc_lo, v4, v17
	v_add_co_ci_u32_e32 v15, vcc_lo, v5, v17, vcc_lo
	s_delay_alu instid0(VALU_DEP_4) | instskip(NEXT) | instid1(VALU_DEP_4)
	v_add_co_u32 v11, vcc_lo, v12, v11
	v_add_co_ci_u32_e32 v12, vcc_lo, 0, v13, vcc_lo
	s_delay_alu instid0(VALU_DEP_4) | instskip(NEXT) | instid1(VALU_DEP_3)
	v_xor_b32_e32 v18, v14, v17
	v_add_co_u32 v3, vcc_lo, v3, v11
	s_delay_alu instid0(VALU_DEP_3) | instskip(SKIP_1) | instid1(VALU_DEP_3)
	v_add_co_ci_u32_e32 v19, vcc_lo, v10, v12, vcc_lo
	v_xor_b32_e32 v20, v15, v17
	v_mul_hi_u32 v21, v18, v3
	s_delay_alu instid0(VALU_DEP_3) | instskip(NEXT) | instid1(VALU_DEP_3)
	v_mad_u64_u32 v[10:11], null, v18, v19, 0
	v_mad_u64_u32 v[12:13], null, v20, v3, 0
	v_mad_u64_u32 v[14:15], null, v20, v19, 0
	s_delay_alu instid0(VALU_DEP_3) | instskip(NEXT) | instid1(VALU_DEP_4)
	v_add_co_u32 v3, vcc_lo, v21, v10
	v_add_co_ci_u32_e32 v10, vcc_lo, 0, v11, vcc_lo
	s_delay_alu instid0(VALU_DEP_2) | instskip(NEXT) | instid1(VALU_DEP_2)
	v_add_co_u32 v3, vcc_lo, v3, v12
	v_add_co_ci_u32_e32 v3, vcc_lo, v10, v13, vcc_lo
	v_add_co_ci_u32_e32 v10, vcc_lo, 0, v15, vcc_lo
	s_delay_alu instid0(VALU_DEP_2) | instskip(NEXT) | instid1(VALU_DEP_2)
	v_add_co_u32 v3, vcc_lo, v3, v14
	v_add_co_ci_u32_e32 v12, vcc_lo, 0, v10, vcc_lo
	s_delay_alu instid0(VALU_DEP_2) | instskip(SKIP_1) | instid1(VALU_DEP_3)
	v_mul_lo_u32 v13, s19, v3
	v_mad_u64_u32 v[10:11], null, s18, v3, 0
	v_mul_lo_u32 v14, s18, v12
	s_delay_alu instid0(VALU_DEP_2) | instskip(NEXT) | instid1(VALU_DEP_2)
	v_sub_co_u32 v10, vcc_lo, v18, v10
	v_add3_u32 v11, v11, v14, v13
	s_delay_alu instid0(VALU_DEP_1) | instskip(NEXT) | instid1(VALU_DEP_1)
	v_sub_nc_u32_e32 v13, v20, v11
	v_subrev_co_ci_u32_e64 v13, s0, s19, v13, vcc_lo
	v_add_co_u32 v14, s0, v3, 2
	s_delay_alu instid0(VALU_DEP_1) | instskip(SKIP_3) | instid1(VALU_DEP_3)
	v_add_co_ci_u32_e64 v15, s0, 0, v12, s0
	v_sub_co_u32 v18, s0, v10, s18
	v_sub_co_ci_u32_e32 v11, vcc_lo, v20, v11, vcc_lo
	v_subrev_co_ci_u32_e64 v13, s0, 0, v13, s0
	v_cmp_le_u32_e32 vcc_lo, s18, v18
	s_delay_alu instid0(VALU_DEP_3) | instskip(SKIP_1) | instid1(VALU_DEP_4)
	v_cmp_eq_u32_e64 s0, s19, v11
	v_cndmask_b32_e64 v18, 0, -1, vcc_lo
	v_cmp_le_u32_e32 vcc_lo, s19, v13
	v_cndmask_b32_e64 v19, 0, -1, vcc_lo
	v_cmp_le_u32_e32 vcc_lo, s18, v10
	;; [unrolled: 2-line block ×3, first 2 shown]
	v_cndmask_b32_e64 v20, 0, -1, vcc_lo
	v_cmp_eq_u32_e32 vcc_lo, s19, v13
	s_delay_alu instid0(VALU_DEP_2) | instskip(SKIP_3) | instid1(VALU_DEP_3)
	v_cndmask_b32_e64 v10, v20, v10, s0
	v_cndmask_b32_e32 v13, v19, v18, vcc_lo
	v_add_co_u32 v18, vcc_lo, v3, 1
	v_add_co_ci_u32_e32 v19, vcc_lo, 0, v12, vcc_lo
	v_cmp_ne_u32_e32 vcc_lo, 0, v13
	s_delay_alu instid0(VALU_DEP_2) | instskip(NEXT) | instid1(VALU_DEP_4)
	v_cndmask_b32_e32 v11, v19, v15, vcc_lo
	v_cndmask_b32_e32 v13, v18, v14, vcc_lo
	v_cmp_ne_u32_e32 vcc_lo, 0, v10
	v_xor_b32_e32 v14, s10, v17
	s_delay_alu instid0(VALU_DEP_3) | instskip(NEXT) | instid1(VALU_DEP_1)
	v_dual_cndmask_b32 v3, v3, v13 :: v_dual_cndmask_b32 v10, v12, v11
	v_xor_b32_e32 v3, v3, v14
	s_delay_alu instid0(VALU_DEP_2) | instskip(NEXT) | instid1(VALU_DEP_2)
	v_xor_b32_e32 v11, v10, v14
	v_sub_co_u32 v10, vcc_lo, v3, v14
	s_delay_alu instid0(VALU_DEP_2)
	v_sub_co_ci_u32_e32 v11, vcc_lo, v11, v14, vcc_lo
.LBB32_37:                              ;   in Loop: Header=BB32_35 Depth=1
	s_and_not1_saveexec_b32 s0, s15
; %bb.38:                               ;   in Loop: Header=BB32_35 Depth=1
	v_mul_hi_u32 v3, v4, v16
	s_delay_alu instid0(VALU_DEP_1) | instskip(NEXT) | instid1(VALU_DEP_1)
	v_mul_lo_u32 v10, v3, s4
	v_sub_nc_u32_e32 v10, v4, v10
	s_delay_alu instid0(VALU_DEP_1) | instskip(SKIP_1) | instid1(VALU_DEP_2)
	v_subrev_nc_u32_e32 v12, s4, v10
	v_cmp_le_u32_e32 vcc_lo, s4, v10
	v_dual_cndmask_b32 v10, v10, v12 :: v_dual_add_nc_u32 v11, 1, v3
	s_delay_alu instid0(VALU_DEP_1) | instskip(NEXT) | instid1(VALU_DEP_2)
	v_cndmask_b32_e32 v3, v3, v11, vcc_lo
	v_cmp_le_u32_e32 vcc_lo, s4, v10
	s_delay_alu instid0(VALU_DEP_2) | instskip(NEXT) | instid1(VALU_DEP_1)
	v_add_nc_u32_e32 v11, 1, v3
	v_dual_cndmask_b32 v10, v3, v11 :: v_dual_mov_b32 v11, v2
; %bb.39:                               ;   in Loop: Header=BB32_35 Depth=1
	s_or_b32 exec_lo, exec_lo, s0
	v_mov_b32_e32 v12, 0
	v_mov_b32_e32 v13, 0
	s_and_not1_b32 vcc_lo, exec_lo, s1
	s_cbranch_vccnz .LBB32_34
; %bb.40:                               ;   in Loop: Header=BB32_35 Depth=1
	v_add_co_u32 v14, vcc_lo, s20, v4
	v_add_co_ci_u32_e32 v15, vcc_lo, s21, v5, vcc_lo
	v_mul_lo_u32 v3, v0, v11
	v_mul_lo_u32 v17, v1, v10
	s_mov_b32 s0, exec_lo
	s_delay_alu instid0(VALU_DEP_3) | instskip(NEXT) | instid1(VALU_DEP_1)
	v_mad_u64_u32 v[12:13], null, v0, v10, v[14:15]
                                        ; implicit-def: $vgpr14_vgpr15
	v_add3_u32 v13, v17, v13, v3
	s_delay_alu instid0(VALU_DEP_1) | instskip(NEXT) | instid1(VALU_DEP_1)
	v_or_b32_e32 v3, s3, v13
	v_cmpx_ne_u64_e32 0, v[2:3]
	s_xor_b32 s11, exec_lo, s0
	s_cbranch_execz .LBB32_42
; %bb.41:                               ;   in Loop: Header=BB32_35 Depth=1
	s_add_u32 s18, s2, s14
	s_mov_b32 s15, s14
	s_addc_u32 s19, s3, s14
	s_delay_alu instid0(SALU_CYCLE_1) | instskip(NEXT) | instid1(SALU_CYCLE_1)
	s_xor_b64 s[18:19], s[18:19], s[14:15]
	v_cvt_f32_u32_e32 v3, s18
	v_cvt_f32_u32_e32 v14, s19
	s_sub_u32 s0, 0, s18
	s_subb_u32 s15, 0, s19
	s_delay_alu instid0(VALU_DEP_1) | instskip(NEXT) | instid1(VALU_DEP_1)
	v_fmac_f32_e32 v3, 0x4f800000, v14
	v_rcp_f32_e32 v3, v3
	s_waitcnt_depctr 0xfff
	v_mul_f32_e32 v3, 0x5f7ffffc, v3
	s_delay_alu instid0(VALU_DEP_1) | instskip(NEXT) | instid1(VALU_DEP_1)
	v_mul_f32_e32 v14, 0x2f800000, v3
	v_trunc_f32_e32 v14, v14
	s_delay_alu instid0(VALU_DEP_1) | instskip(SKIP_1) | instid1(VALU_DEP_2)
	v_fmac_f32_e32 v3, 0xcf800000, v14
	v_cvt_u32_f32_e32 v14, v14
	v_cvt_u32_f32_e32 v3, v3
	s_delay_alu instid0(VALU_DEP_2) | instskip(NEXT) | instid1(VALU_DEP_2)
	v_mul_lo_u32 v15, s0, v14
	v_mul_hi_u32 v17, s0, v3
	v_mul_lo_u32 v18, s15, v3
	s_delay_alu instid0(VALU_DEP_2) | instskip(SKIP_1) | instid1(VALU_DEP_2)
	v_add_nc_u32_e32 v15, v17, v15
	v_mul_lo_u32 v17, s0, v3
	v_add_nc_u32_e32 v15, v15, v18
	s_delay_alu instid0(VALU_DEP_2) | instskip(NEXT) | instid1(VALU_DEP_2)
	v_mul_hi_u32 v18, v3, v17
	v_mul_lo_u32 v19, v3, v15
	v_mul_hi_u32 v20, v3, v15
	v_mul_hi_u32 v21, v14, v17
	v_mul_lo_u32 v17, v14, v17
	v_mul_hi_u32 v22, v14, v15
	v_mul_lo_u32 v15, v14, v15
	v_add_co_u32 v18, vcc_lo, v18, v19
	v_add_co_ci_u32_e32 v19, vcc_lo, 0, v20, vcc_lo
	s_delay_alu instid0(VALU_DEP_2) | instskip(NEXT) | instid1(VALU_DEP_2)
	v_add_co_u32 v17, vcc_lo, v18, v17
	v_add_co_ci_u32_e32 v17, vcc_lo, v19, v21, vcc_lo
	v_add_co_ci_u32_e32 v18, vcc_lo, 0, v22, vcc_lo
	v_ashrrev_i32_e32 v21, 31, v13
	s_delay_alu instid0(VALU_DEP_3) | instskip(NEXT) | instid1(VALU_DEP_3)
	v_add_co_u32 v15, vcc_lo, v17, v15
	v_add_co_ci_u32_e32 v17, vcc_lo, 0, v18, vcc_lo
	s_delay_alu instid0(VALU_DEP_2) | instskip(NEXT) | instid1(VALU_DEP_2)
	v_add_co_u32 v3, vcc_lo, v3, v15
	v_add_co_ci_u32_e32 v14, vcc_lo, v14, v17, vcc_lo
	s_delay_alu instid0(VALU_DEP_2) | instskip(SKIP_1) | instid1(VALU_DEP_3)
	v_mul_hi_u32 v15, s0, v3
	v_mul_lo_u32 v18, s15, v3
	v_mul_lo_u32 v17, s0, v14
	s_delay_alu instid0(VALU_DEP_1) | instskip(SKIP_1) | instid1(VALU_DEP_2)
	v_add_nc_u32_e32 v15, v15, v17
	v_mul_lo_u32 v17, s0, v3
	v_add_nc_u32_e32 v15, v15, v18
	s_delay_alu instid0(VALU_DEP_2) | instskip(NEXT) | instid1(VALU_DEP_2)
	v_mul_hi_u32 v18, v3, v17
	v_mul_lo_u32 v19, v3, v15
	v_mul_hi_u32 v20, v3, v15
	v_mul_hi_u32 v22, v14, v17
	v_mul_lo_u32 v17, v14, v17
	v_mul_hi_u32 v23, v14, v15
	v_mul_lo_u32 v15, v14, v15
	v_add_co_u32 v18, vcc_lo, v18, v19
	v_add_co_ci_u32_e32 v19, vcc_lo, 0, v20, vcc_lo
	s_delay_alu instid0(VALU_DEP_2) | instskip(NEXT) | instid1(VALU_DEP_2)
	v_add_co_u32 v17, vcc_lo, v18, v17
	v_add_co_ci_u32_e32 v17, vcc_lo, v19, v22, vcc_lo
	v_add_co_ci_u32_e32 v18, vcc_lo, 0, v23, vcc_lo
	v_add_co_u32 v12, vcc_lo, v12, v21
	v_add_co_ci_u32_e32 v13, vcc_lo, v13, v21, vcc_lo
	s_delay_alu instid0(VALU_DEP_4) | instskip(NEXT) | instid1(VALU_DEP_4)
	v_add_co_u32 v15, vcc_lo, v17, v15
	v_add_co_ci_u32_e32 v17, vcc_lo, 0, v18, vcc_lo
	s_delay_alu instid0(VALU_DEP_4) | instskip(NEXT) | instid1(VALU_DEP_3)
	v_xor_b32_e32 v19, v12, v21
	v_add_co_u32 v3, vcc_lo, v3, v15
	s_delay_alu instid0(VALU_DEP_3) | instskip(SKIP_1) | instid1(VALU_DEP_3)
	v_add_co_ci_u32_e32 v20, vcc_lo, v14, v17, vcc_lo
	v_xor_b32_e32 v22, v13, v21
	v_mul_hi_u32 v23, v19, v3
	s_delay_alu instid0(VALU_DEP_3) | instskip(NEXT) | instid1(VALU_DEP_3)
	v_mad_u64_u32 v[12:13], null, v19, v20, 0
	v_mad_u64_u32 v[14:15], null, v22, v3, 0
	;; [unrolled: 1-line block ×3, first 2 shown]
	s_delay_alu instid0(VALU_DEP_3) | instskip(NEXT) | instid1(VALU_DEP_4)
	v_add_co_u32 v3, vcc_lo, v23, v12
	v_add_co_ci_u32_e32 v12, vcc_lo, 0, v13, vcc_lo
	s_delay_alu instid0(VALU_DEP_2) | instskip(NEXT) | instid1(VALU_DEP_2)
	v_add_co_u32 v3, vcc_lo, v3, v14
	v_add_co_ci_u32_e32 v3, vcc_lo, v12, v15, vcc_lo
	v_add_co_ci_u32_e32 v12, vcc_lo, 0, v18, vcc_lo
	s_delay_alu instid0(VALU_DEP_2) | instskip(NEXT) | instid1(VALU_DEP_2)
	v_add_co_u32 v3, vcc_lo, v3, v17
	v_add_co_ci_u32_e32 v14, vcc_lo, 0, v12, vcc_lo
	s_delay_alu instid0(VALU_DEP_2) | instskip(SKIP_1) | instid1(VALU_DEP_3)
	v_mul_lo_u32 v15, s19, v3
	v_mad_u64_u32 v[12:13], null, s18, v3, 0
	v_mul_lo_u32 v3, s18, v14
	s_delay_alu instid0(VALU_DEP_2) | instskip(NEXT) | instid1(VALU_DEP_2)
	v_sub_co_u32 v12, vcc_lo, v19, v12
	v_add3_u32 v3, v13, v3, v15
	s_delay_alu instid0(VALU_DEP_1) | instskip(NEXT) | instid1(VALU_DEP_1)
	v_sub_nc_u32_e32 v13, v22, v3
	v_subrev_co_ci_u32_e64 v13, s0, s19, v13, vcc_lo
	v_sub_co_ci_u32_e32 v3, vcc_lo, v22, v3, vcc_lo
	v_sub_co_u32 v14, vcc_lo, v12, s18
	s_delay_alu instid0(VALU_DEP_1) | instskip(SKIP_3) | instid1(VALU_DEP_3)
	v_subrev_co_ci_u32_e64 v15, s0, 0, v13, vcc_lo
	v_cmp_le_u32_e64 s0, s18, v12
	v_subrev_co_ci_u32_e32 v13, vcc_lo, s19, v13, vcc_lo
	v_cmp_le_u32_e32 vcc_lo, s19, v3
	v_cndmask_b32_e64 v17, 0, -1, s0
	v_cmp_le_u32_e64 s0, s18, v14
	v_cndmask_b32_e64 v20, 0, -1, vcc_lo
	v_cmp_eq_u32_e32 vcc_lo, s19, v15
	s_delay_alu instid0(VALU_DEP_3) | instskip(SKIP_1) | instid1(VALU_DEP_1)
	v_cndmask_b32_e64 v18, 0, -1, s0
	v_cmp_le_u32_e64 s0, s19, v15
	v_cndmask_b32_e64 v19, 0, -1, s0
	v_cmp_eq_u32_e64 s0, s19, v3
	s_delay_alu instid0(VALU_DEP_2) | instskip(SKIP_2) | instid1(VALU_DEP_3)
	v_cndmask_b32_e32 v18, v19, v18, vcc_lo
	v_sub_co_u32 v19, vcc_lo, v14, s18
	v_subrev_co_ci_u32_e32 v13, vcc_lo, 0, v13, vcc_lo
	v_cmp_ne_u32_e32 vcc_lo, 0, v18
	v_cndmask_b32_e64 v17, v20, v17, s0
	s_delay_alu instid0(VALU_DEP_3) | instskip(NEXT) | instid1(VALU_DEP_2)
	v_dual_cndmask_b32 v13, v15, v13 :: v_dual_cndmask_b32 v14, v14, v19
	v_cmp_ne_u32_e32 vcc_lo, 0, v17
	s_delay_alu instid0(VALU_DEP_2) | instskip(NEXT) | instid1(VALU_DEP_1)
	v_dual_cndmask_b32 v12, v12, v14 :: v_dual_cndmask_b32 v3, v3, v13
	v_xor_b32_e32 v12, v12, v21
	s_delay_alu instid0(VALU_DEP_2) | instskip(NEXT) | instid1(VALU_DEP_2)
	v_xor_b32_e32 v3, v3, v21
	v_sub_co_u32 v14, vcc_lo, v12, v21
	s_delay_alu instid0(VALU_DEP_2)
	v_sub_co_ci_u32_e32 v15, vcc_lo, v3, v21, vcc_lo
                                        ; implicit-def: $vgpr12_vgpr13
.LBB32_42:                              ;   in Loop: Header=BB32_35 Depth=1
	s_and_not1_saveexec_b32 s0, s11
	s_cbranch_execz .LBB32_33
; %bb.43:                               ;   in Loop: Header=BB32_35 Depth=1
	v_cvt_f32_u32_e32 v3, s2
	v_mov_b32_e32 v15, v2
	s_delay_alu instid0(VALU_DEP_2) | instskip(SKIP_2) | instid1(VALU_DEP_1)
	v_rcp_iflag_f32_e32 v3, v3
	s_waitcnt_depctr 0xfff
	v_mul_f32_e32 v3, 0x4f7ffffe, v3
	v_cvt_u32_f32_e32 v3, v3
	s_delay_alu instid0(VALU_DEP_1) | instskip(NEXT) | instid1(VALU_DEP_1)
	v_mul_lo_u32 v13, s23, v3
	v_mul_hi_u32 v13, v3, v13
	s_delay_alu instid0(VALU_DEP_1) | instskip(NEXT) | instid1(VALU_DEP_1)
	v_add_nc_u32_e32 v3, v3, v13
	v_mul_hi_u32 v3, v12, v3
	s_delay_alu instid0(VALU_DEP_1) | instskip(NEXT) | instid1(VALU_DEP_1)
	v_mul_lo_u32 v3, v3, s2
	v_sub_nc_u32_e32 v3, v12, v3
	s_delay_alu instid0(VALU_DEP_1) | instskip(SKIP_1) | instid1(VALU_DEP_2)
	v_subrev_nc_u32_e32 v12, s2, v3
	v_cmp_le_u32_e32 vcc_lo, s2, v3
	v_cndmask_b32_e32 v3, v3, v12, vcc_lo
	s_delay_alu instid0(VALU_DEP_1) | instskip(SKIP_1) | instid1(VALU_DEP_2)
	v_subrev_nc_u32_e32 v12, s2, v3
	v_cmp_le_u32_e32 vcc_lo, s2, v3
	v_cndmask_b32_e32 v14, v3, v12, vcc_lo
	s_branch .LBB32_33
.LBB32_44:
	s_nop 0
	s_sendmsg sendmsg(MSG_DEALLOC_VGPRS)
	s_endpgm
	.section	.rodata,"a",@progbits
	.p2align	6, 0x0
	.amdhsa_kernel _ZN2at6native12_GLOBAL__N_121reflection_pad1d_flatIsEEvPKT_PS3_lllll
		.amdhsa_group_segment_fixed_size 0
		.amdhsa_private_segment_fixed_size 0
		.amdhsa_kernarg_size 312
		.amdhsa_user_sgpr_count 15
		.amdhsa_user_sgpr_dispatch_ptr 0
		.amdhsa_user_sgpr_queue_ptr 0
		.amdhsa_user_sgpr_kernarg_segment_ptr 1
		.amdhsa_user_sgpr_dispatch_id 0
		.amdhsa_user_sgpr_private_segment_size 0
		.amdhsa_wavefront_size32 1
		.amdhsa_uses_dynamic_stack 0
		.amdhsa_enable_private_segment 0
		.amdhsa_system_sgpr_workgroup_id_x 1
		.amdhsa_system_sgpr_workgroup_id_y 0
		.amdhsa_system_sgpr_workgroup_id_z 0
		.amdhsa_system_sgpr_workgroup_info 0
		.amdhsa_system_vgpr_workitem_id 0
		.amdhsa_next_free_vgpr 37
		.amdhsa_next_free_sgpr 44
		.amdhsa_reserve_vcc 1
		.amdhsa_float_round_mode_32 0
		.amdhsa_float_round_mode_16_64 0
		.amdhsa_float_denorm_mode_32 3
		.amdhsa_float_denorm_mode_16_64 3
		.amdhsa_dx10_clamp 1
		.amdhsa_ieee_mode 1
		.amdhsa_fp16_overflow 0
		.amdhsa_workgroup_processor_mode 1
		.amdhsa_memory_ordered 1
		.amdhsa_forward_progress 0
		.amdhsa_shared_vgpr_count 0
		.amdhsa_exception_fp_ieee_invalid_op 0
		.amdhsa_exception_fp_denorm_src 0
		.amdhsa_exception_fp_ieee_div_zero 0
		.amdhsa_exception_fp_ieee_overflow 0
		.amdhsa_exception_fp_ieee_underflow 0
		.amdhsa_exception_fp_ieee_inexact 0
		.amdhsa_exception_int_div_zero 0
	.end_amdhsa_kernel
	.section	.text._ZN2at6native12_GLOBAL__N_121reflection_pad1d_flatIsEEvPKT_PS3_lllll,"axG",@progbits,_ZN2at6native12_GLOBAL__N_121reflection_pad1d_flatIsEEvPKT_PS3_lllll,comdat
.Lfunc_end32:
	.size	_ZN2at6native12_GLOBAL__N_121reflection_pad1d_flatIsEEvPKT_PS3_lllll, .Lfunc_end32-_ZN2at6native12_GLOBAL__N_121reflection_pad1d_flatIsEEvPKT_PS3_lllll
                                        ; -- End function
	.section	.AMDGPU.csdata,"",@progbits
; Kernel info:
; codeLenInByte = 8364
; NumSgprs: 46
; NumVgprs: 37
; ScratchSize: 0
; MemoryBound: 0
; FloatMode: 240
; IeeeMode: 1
; LDSByteSize: 0 bytes/workgroup (compile time only)
; SGPRBlocks: 5
; VGPRBlocks: 4
; NumSGPRsForWavesPerEU: 46
; NumVGPRsForWavesPerEU: 37
; Occupancy: 16
; WaveLimiterHint : 0
; COMPUTE_PGM_RSRC2:SCRATCH_EN: 0
; COMPUTE_PGM_RSRC2:USER_SGPR: 15
; COMPUTE_PGM_RSRC2:TRAP_HANDLER: 0
; COMPUTE_PGM_RSRC2:TGID_X_EN: 1
; COMPUTE_PGM_RSRC2:TGID_Y_EN: 0
; COMPUTE_PGM_RSRC2:TGID_Z_EN: 0
; COMPUTE_PGM_RSRC2:TIDIG_COMP_CNT: 0
	.section	.text._ZN2at6native12_GLOBAL__N_127reflection_pad1d_out_kernelIdEEvPKT_PS3_lll,"axG",@progbits,_ZN2at6native12_GLOBAL__N_127reflection_pad1d_out_kernelIdEEvPKT_PS3_lll,comdat
	.globl	_ZN2at6native12_GLOBAL__N_127reflection_pad1d_out_kernelIdEEvPKT_PS3_lll ; -- Begin function _ZN2at6native12_GLOBAL__N_127reflection_pad1d_out_kernelIdEEvPKT_PS3_lll
	.p2align	8
	.type	_ZN2at6native12_GLOBAL__N_127reflection_pad1d_out_kernelIdEEvPKT_PS3_lll,@function
_ZN2at6native12_GLOBAL__N_127reflection_pad1d_out_kernelIdEEvPKT_PS3_lll: ; @_ZN2at6native12_GLOBAL__N_127reflection_pad1d_out_kernelIdEEvPKT_PS3_lll
; %bb.0:
	s_clause 0x2
	s_load_b32 s12, s[0:1], 0x34
	s_load_b256 s[4:11], s[0:1], 0x0
	s_load_b64 s[16:17], s[0:1], 0x20
	v_mov_b32_e32 v1, 0
	s_add_u32 s2, s0, 40
	s_addc_u32 s3, s1, 0
	s_waitcnt lgkmcnt(0)
	s_and_b32 s0, s12, 0xffff
	s_add_u32 s12, s10, s8
	v_mad_u64_u32 v[2:3], null, s0, s13, v[0:1]
	s_addc_u32 s13, s11, s9
	s_add_u32 s0, s12, s16
	s_addc_u32 s1, s13, s17
	s_mov_b32 s16, exec_lo
	s_delay_alu instid0(VALU_DEP_1)
	v_cmpx_gt_i64_e64 s[0:1], v[2:3]
	s_cbranch_execz .LBB33_2
; %bb.1:
	s_load_b32 s16, s[2:3], 0x4
	v_sub_co_u32 v0, vcc_lo, v2, s12
	v_subrev_co_ci_u32_e32 v1, vcc_lo, s13, v3, vcc_lo
	v_sub_co_u32 v4, vcc_lo, v2, s10
	v_subrev_co_ci_u32_e32 v5, vcc_lo, s11, v3, vcc_lo
	s_delay_alu instid0(VALU_DEP_4) | instskip(NEXT) | instid1(VALU_DEP_4)
	v_add_co_u32 v0, vcc_lo, v0, 1
	v_add_co_ci_u32_e32 v1, vcc_lo, 0, v1, vcc_lo
	s_sub_u32 s2, 0, s10
	s_subb_u32 s3, 0, s11
	v_cmp_gt_i64_e64 s17, s[10:11], 0
	s_delay_alu instid0(VALU_DEP_2)
	v_ashrrev_i32_e32 v6, 31, v1
	v_ashrrev_i32_e32 v7, 31, v5
	s_waitcnt lgkmcnt(0)
	s_mul_i32 s15, s16, s15
	v_cmp_gt_i64_e64 s16, s[2:3], 0
	s_add_i32 s14, s15, s14
	v_xor_b32_e32 v0, v0, v6
	s_mul_i32 s9, s14, s9
	s_mul_hi_u32 s15, s14, s8
	s_mul_i32 s1, s1, s14
	s_mul_hi_u32 s18, s0, s14
	v_xor_b32_e32 v1, v1, v6
	s_add_i32 s9, s15, s9
	s_add_i32 s1, s18, s1
	s_and_b32 s15, s16, exec_lo
	s_cselect_b32 s15, s3, 0
	s_cselect_b32 s16, s2, 0
	s_and_b32 s2, s17, exec_lo
	v_sub_co_u32 v0, vcc_lo, v0, v6
	s_cselect_b32 s3, s11, 0
	s_cselect_b32 s2, s10, 0
	v_sub_co_ci_u32_e32 v1, vcc_lo, v1, v6, vcc_lo
	s_not_b64 s[2:3], s[2:3]
	s_add_u32 s10, s12, s10
	s_addc_u32 s11, s13, s11
	v_add_co_u32 v0, vcc_lo, v2, v0
	s_add_u32 s2, s10, s2
	s_addc_u32 s3, s11, s3
	v_add_co_ci_u32_e32 v1, vcc_lo, v3, v1, vcc_lo
	s_add_u32 s2, s2, s16
	v_xor_b32_e32 v4, v4, v7
	s_addc_u32 s3, s3, s15
	v_sub_co_u32 v0, vcc_lo, s2, v0
	v_xor_b32_e32 v5, v5, v7
	v_sub_co_ci_u32_e32 v1, vcc_lo, s3, v1, vcc_lo
	v_sub_co_u32 v4, vcc_lo, v4, v7
	s_delay_alu instid0(VALU_DEP_3) | instskip(NEXT) | instid1(VALU_DEP_3)
	v_sub_co_ci_u32_e32 v5, vcc_lo, v5, v7, vcc_lo
	v_lshlrev_b64 v[0:1], 3, v[0:1]
	s_mul_i32 s8, s14, s8
	s_mul_i32 s0, s0, s14
	s_delay_alu instid0(VALU_DEP_2)
	v_lshlrev_b64 v[4:5], 3, v[4:5]
	s_lshl_b64 s[2:3], s[8:9], 3
	v_lshlrev_b64 v[2:3], 3, v[2:3]
	v_add_co_u32 v0, vcc_lo, s4, v0
	v_add_co_ci_u32_e32 v1, vcc_lo, s5, v1, vcc_lo
	s_lshl_b64 s[0:1], s[0:1], 3
	s_delay_alu instid0(VALU_DEP_2) | instskip(NEXT) | instid1(VALU_DEP_2)
	v_add_co_u32 v0, vcc_lo, v0, v4
	v_add_co_ci_u32_e32 v1, vcc_lo, v1, v5, vcc_lo
	s_add_u32 s0, s6, s0
	s_delay_alu instid0(VALU_DEP_2) | instskip(NEXT) | instid1(VALU_DEP_2)
	v_add_co_u32 v0, vcc_lo, v0, s2
	v_add_co_ci_u32_e32 v1, vcc_lo, s3, v1, vcc_lo
	s_addc_u32 s1, s7, s1
	v_add_co_u32 v2, vcc_lo, s0, v2
	global_load_b64 v[0:1], v[0:1], off
	v_add_co_ci_u32_e32 v3, vcc_lo, s1, v3, vcc_lo
	s_waitcnt vmcnt(0)
	global_store_b64 v[2:3], v[0:1], off
.LBB33_2:
	s_nop 0
	s_sendmsg sendmsg(MSG_DEALLOC_VGPRS)
	s_endpgm
	.section	.rodata,"a",@progbits
	.p2align	6, 0x0
	.amdhsa_kernel _ZN2at6native12_GLOBAL__N_127reflection_pad1d_out_kernelIdEEvPKT_PS3_lll
		.amdhsa_group_segment_fixed_size 0
		.amdhsa_private_segment_fixed_size 0
		.amdhsa_kernarg_size 296
		.amdhsa_user_sgpr_count 13
		.amdhsa_user_sgpr_dispatch_ptr 0
		.amdhsa_user_sgpr_queue_ptr 0
		.amdhsa_user_sgpr_kernarg_segment_ptr 1
		.amdhsa_user_sgpr_dispatch_id 0
		.amdhsa_user_sgpr_private_segment_size 0
		.amdhsa_wavefront_size32 1
		.amdhsa_uses_dynamic_stack 0
		.amdhsa_enable_private_segment 0
		.amdhsa_system_sgpr_workgroup_id_x 1
		.amdhsa_system_sgpr_workgroup_id_y 1
		.amdhsa_system_sgpr_workgroup_id_z 1
		.amdhsa_system_sgpr_workgroup_info 0
		.amdhsa_system_vgpr_workitem_id 0
		.amdhsa_next_free_vgpr 8
		.amdhsa_next_free_sgpr 19
		.amdhsa_reserve_vcc 1
		.amdhsa_float_round_mode_32 0
		.amdhsa_float_round_mode_16_64 0
		.amdhsa_float_denorm_mode_32 3
		.amdhsa_float_denorm_mode_16_64 3
		.amdhsa_dx10_clamp 1
		.amdhsa_ieee_mode 1
		.amdhsa_fp16_overflow 0
		.amdhsa_workgroup_processor_mode 1
		.amdhsa_memory_ordered 1
		.amdhsa_forward_progress 0
		.amdhsa_shared_vgpr_count 0
		.amdhsa_exception_fp_ieee_invalid_op 0
		.amdhsa_exception_fp_denorm_src 0
		.amdhsa_exception_fp_ieee_div_zero 0
		.amdhsa_exception_fp_ieee_overflow 0
		.amdhsa_exception_fp_ieee_underflow 0
		.amdhsa_exception_fp_ieee_inexact 0
		.amdhsa_exception_int_div_zero 0
	.end_amdhsa_kernel
	.section	.text._ZN2at6native12_GLOBAL__N_127reflection_pad1d_out_kernelIdEEvPKT_PS3_lll,"axG",@progbits,_ZN2at6native12_GLOBAL__N_127reflection_pad1d_out_kernelIdEEvPKT_PS3_lll,comdat
.Lfunc_end33:
	.size	_ZN2at6native12_GLOBAL__N_127reflection_pad1d_out_kernelIdEEvPKT_PS3_lll, .Lfunc_end33-_ZN2at6native12_GLOBAL__N_127reflection_pad1d_out_kernelIdEEvPKT_PS3_lll
                                        ; -- End function
	.section	.AMDGPU.csdata,"",@progbits
; Kernel info:
; codeLenInByte = 476
; NumSgprs: 21
; NumVgprs: 8
; ScratchSize: 0
; MemoryBound: 0
; FloatMode: 240
; IeeeMode: 1
; LDSByteSize: 0 bytes/workgroup (compile time only)
; SGPRBlocks: 2
; VGPRBlocks: 0
; NumSGPRsForWavesPerEU: 21
; NumVGPRsForWavesPerEU: 8
; Occupancy: 16
; WaveLimiterHint : 0
; COMPUTE_PGM_RSRC2:SCRATCH_EN: 0
; COMPUTE_PGM_RSRC2:USER_SGPR: 13
; COMPUTE_PGM_RSRC2:TRAP_HANDLER: 0
; COMPUTE_PGM_RSRC2:TGID_X_EN: 1
; COMPUTE_PGM_RSRC2:TGID_Y_EN: 1
; COMPUTE_PGM_RSRC2:TGID_Z_EN: 1
; COMPUTE_PGM_RSRC2:TIDIG_COMP_CNT: 0
	.section	.text._ZN2at6native12_GLOBAL__N_121reflection_pad1d_flatIdEEvPKT_PS3_lllll,"axG",@progbits,_ZN2at6native12_GLOBAL__N_121reflection_pad1d_flatIdEEvPKT_PS3_lllll,comdat
	.globl	_ZN2at6native12_GLOBAL__N_121reflection_pad1d_flatIdEEvPKT_PS3_lllll ; -- Begin function _ZN2at6native12_GLOBAL__N_121reflection_pad1d_flatIdEEvPKT_PS3_lllll
	.p2align	8
	.type	_ZN2at6native12_GLOBAL__N_121reflection_pad1d_flatIdEEvPKT_PS3_lllll,@function
_ZN2at6native12_GLOBAL__N_121reflection_pad1d_flatIdEEvPKT_PS3_lllll: ; @_ZN2at6native12_GLOBAL__N_121reflection_pad1d_flatIdEEvPKT_PS3_lllll
; %bb.0:
	s_clause 0x1
	s_load_b32 s2, s[0:1], 0x44
	s_load_b128 s[16:19], s[0:1], 0x28
	v_mov_b32_e32 v2, 0
	s_add_u32 s12, s0, 56
	s_addc_u32 s13, s1, 0
	s_mov_b32 s22, 0
	s_mov_b32 s4, exec_lo
	v_mov_b32_e32 v1, v2
	s_waitcnt lgkmcnt(0)
	s_and_b32 s14, s2, 0xffff
	s_mul_i32 s2, s18, s17
	s_delay_alu instid0(VALU_DEP_1) | instskip(SKIP_1) | instid1(SALU_CYCLE_1)
	v_mad_u64_u32 v[4:5], null, s14, s15, v[0:1]
	s_mul_hi_u32 s3, s18, s16
	s_add_i32 s2, s3, s2
	s_mul_i32 s3, s19, s16
	s_delay_alu instid0(SALU_CYCLE_1)
	s_add_i32 s3, s2, s3
	s_mul_i32 s2, s18, s16
	s_delay_alu instid0(VALU_DEP_1) | instid1(SALU_CYCLE_1)
	v_cmpx_gt_i64_e64 s[2:3], v[4:5]
	s_cbranch_execz .LBB34_13
; %bb.1:
	s_load_b256 s[4:11], s[0:1], 0x0
	v_cvt_f32_u32_e32 v0, s16
	s_load_b32 s15, s[12:13], 0x0
	s_delay_alu instid0(VALU_DEP_1) | instskip(SKIP_4) | instid1(VALU_DEP_1)
	v_rcp_iflag_f32_e32 v0, v0
	s_waitcnt_depctr 0xfff
	v_mul_f32_e32 v0, 0x4f7ffffe, v0
	s_waitcnt lgkmcnt(0)
	s_lshl_b64 s[0:1], s[8:9], 1
	v_cvt_u32_f32_e32 v3, v0
	s_add_u32 s12, s0, -2
	s_addc_u32 s13, s1, -1
	s_sub_u32 s1, 0, s16
	s_subb_u32 s23, 0, s17
	s_sub_u32 s24, 0, s10
	s_subb_u32 s25, 0, s11
	s_sub_i32 s0, 0, s16
	v_lshlrev_b64 v[0:1], 3, v[4:5]
	v_mul_lo_u32 v6, s0, v3
	v_cmp_gt_i64_e64 s26, s[12:13], 0
	s_mul_hi_u32 s11, s14, s15
	s_mul_i32 s10, s14, s15
	s_ashr_i32 s14, s17, 31
	v_add_co_u32 v0, vcc_lo, s6, v0
	v_add_co_ci_u32_e32 v1, vcc_lo, s7, v1, vcc_lo
	s_delay_alu instid0(VALU_DEP_4) | instskip(SKIP_3) | instid1(VALU_DEP_1)
	v_mul_hi_u32 v6, v3, v6
	s_lshl_b64 s[6:7], s[10:11], 3
	s_ashr_i32 s18, s13, 31
	s_sub_i32 s27, 0, s12
	v_add_nc_u32_e32 v12, v3, v6
	s_branch .LBB34_4
.LBB34_2:                               ;   in Loop: Header=BB34_4 Depth=1
	s_or_b32 exec_lo, exec_lo, s0
	s_delay_alu instid0(VALU_DEP_1) | instskip(NEXT) | instid1(VALU_DEP_1)
	v_ashrrev_i32_e32 v3, 31, v11
	v_and_b32_e32 v8, s12, v3
	v_and_b32_e32 v3, s13, v3
	s_delay_alu instid0(VALU_DEP_2) | instskip(NEXT) | instid1(VALU_DEP_2)
	v_add_co_u32 v8, vcc_lo, v8, v10
	v_add_co_ci_u32_e32 v9, vcc_lo, v3, v11, vcc_lo
	s_delay_alu instid0(VALU_DEP_2) | instskip(NEXT) | instid1(VALU_DEP_2)
	v_sub_co_u32 v3, vcc_lo, s12, v8
	v_sub_co_ci_u32_e32 v10, vcc_lo, s13, v9, vcc_lo
	v_cmp_gt_i64_e32 vcc_lo, s[8:9], v[8:9]
	s_delay_alu instid0(VALU_DEP_2)
	v_dual_cndmask_b32 v9, v10, v9 :: v_dual_cndmask_b32 v8, v3, v8
.LBB34_3:                               ;   in Loop: Header=BB34_4 Depth=1
	v_mul_lo_u32 v3, v7, s8
	v_mul_lo_u32 v7, v6, s9
	v_mad_u64_u32 v[10:11], null, v6, s8, 0
	s_delay_alu instid0(VALU_DEP_4) | instskip(NEXT) | instid1(VALU_DEP_2)
	v_lshlrev_b64 v[8:9], 3, v[8:9]
	v_add3_u32 v11, v11, v7, v3
	s_delay_alu instid0(VALU_DEP_1) | instskip(NEXT) | instid1(VALU_DEP_1)
	v_lshlrev_b64 v[6:7], 3, v[10:11]
	v_add_co_u32 v3, vcc_lo, s4, v6
	s_delay_alu instid0(VALU_DEP_2) | instskip(NEXT) | instid1(VALU_DEP_2)
	v_add_co_ci_u32_e32 v7, vcc_lo, s5, v7, vcc_lo
	v_add_co_u32 v6, vcc_lo, v3, v8
	s_delay_alu instid0(VALU_DEP_2)
	v_add_co_ci_u32_e32 v7, vcc_lo, v7, v9, vcc_lo
	v_add_co_u32 v4, vcc_lo, v4, s10
	v_add_co_ci_u32_e32 v5, vcc_lo, s11, v5, vcc_lo
	global_load_b64 v[6:7], v[6:7], off
	v_cmp_le_i64_e32 vcc_lo, s[2:3], v[4:5]
	s_or_b32 s22, vcc_lo, s22
	s_waitcnt vmcnt(0)
	global_store_b64 v[0:1], v[6:7], off
	v_add_co_u32 v0, s0, v0, s6
	s_delay_alu instid0(VALU_DEP_1)
	v_add_co_ci_u32_e64 v1, s0, s7, v1, s0
	s_and_not1_b32 exec_lo, exec_lo, s22
	s_cbranch_execz .LBB34_13
.LBB34_4:                               ; =>This Inner Loop Header: Depth=1
	v_or_b32_e32 v3, s17, v5
                                        ; implicit-def: $vgpr6_vgpr7
	s_mov_b32 s0, exec_lo
	s_delay_alu instid0(VALU_DEP_1)
	v_cmpx_ne_u64_e32 0, v[2:3]
	s_xor_b32 s19, exec_lo, s0
	s_cbranch_execz .LBB34_6
; %bb.5:                                ;   in Loop: Header=BB34_4 Depth=1
	s_add_u32 s20, s16, s14
	s_mov_b32 s15, s14
	s_addc_u32 s21, s17, s14
	s_delay_alu instid0(SALU_CYCLE_1) | instskip(NEXT) | instid1(SALU_CYCLE_1)
	s_xor_b64 s[20:21], s[20:21], s[14:15]
	v_cvt_f32_u32_e32 v3, s20
	v_cvt_f32_u32_e32 v6, s21
	s_sub_u32 s0, 0, s20
	s_subb_u32 s15, 0, s21
	s_delay_alu instid0(VALU_DEP_1) | instskip(NEXT) | instid1(VALU_DEP_1)
	v_fmac_f32_e32 v3, 0x4f800000, v6
	v_rcp_f32_e32 v3, v3
	s_waitcnt_depctr 0xfff
	v_mul_f32_e32 v3, 0x5f7ffffc, v3
	s_delay_alu instid0(VALU_DEP_1) | instskip(NEXT) | instid1(VALU_DEP_1)
	v_mul_f32_e32 v6, 0x2f800000, v3
	v_trunc_f32_e32 v6, v6
	s_delay_alu instid0(VALU_DEP_1) | instskip(SKIP_1) | instid1(VALU_DEP_2)
	v_fmac_f32_e32 v3, 0xcf800000, v6
	v_cvt_u32_f32_e32 v6, v6
	v_cvt_u32_f32_e32 v3, v3
	s_delay_alu instid0(VALU_DEP_2) | instskip(NEXT) | instid1(VALU_DEP_2)
	v_mul_lo_u32 v7, s0, v6
	v_mul_hi_u32 v8, s0, v3
	v_mul_lo_u32 v9, s15, v3
	s_delay_alu instid0(VALU_DEP_2) | instskip(SKIP_1) | instid1(VALU_DEP_2)
	v_add_nc_u32_e32 v7, v8, v7
	v_mul_lo_u32 v8, s0, v3
	v_add_nc_u32_e32 v7, v7, v9
	s_delay_alu instid0(VALU_DEP_2) | instskip(NEXT) | instid1(VALU_DEP_2)
	v_mul_hi_u32 v9, v3, v8
	v_mul_lo_u32 v10, v3, v7
	v_mul_hi_u32 v11, v3, v7
	v_mul_hi_u32 v13, v6, v8
	v_mul_lo_u32 v8, v6, v8
	v_mul_hi_u32 v14, v6, v7
	v_mul_lo_u32 v7, v6, v7
	v_add_co_u32 v9, vcc_lo, v9, v10
	v_add_co_ci_u32_e32 v10, vcc_lo, 0, v11, vcc_lo
	s_delay_alu instid0(VALU_DEP_2) | instskip(NEXT) | instid1(VALU_DEP_2)
	v_add_co_u32 v8, vcc_lo, v9, v8
	v_add_co_ci_u32_e32 v8, vcc_lo, v10, v13, vcc_lo
	v_add_co_ci_u32_e32 v9, vcc_lo, 0, v14, vcc_lo
	v_ashrrev_i32_e32 v13, 31, v5
	s_delay_alu instid0(VALU_DEP_3) | instskip(NEXT) | instid1(VALU_DEP_3)
	v_add_co_u32 v7, vcc_lo, v8, v7
	v_add_co_ci_u32_e32 v8, vcc_lo, 0, v9, vcc_lo
	s_delay_alu instid0(VALU_DEP_2) | instskip(NEXT) | instid1(VALU_DEP_2)
	v_add_co_u32 v3, vcc_lo, v3, v7
	v_add_co_ci_u32_e32 v6, vcc_lo, v6, v8, vcc_lo
	s_delay_alu instid0(VALU_DEP_2) | instskip(SKIP_1) | instid1(VALU_DEP_3)
	v_mul_hi_u32 v7, s0, v3
	v_mul_lo_u32 v9, s15, v3
	v_mul_lo_u32 v8, s0, v6
	s_delay_alu instid0(VALU_DEP_1) | instskip(SKIP_1) | instid1(VALU_DEP_2)
	v_add_nc_u32_e32 v7, v7, v8
	v_mul_lo_u32 v8, s0, v3
	v_add_nc_u32_e32 v7, v7, v9
	s_delay_alu instid0(VALU_DEP_2) | instskip(NEXT) | instid1(VALU_DEP_2)
	v_mul_hi_u32 v9, v3, v8
	v_mul_lo_u32 v10, v3, v7
	v_mul_hi_u32 v11, v3, v7
	v_mul_hi_u32 v14, v6, v8
	v_mul_lo_u32 v8, v6, v8
	v_mul_hi_u32 v15, v6, v7
	v_mul_lo_u32 v7, v6, v7
	v_add_co_u32 v9, vcc_lo, v9, v10
	v_add_co_ci_u32_e32 v10, vcc_lo, 0, v11, vcc_lo
	s_delay_alu instid0(VALU_DEP_2) | instskip(NEXT) | instid1(VALU_DEP_2)
	v_add_co_u32 v8, vcc_lo, v9, v8
	v_add_co_ci_u32_e32 v8, vcc_lo, v10, v14, vcc_lo
	v_add_co_ci_u32_e32 v9, vcc_lo, 0, v15, vcc_lo
	v_add_co_u32 v10, vcc_lo, v4, v13
	v_add_co_ci_u32_e32 v11, vcc_lo, v5, v13, vcc_lo
	s_delay_alu instid0(VALU_DEP_4) | instskip(NEXT) | instid1(VALU_DEP_4)
	v_add_co_u32 v7, vcc_lo, v8, v7
	v_add_co_ci_u32_e32 v8, vcc_lo, 0, v9, vcc_lo
	s_delay_alu instid0(VALU_DEP_4) | instskip(NEXT) | instid1(VALU_DEP_3)
	v_xor_b32_e32 v14, v10, v13
	v_add_co_u32 v3, vcc_lo, v3, v7
	s_delay_alu instid0(VALU_DEP_3) | instskip(SKIP_1) | instid1(VALU_DEP_3)
	v_add_co_ci_u32_e32 v15, vcc_lo, v6, v8, vcc_lo
	v_xor_b32_e32 v16, v11, v13
	v_mul_hi_u32 v17, v14, v3
	s_delay_alu instid0(VALU_DEP_3) | instskip(NEXT) | instid1(VALU_DEP_3)
	v_mad_u64_u32 v[6:7], null, v14, v15, 0
	v_mad_u64_u32 v[8:9], null, v16, v3, 0
	;; [unrolled: 1-line block ×3, first 2 shown]
	s_delay_alu instid0(VALU_DEP_3) | instskip(NEXT) | instid1(VALU_DEP_4)
	v_add_co_u32 v3, vcc_lo, v17, v6
	v_add_co_ci_u32_e32 v6, vcc_lo, 0, v7, vcc_lo
	s_delay_alu instid0(VALU_DEP_2) | instskip(NEXT) | instid1(VALU_DEP_2)
	v_add_co_u32 v3, vcc_lo, v3, v8
	v_add_co_ci_u32_e32 v3, vcc_lo, v6, v9, vcc_lo
	v_add_co_ci_u32_e32 v6, vcc_lo, 0, v11, vcc_lo
	s_delay_alu instid0(VALU_DEP_2) | instskip(NEXT) | instid1(VALU_DEP_2)
	v_add_co_u32 v3, vcc_lo, v3, v10
	v_add_co_ci_u32_e32 v8, vcc_lo, 0, v6, vcc_lo
	s_delay_alu instid0(VALU_DEP_2) | instskip(SKIP_1) | instid1(VALU_DEP_3)
	v_mul_lo_u32 v9, s21, v3
	v_mad_u64_u32 v[6:7], null, s20, v3, 0
	v_mul_lo_u32 v10, s20, v8
	s_delay_alu instid0(VALU_DEP_2) | instskip(NEXT) | instid1(VALU_DEP_2)
	v_sub_co_u32 v6, vcc_lo, v14, v6
	v_add3_u32 v7, v7, v10, v9
	s_delay_alu instid0(VALU_DEP_1) | instskip(NEXT) | instid1(VALU_DEP_1)
	v_sub_nc_u32_e32 v9, v16, v7
	v_subrev_co_ci_u32_e64 v9, s0, s21, v9, vcc_lo
	v_add_co_u32 v10, s0, v3, 2
	s_delay_alu instid0(VALU_DEP_1) | instskip(SKIP_3) | instid1(VALU_DEP_3)
	v_add_co_ci_u32_e64 v11, s0, 0, v8, s0
	v_sub_co_u32 v14, s0, v6, s20
	v_sub_co_ci_u32_e32 v7, vcc_lo, v16, v7, vcc_lo
	v_subrev_co_ci_u32_e64 v9, s0, 0, v9, s0
	v_cmp_le_u32_e32 vcc_lo, s20, v14
	s_delay_alu instid0(VALU_DEP_3) | instskip(SKIP_1) | instid1(VALU_DEP_4)
	v_cmp_eq_u32_e64 s0, s21, v7
	v_cndmask_b32_e64 v14, 0, -1, vcc_lo
	v_cmp_le_u32_e32 vcc_lo, s21, v9
	v_cndmask_b32_e64 v15, 0, -1, vcc_lo
	v_cmp_le_u32_e32 vcc_lo, s20, v6
	;; [unrolled: 2-line block ×3, first 2 shown]
	v_cndmask_b32_e64 v16, 0, -1, vcc_lo
	v_cmp_eq_u32_e32 vcc_lo, s21, v9
	s_delay_alu instid0(VALU_DEP_2) | instskip(SKIP_3) | instid1(VALU_DEP_3)
	v_cndmask_b32_e64 v6, v16, v6, s0
	v_cndmask_b32_e32 v9, v15, v14, vcc_lo
	v_add_co_u32 v14, vcc_lo, v3, 1
	v_add_co_ci_u32_e32 v15, vcc_lo, 0, v8, vcc_lo
	v_cmp_ne_u32_e32 vcc_lo, 0, v9
	s_delay_alu instid0(VALU_DEP_2) | instskip(NEXT) | instid1(VALU_DEP_4)
	v_cndmask_b32_e32 v7, v15, v11, vcc_lo
	v_cndmask_b32_e32 v9, v14, v10, vcc_lo
	v_cmp_ne_u32_e32 vcc_lo, 0, v6
	v_xor_b32_e32 v10, s14, v13
	s_delay_alu instid0(VALU_DEP_3) | instskip(NEXT) | instid1(VALU_DEP_1)
	v_dual_cndmask_b32 v3, v3, v9 :: v_dual_cndmask_b32 v6, v8, v7
	v_xor_b32_e32 v3, v3, v10
	s_delay_alu instid0(VALU_DEP_2) | instskip(NEXT) | instid1(VALU_DEP_2)
	v_xor_b32_e32 v7, v6, v10
	v_sub_co_u32 v6, vcc_lo, v3, v10
	s_delay_alu instid0(VALU_DEP_2)
	v_sub_co_ci_u32_e32 v7, vcc_lo, v7, v10, vcc_lo
.LBB34_6:                               ;   in Loop: Header=BB34_4 Depth=1
	s_and_not1_saveexec_b32 s0, s19
; %bb.7:                                ;   in Loop: Header=BB34_4 Depth=1
	v_mul_hi_u32 v3, v4, v12
	s_delay_alu instid0(VALU_DEP_1) | instskip(NEXT) | instid1(VALU_DEP_1)
	v_mul_lo_u32 v6, v3, s16
	v_sub_nc_u32_e32 v6, v4, v6
	s_delay_alu instid0(VALU_DEP_1) | instskip(SKIP_1) | instid1(VALU_DEP_2)
	v_subrev_nc_u32_e32 v8, s16, v6
	v_cmp_le_u32_e32 vcc_lo, s16, v6
	v_dual_cndmask_b32 v6, v6, v8 :: v_dual_add_nc_u32 v7, 1, v3
	s_delay_alu instid0(VALU_DEP_1) | instskip(NEXT) | instid1(VALU_DEP_2)
	v_cndmask_b32_e32 v3, v3, v7, vcc_lo
	v_cmp_le_u32_e32 vcc_lo, s16, v6
	s_delay_alu instid0(VALU_DEP_2) | instskip(NEXT) | instid1(VALU_DEP_1)
	v_add_nc_u32_e32 v7, 1, v3
	v_dual_cndmask_b32 v6, v3, v7 :: v_dual_mov_b32 v7, v2
; %bb.8:                                ;   in Loop: Header=BB34_4 Depth=1
	s_or_b32 exec_lo, exec_lo, s0
	v_mov_b32_e32 v8, 0
	v_mov_b32_e32 v9, 0
	s_and_not1_b32 vcc_lo, exec_lo, s26
	s_cbranch_vccnz .LBB34_3
; %bb.9:                                ;   in Loop: Header=BB34_4 Depth=1
	v_add_co_u32 v10, vcc_lo, s24, v4
	v_add_co_ci_u32_e32 v11, vcc_lo, s25, v5, vcc_lo
	v_mul_lo_u32 v3, s1, v7
	v_mul_lo_u32 v13, s23, v6
	s_mov_b32 s0, exec_lo
	s_delay_alu instid0(VALU_DEP_3) | instskip(NEXT) | instid1(VALU_DEP_1)
	v_mad_u64_u32 v[8:9], null, s1, v6, v[10:11]
                                        ; implicit-def: $vgpr10_vgpr11
	v_add3_u32 v9, v13, v9, v3
	s_delay_alu instid0(VALU_DEP_1) | instskip(NEXT) | instid1(VALU_DEP_1)
	v_or_b32_e32 v3, s13, v9
	v_cmpx_ne_u64_e32 0, v[2:3]
	s_xor_b32 s15, exec_lo, s0
	s_cbranch_execz .LBB34_11
; %bb.10:                               ;   in Loop: Header=BB34_4 Depth=1
	s_add_u32 s20, s12, s18
	s_mov_b32 s19, s18
	s_addc_u32 s21, s13, s18
	s_delay_alu instid0(SALU_CYCLE_1) | instskip(NEXT) | instid1(SALU_CYCLE_1)
	s_xor_b64 s[20:21], s[20:21], s[18:19]
	v_cvt_f32_u32_e32 v3, s20
	v_cvt_f32_u32_e32 v10, s21
	s_sub_u32 s0, 0, s20
	s_subb_u32 s19, 0, s21
	s_delay_alu instid0(VALU_DEP_1) | instskip(NEXT) | instid1(VALU_DEP_1)
	v_fmac_f32_e32 v3, 0x4f800000, v10
	v_rcp_f32_e32 v3, v3
	s_waitcnt_depctr 0xfff
	v_mul_f32_e32 v3, 0x5f7ffffc, v3
	s_delay_alu instid0(VALU_DEP_1) | instskip(NEXT) | instid1(VALU_DEP_1)
	v_mul_f32_e32 v10, 0x2f800000, v3
	v_trunc_f32_e32 v10, v10
	s_delay_alu instid0(VALU_DEP_1) | instskip(SKIP_1) | instid1(VALU_DEP_2)
	v_fmac_f32_e32 v3, 0xcf800000, v10
	v_cvt_u32_f32_e32 v10, v10
	v_cvt_u32_f32_e32 v3, v3
	s_delay_alu instid0(VALU_DEP_2) | instskip(NEXT) | instid1(VALU_DEP_2)
	v_mul_lo_u32 v11, s0, v10
	v_mul_hi_u32 v13, s0, v3
	v_mul_lo_u32 v14, s19, v3
	s_delay_alu instid0(VALU_DEP_2) | instskip(SKIP_1) | instid1(VALU_DEP_2)
	v_add_nc_u32_e32 v11, v13, v11
	v_mul_lo_u32 v13, s0, v3
	v_add_nc_u32_e32 v11, v11, v14
	s_delay_alu instid0(VALU_DEP_2) | instskip(NEXT) | instid1(VALU_DEP_2)
	v_mul_hi_u32 v14, v3, v13
	v_mul_lo_u32 v15, v3, v11
	v_mul_hi_u32 v16, v3, v11
	v_mul_hi_u32 v17, v10, v13
	v_mul_lo_u32 v13, v10, v13
	v_mul_hi_u32 v18, v10, v11
	v_mul_lo_u32 v11, v10, v11
	v_add_co_u32 v14, vcc_lo, v14, v15
	v_add_co_ci_u32_e32 v15, vcc_lo, 0, v16, vcc_lo
	s_delay_alu instid0(VALU_DEP_2) | instskip(NEXT) | instid1(VALU_DEP_2)
	v_add_co_u32 v13, vcc_lo, v14, v13
	v_add_co_ci_u32_e32 v13, vcc_lo, v15, v17, vcc_lo
	v_add_co_ci_u32_e32 v14, vcc_lo, 0, v18, vcc_lo
	v_ashrrev_i32_e32 v17, 31, v9
	s_delay_alu instid0(VALU_DEP_3) | instskip(NEXT) | instid1(VALU_DEP_3)
	v_add_co_u32 v11, vcc_lo, v13, v11
	v_add_co_ci_u32_e32 v13, vcc_lo, 0, v14, vcc_lo
	s_delay_alu instid0(VALU_DEP_2) | instskip(NEXT) | instid1(VALU_DEP_2)
	v_add_co_u32 v3, vcc_lo, v3, v11
	v_add_co_ci_u32_e32 v10, vcc_lo, v10, v13, vcc_lo
	s_delay_alu instid0(VALU_DEP_2) | instskip(SKIP_1) | instid1(VALU_DEP_3)
	v_mul_hi_u32 v11, s0, v3
	v_mul_lo_u32 v14, s19, v3
	v_mul_lo_u32 v13, s0, v10
	s_delay_alu instid0(VALU_DEP_1) | instskip(SKIP_1) | instid1(VALU_DEP_2)
	v_add_nc_u32_e32 v11, v11, v13
	v_mul_lo_u32 v13, s0, v3
	v_add_nc_u32_e32 v11, v11, v14
	s_delay_alu instid0(VALU_DEP_2) | instskip(NEXT) | instid1(VALU_DEP_2)
	v_mul_hi_u32 v14, v3, v13
	v_mul_lo_u32 v15, v3, v11
	v_mul_hi_u32 v16, v3, v11
	v_mul_hi_u32 v18, v10, v13
	v_mul_lo_u32 v13, v10, v13
	v_mul_hi_u32 v19, v10, v11
	v_mul_lo_u32 v11, v10, v11
	v_add_co_u32 v14, vcc_lo, v14, v15
	v_add_co_ci_u32_e32 v15, vcc_lo, 0, v16, vcc_lo
	s_delay_alu instid0(VALU_DEP_2) | instskip(NEXT) | instid1(VALU_DEP_2)
	v_add_co_u32 v13, vcc_lo, v14, v13
	v_add_co_ci_u32_e32 v13, vcc_lo, v15, v18, vcc_lo
	v_add_co_ci_u32_e32 v14, vcc_lo, 0, v19, vcc_lo
	v_add_co_u32 v8, vcc_lo, v8, v17
	v_add_co_ci_u32_e32 v9, vcc_lo, v9, v17, vcc_lo
	s_delay_alu instid0(VALU_DEP_4) | instskip(NEXT) | instid1(VALU_DEP_4)
	v_add_co_u32 v11, vcc_lo, v13, v11
	v_add_co_ci_u32_e32 v13, vcc_lo, 0, v14, vcc_lo
	s_delay_alu instid0(VALU_DEP_4) | instskip(NEXT) | instid1(VALU_DEP_3)
	v_xor_b32_e32 v15, v8, v17
	v_add_co_u32 v3, vcc_lo, v3, v11
	s_delay_alu instid0(VALU_DEP_3) | instskip(SKIP_1) | instid1(VALU_DEP_3)
	v_add_co_ci_u32_e32 v16, vcc_lo, v10, v13, vcc_lo
	v_xor_b32_e32 v18, v9, v17
	v_mul_hi_u32 v19, v15, v3
	s_delay_alu instid0(VALU_DEP_3) | instskip(NEXT) | instid1(VALU_DEP_3)
	v_mad_u64_u32 v[8:9], null, v15, v16, 0
	v_mad_u64_u32 v[10:11], null, v18, v3, 0
	;; [unrolled: 1-line block ×3, first 2 shown]
	s_delay_alu instid0(VALU_DEP_3) | instskip(NEXT) | instid1(VALU_DEP_4)
	v_add_co_u32 v3, vcc_lo, v19, v8
	v_add_co_ci_u32_e32 v8, vcc_lo, 0, v9, vcc_lo
	s_delay_alu instid0(VALU_DEP_2) | instskip(NEXT) | instid1(VALU_DEP_2)
	v_add_co_u32 v3, vcc_lo, v3, v10
	v_add_co_ci_u32_e32 v3, vcc_lo, v8, v11, vcc_lo
	v_add_co_ci_u32_e32 v8, vcc_lo, 0, v14, vcc_lo
	s_delay_alu instid0(VALU_DEP_2) | instskip(NEXT) | instid1(VALU_DEP_2)
	v_add_co_u32 v3, vcc_lo, v3, v13
	v_add_co_ci_u32_e32 v10, vcc_lo, 0, v8, vcc_lo
	s_delay_alu instid0(VALU_DEP_2) | instskip(SKIP_1) | instid1(VALU_DEP_3)
	v_mul_lo_u32 v11, s21, v3
	v_mad_u64_u32 v[8:9], null, s20, v3, 0
	v_mul_lo_u32 v3, s20, v10
	s_delay_alu instid0(VALU_DEP_2) | instskip(NEXT) | instid1(VALU_DEP_2)
	v_sub_co_u32 v8, vcc_lo, v15, v8
	v_add3_u32 v3, v9, v3, v11
	s_delay_alu instid0(VALU_DEP_1) | instskip(NEXT) | instid1(VALU_DEP_1)
	v_sub_nc_u32_e32 v9, v18, v3
	v_subrev_co_ci_u32_e64 v9, s0, s21, v9, vcc_lo
	v_sub_co_ci_u32_e32 v3, vcc_lo, v18, v3, vcc_lo
	v_sub_co_u32 v10, vcc_lo, v8, s20
	s_delay_alu instid0(VALU_DEP_1) | instskip(SKIP_3) | instid1(VALU_DEP_3)
	v_subrev_co_ci_u32_e64 v11, s0, 0, v9, vcc_lo
	v_cmp_le_u32_e64 s0, s20, v8
	v_subrev_co_ci_u32_e32 v9, vcc_lo, s21, v9, vcc_lo
	v_cmp_le_u32_e32 vcc_lo, s21, v3
	v_cndmask_b32_e64 v13, 0, -1, s0
	v_cmp_le_u32_e64 s0, s20, v10
	v_cndmask_b32_e64 v16, 0, -1, vcc_lo
	v_cmp_eq_u32_e32 vcc_lo, s21, v11
	s_delay_alu instid0(VALU_DEP_3) | instskip(SKIP_1) | instid1(VALU_DEP_1)
	v_cndmask_b32_e64 v14, 0, -1, s0
	v_cmp_le_u32_e64 s0, s21, v11
	v_cndmask_b32_e64 v15, 0, -1, s0
	v_cmp_eq_u32_e64 s0, s21, v3
	s_delay_alu instid0(VALU_DEP_2) | instskip(SKIP_2) | instid1(VALU_DEP_3)
	v_cndmask_b32_e32 v14, v15, v14, vcc_lo
	v_sub_co_u32 v15, vcc_lo, v10, s20
	v_subrev_co_ci_u32_e32 v9, vcc_lo, 0, v9, vcc_lo
	v_cmp_ne_u32_e32 vcc_lo, 0, v14
	v_cndmask_b32_e64 v13, v16, v13, s0
	s_delay_alu instid0(VALU_DEP_3) | instskip(NEXT) | instid1(VALU_DEP_2)
	v_dual_cndmask_b32 v9, v11, v9 :: v_dual_cndmask_b32 v10, v10, v15
	v_cmp_ne_u32_e32 vcc_lo, 0, v13
	s_delay_alu instid0(VALU_DEP_2) | instskip(NEXT) | instid1(VALU_DEP_1)
	v_dual_cndmask_b32 v8, v8, v10 :: v_dual_cndmask_b32 v3, v3, v9
	v_xor_b32_e32 v8, v8, v17
	s_delay_alu instid0(VALU_DEP_2) | instskip(NEXT) | instid1(VALU_DEP_2)
	v_xor_b32_e32 v3, v3, v17
	v_sub_co_u32 v10, vcc_lo, v8, v17
	s_delay_alu instid0(VALU_DEP_2)
	v_sub_co_ci_u32_e32 v11, vcc_lo, v3, v17, vcc_lo
                                        ; implicit-def: $vgpr8_vgpr9
.LBB34_11:                              ;   in Loop: Header=BB34_4 Depth=1
	s_and_not1_saveexec_b32 s0, s15
	s_cbranch_execz .LBB34_2
; %bb.12:                               ;   in Loop: Header=BB34_4 Depth=1
	v_cvt_f32_u32_e32 v3, s12
	v_mov_b32_e32 v11, v2
	s_delay_alu instid0(VALU_DEP_2) | instskip(SKIP_2) | instid1(VALU_DEP_1)
	v_rcp_iflag_f32_e32 v3, v3
	s_waitcnt_depctr 0xfff
	v_mul_f32_e32 v3, 0x4f7ffffe, v3
	v_cvt_u32_f32_e32 v3, v3
	s_delay_alu instid0(VALU_DEP_1) | instskip(NEXT) | instid1(VALU_DEP_1)
	v_mul_lo_u32 v9, s27, v3
	v_mul_hi_u32 v9, v3, v9
	s_delay_alu instid0(VALU_DEP_1) | instskip(NEXT) | instid1(VALU_DEP_1)
	v_add_nc_u32_e32 v3, v3, v9
	v_mul_hi_u32 v3, v8, v3
	s_delay_alu instid0(VALU_DEP_1) | instskip(NEXT) | instid1(VALU_DEP_1)
	v_mul_lo_u32 v3, v3, s12
	v_sub_nc_u32_e32 v3, v8, v3
	s_delay_alu instid0(VALU_DEP_1) | instskip(SKIP_1) | instid1(VALU_DEP_2)
	v_subrev_nc_u32_e32 v8, s12, v3
	v_cmp_le_u32_e32 vcc_lo, s12, v3
	v_cndmask_b32_e32 v3, v3, v8, vcc_lo
	s_delay_alu instid0(VALU_DEP_1) | instskip(SKIP_1) | instid1(VALU_DEP_2)
	v_subrev_nc_u32_e32 v8, s12, v3
	v_cmp_le_u32_e32 vcc_lo, s12, v3
	v_cndmask_b32_e32 v10, v3, v8, vcc_lo
	s_branch .LBB34_2
.LBB34_13:
	s_nop 0
	s_sendmsg sendmsg(MSG_DEALLOC_VGPRS)
	s_endpgm
	.section	.rodata,"a",@progbits
	.p2align	6, 0x0
	.amdhsa_kernel _ZN2at6native12_GLOBAL__N_121reflection_pad1d_flatIdEEvPKT_PS3_lllll
		.amdhsa_group_segment_fixed_size 0
		.amdhsa_private_segment_fixed_size 0
		.amdhsa_kernarg_size 312
		.amdhsa_user_sgpr_count 15
		.amdhsa_user_sgpr_dispatch_ptr 0
		.amdhsa_user_sgpr_queue_ptr 0
		.amdhsa_user_sgpr_kernarg_segment_ptr 1
		.amdhsa_user_sgpr_dispatch_id 0
		.amdhsa_user_sgpr_private_segment_size 0
		.amdhsa_wavefront_size32 1
		.amdhsa_uses_dynamic_stack 0
		.amdhsa_enable_private_segment 0
		.amdhsa_system_sgpr_workgroup_id_x 1
		.amdhsa_system_sgpr_workgroup_id_y 0
		.amdhsa_system_sgpr_workgroup_id_z 0
		.amdhsa_system_sgpr_workgroup_info 0
		.amdhsa_system_vgpr_workitem_id 0
		.amdhsa_next_free_vgpr 20
		.amdhsa_next_free_sgpr 28
		.amdhsa_reserve_vcc 1
		.amdhsa_float_round_mode_32 0
		.amdhsa_float_round_mode_16_64 0
		.amdhsa_float_denorm_mode_32 3
		.amdhsa_float_denorm_mode_16_64 3
		.amdhsa_dx10_clamp 1
		.amdhsa_ieee_mode 1
		.amdhsa_fp16_overflow 0
		.amdhsa_workgroup_processor_mode 1
		.amdhsa_memory_ordered 1
		.amdhsa_forward_progress 0
		.amdhsa_shared_vgpr_count 0
		.amdhsa_exception_fp_ieee_invalid_op 0
		.amdhsa_exception_fp_denorm_src 0
		.amdhsa_exception_fp_ieee_div_zero 0
		.amdhsa_exception_fp_ieee_overflow 0
		.amdhsa_exception_fp_ieee_underflow 0
		.amdhsa_exception_fp_ieee_inexact 0
		.amdhsa_exception_int_div_zero 0
	.end_amdhsa_kernel
	.section	.text._ZN2at6native12_GLOBAL__N_121reflection_pad1d_flatIdEEvPKT_PS3_lllll,"axG",@progbits,_ZN2at6native12_GLOBAL__N_121reflection_pad1d_flatIdEEvPKT_PS3_lllll,comdat
.Lfunc_end34:
	.size	_ZN2at6native12_GLOBAL__N_121reflection_pad1d_flatIdEEvPKT_PS3_lllll, .Lfunc_end34-_ZN2at6native12_GLOBAL__N_121reflection_pad1d_flatIdEEvPKT_PS3_lllll
                                        ; -- End function
	.section	.AMDGPU.csdata,"",@progbits
; Kernel info:
; codeLenInByte = 2464
; NumSgprs: 30
; NumVgprs: 20
; ScratchSize: 0
; MemoryBound: 0
; FloatMode: 240
; IeeeMode: 1
; LDSByteSize: 0 bytes/workgroup (compile time only)
; SGPRBlocks: 3
; VGPRBlocks: 2
; NumSGPRsForWavesPerEU: 30
; NumVGPRsForWavesPerEU: 20
; Occupancy: 16
; WaveLimiterHint : 0
; COMPUTE_PGM_RSRC2:SCRATCH_EN: 0
; COMPUTE_PGM_RSRC2:USER_SGPR: 15
; COMPUTE_PGM_RSRC2:TRAP_HANDLER: 0
; COMPUTE_PGM_RSRC2:TGID_X_EN: 1
; COMPUTE_PGM_RSRC2:TGID_Y_EN: 0
; COMPUTE_PGM_RSRC2:TGID_Z_EN: 0
; COMPUTE_PGM_RSRC2:TIDIG_COMP_CNT: 0
	.section	.text._ZN2at6native12_GLOBAL__N_127reflection_pad1d_out_kernelIfEEvPKT_PS3_lll,"axG",@progbits,_ZN2at6native12_GLOBAL__N_127reflection_pad1d_out_kernelIfEEvPKT_PS3_lll,comdat
	.globl	_ZN2at6native12_GLOBAL__N_127reflection_pad1d_out_kernelIfEEvPKT_PS3_lll ; -- Begin function _ZN2at6native12_GLOBAL__N_127reflection_pad1d_out_kernelIfEEvPKT_PS3_lll
	.p2align	8
	.type	_ZN2at6native12_GLOBAL__N_127reflection_pad1d_out_kernelIfEEvPKT_PS3_lll,@function
_ZN2at6native12_GLOBAL__N_127reflection_pad1d_out_kernelIfEEvPKT_PS3_lll: ; @_ZN2at6native12_GLOBAL__N_127reflection_pad1d_out_kernelIfEEvPKT_PS3_lll
; %bb.0:
	s_clause 0x2
	s_load_b32 s12, s[0:1], 0x34
	s_load_b256 s[4:11], s[0:1], 0x0
	s_load_b64 s[16:17], s[0:1], 0x20
	v_mov_b32_e32 v1, 0
	s_add_u32 s2, s0, 40
	s_addc_u32 s3, s1, 0
	s_waitcnt lgkmcnt(0)
	s_and_b32 s0, s12, 0xffff
	s_add_u32 s12, s10, s8
	v_mad_u64_u32 v[2:3], null, s0, s13, v[0:1]
	s_addc_u32 s13, s11, s9
	s_add_u32 s0, s12, s16
	s_addc_u32 s1, s13, s17
	s_mov_b32 s16, exec_lo
	s_delay_alu instid0(VALU_DEP_1)
	v_cmpx_gt_i64_e64 s[0:1], v[2:3]
	s_cbranch_execz .LBB35_2
; %bb.1:
	s_load_b32 s16, s[2:3], 0x4
	v_sub_co_u32 v0, vcc_lo, v2, s12
	v_subrev_co_ci_u32_e32 v1, vcc_lo, s13, v3, vcc_lo
	v_sub_co_u32 v4, vcc_lo, v2, s10
	v_subrev_co_ci_u32_e32 v5, vcc_lo, s11, v3, vcc_lo
	s_delay_alu instid0(VALU_DEP_4) | instskip(NEXT) | instid1(VALU_DEP_4)
	v_add_co_u32 v0, vcc_lo, v0, 1
	v_add_co_ci_u32_e32 v1, vcc_lo, 0, v1, vcc_lo
	s_sub_u32 s2, 0, s10
	s_subb_u32 s3, 0, s11
	v_cmp_gt_i64_e64 s17, s[10:11], 0
	s_delay_alu instid0(VALU_DEP_2)
	v_ashrrev_i32_e32 v6, 31, v1
	v_ashrrev_i32_e32 v7, 31, v5
	s_waitcnt lgkmcnt(0)
	s_mul_i32 s15, s16, s15
	v_cmp_gt_i64_e64 s16, s[2:3], 0
	s_add_i32 s14, s15, s14
	v_xor_b32_e32 v0, v0, v6
	s_mul_i32 s9, s14, s9
	s_mul_hi_u32 s15, s14, s8
	s_mul_i32 s1, s1, s14
	s_mul_hi_u32 s18, s0, s14
	v_xor_b32_e32 v1, v1, v6
	s_add_i32 s9, s15, s9
	s_add_i32 s1, s18, s1
	s_and_b32 s15, s16, exec_lo
	s_cselect_b32 s15, s3, 0
	s_cselect_b32 s16, s2, 0
	s_and_b32 s2, s17, exec_lo
	v_sub_co_u32 v0, vcc_lo, v0, v6
	s_cselect_b32 s3, s11, 0
	s_cselect_b32 s2, s10, 0
	v_sub_co_ci_u32_e32 v1, vcc_lo, v1, v6, vcc_lo
	s_not_b64 s[2:3], s[2:3]
	s_add_u32 s10, s12, s10
	s_addc_u32 s11, s13, s11
	v_add_co_u32 v0, vcc_lo, v2, v0
	s_add_u32 s2, s10, s2
	s_addc_u32 s3, s11, s3
	v_add_co_ci_u32_e32 v1, vcc_lo, v3, v1, vcc_lo
	s_add_u32 s2, s2, s16
	v_xor_b32_e32 v4, v4, v7
	s_addc_u32 s3, s3, s15
	v_sub_co_u32 v0, vcc_lo, s2, v0
	v_xor_b32_e32 v5, v5, v7
	v_sub_co_ci_u32_e32 v1, vcc_lo, s3, v1, vcc_lo
	v_sub_co_u32 v4, vcc_lo, v4, v7
	s_delay_alu instid0(VALU_DEP_3) | instskip(NEXT) | instid1(VALU_DEP_3)
	v_sub_co_ci_u32_e32 v5, vcc_lo, v5, v7, vcc_lo
	v_lshlrev_b64 v[0:1], 2, v[0:1]
	s_mul_i32 s8, s14, s8
	s_mul_i32 s0, s0, s14
	s_delay_alu instid0(VALU_DEP_2)
	v_lshlrev_b64 v[4:5], 2, v[4:5]
	s_lshl_b64 s[2:3], s[8:9], 2
	s_lshl_b64 s[0:1], s[0:1], 2
	v_add_co_u32 v0, vcc_lo, s4, v0
	v_add_co_ci_u32_e32 v1, vcc_lo, s5, v1, vcc_lo
	s_add_u32 s0, s6, s0
	s_delay_alu instid0(VALU_DEP_2) | instskip(NEXT) | instid1(VALU_DEP_2)
	v_add_co_u32 v0, vcc_lo, v0, v4
	v_add_co_ci_u32_e32 v1, vcc_lo, v1, v5, vcc_lo
	s_addc_u32 s1, s7, s1
	s_delay_alu instid0(VALU_DEP_2) | instskip(NEXT) | instid1(VALU_DEP_2)
	v_add_co_u32 v0, vcc_lo, v0, s2
	v_add_co_ci_u32_e32 v1, vcc_lo, s3, v1, vcc_lo
	global_load_b32 v4, v[0:1], off
	v_lshlrev_b64 v[0:1], 2, v[2:3]
	s_delay_alu instid0(VALU_DEP_1) | instskip(NEXT) | instid1(VALU_DEP_2)
	v_add_co_u32 v0, vcc_lo, s0, v0
	v_add_co_ci_u32_e32 v1, vcc_lo, s1, v1, vcc_lo
	s_waitcnt vmcnt(0)
	global_store_b32 v[0:1], v4, off
.LBB35_2:
	s_nop 0
	s_sendmsg sendmsg(MSG_DEALLOC_VGPRS)
	s_endpgm
	.section	.rodata,"a",@progbits
	.p2align	6, 0x0
	.amdhsa_kernel _ZN2at6native12_GLOBAL__N_127reflection_pad1d_out_kernelIfEEvPKT_PS3_lll
		.amdhsa_group_segment_fixed_size 0
		.amdhsa_private_segment_fixed_size 0
		.amdhsa_kernarg_size 296
		.amdhsa_user_sgpr_count 13
		.amdhsa_user_sgpr_dispatch_ptr 0
		.amdhsa_user_sgpr_queue_ptr 0
		.amdhsa_user_sgpr_kernarg_segment_ptr 1
		.amdhsa_user_sgpr_dispatch_id 0
		.amdhsa_user_sgpr_private_segment_size 0
		.amdhsa_wavefront_size32 1
		.amdhsa_uses_dynamic_stack 0
		.amdhsa_enable_private_segment 0
		.amdhsa_system_sgpr_workgroup_id_x 1
		.amdhsa_system_sgpr_workgroup_id_y 1
		.amdhsa_system_sgpr_workgroup_id_z 1
		.amdhsa_system_sgpr_workgroup_info 0
		.amdhsa_system_vgpr_workitem_id 0
		.amdhsa_next_free_vgpr 8
		.amdhsa_next_free_sgpr 19
		.amdhsa_reserve_vcc 1
		.amdhsa_float_round_mode_32 0
		.amdhsa_float_round_mode_16_64 0
		.amdhsa_float_denorm_mode_32 3
		.amdhsa_float_denorm_mode_16_64 3
		.amdhsa_dx10_clamp 1
		.amdhsa_ieee_mode 1
		.amdhsa_fp16_overflow 0
		.amdhsa_workgroup_processor_mode 1
		.amdhsa_memory_ordered 1
		.amdhsa_forward_progress 0
		.amdhsa_shared_vgpr_count 0
		.amdhsa_exception_fp_ieee_invalid_op 0
		.amdhsa_exception_fp_denorm_src 0
		.amdhsa_exception_fp_ieee_div_zero 0
		.amdhsa_exception_fp_ieee_overflow 0
		.amdhsa_exception_fp_ieee_underflow 0
		.amdhsa_exception_fp_ieee_inexact 0
		.amdhsa_exception_int_div_zero 0
	.end_amdhsa_kernel
	.section	.text._ZN2at6native12_GLOBAL__N_127reflection_pad1d_out_kernelIfEEvPKT_PS3_lll,"axG",@progbits,_ZN2at6native12_GLOBAL__N_127reflection_pad1d_out_kernelIfEEvPKT_PS3_lll,comdat
.Lfunc_end35:
	.size	_ZN2at6native12_GLOBAL__N_127reflection_pad1d_out_kernelIfEEvPKT_PS3_lll, .Lfunc_end35-_ZN2at6native12_GLOBAL__N_127reflection_pad1d_out_kernelIfEEvPKT_PS3_lll
                                        ; -- End function
	.section	.AMDGPU.csdata,"",@progbits
; Kernel info:
; codeLenInByte = 480
; NumSgprs: 21
; NumVgprs: 8
; ScratchSize: 0
; MemoryBound: 0
; FloatMode: 240
; IeeeMode: 1
; LDSByteSize: 0 bytes/workgroup (compile time only)
; SGPRBlocks: 2
; VGPRBlocks: 0
; NumSGPRsForWavesPerEU: 21
; NumVGPRsForWavesPerEU: 8
; Occupancy: 16
; WaveLimiterHint : 0
; COMPUTE_PGM_RSRC2:SCRATCH_EN: 0
; COMPUTE_PGM_RSRC2:USER_SGPR: 13
; COMPUTE_PGM_RSRC2:TRAP_HANDLER: 0
; COMPUTE_PGM_RSRC2:TGID_X_EN: 1
; COMPUTE_PGM_RSRC2:TGID_Y_EN: 1
; COMPUTE_PGM_RSRC2:TGID_Z_EN: 1
; COMPUTE_PGM_RSRC2:TIDIG_COMP_CNT: 0
	.section	.text._ZN2at6native12_GLOBAL__N_121reflection_pad1d_flatIfEEvPKT_PS3_lllll,"axG",@progbits,_ZN2at6native12_GLOBAL__N_121reflection_pad1d_flatIfEEvPKT_PS3_lllll,comdat
	.globl	_ZN2at6native12_GLOBAL__N_121reflection_pad1d_flatIfEEvPKT_PS3_lllll ; -- Begin function _ZN2at6native12_GLOBAL__N_121reflection_pad1d_flatIfEEvPKT_PS3_lllll
	.p2align	8
	.type	_ZN2at6native12_GLOBAL__N_121reflection_pad1d_flatIfEEvPKT_PS3_lllll,@function
_ZN2at6native12_GLOBAL__N_121reflection_pad1d_flatIfEEvPKT_PS3_lllll: ; @_ZN2at6native12_GLOBAL__N_121reflection_pad1d_flatIfEEvPKT_PS3_lllll
; %bb.0:
	s_clause 0x1
	s_load_b32 s2, s[0:1], 0x44
	s_load_b128 s[16:19], s[0:1], 0x28
	v_mov_b32_e32 v2, 0
	s_add_u32 s12, s0, 56
	s_addc_u32 s13, s1, 0
	s_mov_b32 s22, 0
	s_mov_b32 s4, exec_lo
	v_mov_b32_e32 v1, v2
	s_waitcnt lgkmcnt(0)
	s_and_b32 s14, s2, 0xffff
	s_mul_i32 s2, s18, s17
	s_delay_alu instid0(VALU_DEP_1) | instskip(SKIP_1) | instid1(SALU_CYCLE_1)
	v_mad_u64_u32 v[4:5], null, s14, s15, v[0:1]
	s_mul_hi_u32 s3, s18, s16
	s_add_i32 s2, s3, s2
	s_mul_i32 s3, s19, s16
	s_delay_alu instid0(SALU_CYCLE_1)
	s_add_i32 s3, s2, s3
	s_mul_i32 s2, s18, s16
	s_delay_alu instid0(VALU_DEP_1) | instid1(SALU_CYCLE_1)
	v_cmpx_gt_i64_e64 s[2:3], v[4:5]
	s_cbranch_execz .LBB36_13
; %bb.1:
	s_load_b256 s[4:11], s[0:1], 0x0
	v_cvt_f32_u32_e32 v0, s16
	s_load_b32 s15, s[12:13], 0x0
	s_delay_alu instid0(VALU_DEP_1) | instskip(SKIP_4) | instid1(VALU_DEP_1)
	v_rcp_iflag_f32_e32 v0, v0
	s_waitcnt_depctr 0xfff
	v_mul_f32_e32 v0, 0x4f7ffffe, v0
	s_waitcnt lgkmcnt(0)
	s_lshl_b64 s[0:1], s[8:9], 1
	v_cvt_u32_f32_e32 v3, v0
	s_add_u32 s12, s0, -2
	s_addc_u32 s13, s1, -1
	s_sub_u32 s1, 0, s16
	s_subb_u32 s23, 0, s17
	s_sub_u32 s24, 0, s10
	s_subb_u32 s25, 0, s11
	s_sub_i32 s0, 0, s16
	v_lshlrev_b64 v[0:1], 2, v[4:5]
	v_mul_lo_u32 v6, s0, v3
	v_cmp_gt_i64_e64 s26, s[12:13], 0
	s_mul_hi_u32 s11, s14, s15
	s_mul_i32 s10, s14, s15
	s_ashr_i32 s14, s17, 31
	v_add_co_u32 v0, vcc_lo, s6, v0
	v_add_co_ci_u32_e32 v1, vcc_lo, s7, v1, vcc_lo
	s_delay_alu instid0(VALU_DEP_4) | instskip(SKIP_3) | instid1(VALU_DEP_1)
	v_mul_hi_u32 v6, v3, v6
	s_lshl_b64 s[6:7], s[10:11], 2
	s_ashr_i32 s18, s13, 31
	s_sub_i32 s27, 0, s12
	v_add_nc_u32_e32 v12, v3, v6
	s_branch .LBB36_4
.LBB36_2:                               ;   in Loop: Header=BB36_4 Depth=1
	s_or_b32 exec_lo, exec_lo, s0
	s_delay_alu instid0(VALU_DEP_1) | instskip(NEXT) | instid1(VALU_DEP_1)
	v_ashrrev_i32_e32 v3, 31, v11
	v_and_b32_e32 v8, s12, v3
	v_and_b32_e32 v3, s13, v3
	s_delay_alu instid0(VALU_DEP_2) | instskip(NEXT) | instid1(VALU_DEP_2)
	v_add_co_u32 v8, vcc_lo, v8, v10
	v_add_co_ci_u32_e32 v9, vcc_lo, v3, v11, vcc_lo
	s_delay_alu instid0(VALU_DEP_2) | instskip(NEXT) | instid1(VALU_DEP_2)
	v_sub_co_u32 v3, vcc_lo, s12, v8
	v_sub_co_ci_u32_e32 v10, vcc_lo, s13, v9, vcc_lo
	v_cmp_gt_i64_e32 vcc_lo, s[8:9], v[8:9]
	s_delay_alu instid0(VALU_DEP_2)
	v_dual_cndmask_b32 v9, v10, v9 :: v_dual_cndmask_b32 v8, v3, v8
.LBB36_3:                               ;   in Loop: Header=BB36_4 Depth=1
	v_mul_lo_u32 v3, v7, s8
	v_mul_lo_u32 v7, v6, s9
	v_mad_u64_u32 v[10:11], null, v6, s8, 0
	s_delay_alu instid0(VALU_DEP_4) | instskip(NEXT) | instid1(VALU_DEP_2)
	v_lshlrev_b64 v[8:9], 2, v[8:9]
	v_add3_u32 v11, v11, v7, v3
	s_delay_alu instid0(VALU_DEP_1) | instskip(NEXT) | instid1(VALU_DEP_1)
	v_lshlrev_b64 v[6:7], 2, v[10:11]
	v_add_co_u32 v3, vcc_lo, s4, v6
	s_delay_alu instid0(VALU_DEP_2) | instskip(NEXT) | instid1(VALU_DEP_2)
	v_add_co_ci_u32_e32 v7, vcc_lo, s5, v7, vcc_lo
	v_add_co_u32 v6, vcc_lo, v3, v8
	s_delay_alu instid0(VALU_DEP_2)
	v_add_co_ci_u32_e32 v7, vcc_lo, v7, v9, vcc_lo
	v_add_co_u32 v4, vcc_lo, v4, s10
	v_add_co_ci_u32_e32 v5, vcc_lo, s11, v5, vcc_lo
	global_load_b32 v3, v[6:7], off
	v_cmp_le_i64_e32 vcc_lo, s[2:3], v[4:5]
	s_or_b32 s22, vcc_lo, s22
	s_waitcnt vmcnt(0)
	global_store_b32 v[0:1], v3, off
	v_add_co_u32 v0, s0, v0, s6
	s_delay_alu instid0(VALU_DEP_1)
	v_add_co_ci_u32_e64 v1, s0, s7, v1, s0
	s_and_not1_b32 exec_lo, exec_lo, s22
	s_cbranch_execz .LBB36_13
.LBB36_4:                               ; =>This Inner Loop Header: Depth=1
	v_or_b32_e32 v3, s17, v5
                                        ; implicit-def: $vgpr6_vgpr7
	s_mov_b32 s0, exec_lo
	s_delay_alu instid0(VALU_DEP_1)
	v_cmpx_ne_u64_e32 0, v[2:3]
	s_xor_b32 s19, exec_lo, s0
	s_cbranch_execz .LBB36_6
; %bb.5:                                ;   in Loop: Header=BB36_4 Depth=1
	s_add_u32 s20, s16, s14
	s_mov_b32 s15, s14
	s_addc_u32 s21, s17, s14
	s_delay_alu instid0(SALU_CYCLE_1) | instskip(NEXT) | instid1(SALU_CYCLE_1)
	s_xor_b64 s[20:21], s[20:21], s[14:15]
	v_cvt_f32_u32_e32 v3, s20
	v_cvt_f32_u32_e32 v6, s21
	s_sub_u32 s0, 0, s20
	s_subb_u32 s15, 0, s21
	s_delay_alu instid0(VALU_DEP_1) | instskip(NEXT) | instid1(VALU_DEP_1)
	v_fmac_f32_e32 v3, 0x4f800000, v6
	v_rcp_f32_e32 v3, v3
	s_waitcnt_depctr 0xfff
	v_mul_f32_e32 v3, 0x5f7ffffc, v3
	s_delay_alu instid0(VALU_DEP_1) | instskip(NEXT) | instid1(VALU_DEP_1)
	v_mul_f32_e32 v6, 0x2f800000, v3
	v_trunc_f32_e32 v6, v6
	s_delay_alu instid0(VALU_DEP_1) | instskip(SKIP_1) | instid1(VALU_DEP_2)
	v_fmac_f32_e32 v3, 0xcf800000, v6
	v_cvt_u32_f32_e32 v6, v6
	v_cvt_u32_f32_e32 v3, v3
	s_delay_alu instid0(VALU_DEP_2) | instskip(NEXT) | instid1(VALU_DEP_2)
	v_mul_lo_u32 v7, s0, v6
	v_mul_hi_u32 v8, s0, v3
	v_mul_lo_u32 v9, s15, v3
	s_delay_alu instid0(VALU_DEP_2) | instskip(SKIP_1) | instid1(VALU_DEP_2)
	v_add_nc_u32_e32 v7, v8, v7
	v_mul_lo_u32 v8, s0, v3
	v_add_nc_u32_e32 v7, v7, v9
	s_delay_alu instid0(VALU_DEP_2) | instskip(NEXT) | instid1(VALU_DEP_2)
	v_mul_hi_u32 v9, v3, v8
	v_mul_lo_u32 v10, v3, v7
	v_mul_hi_u32 v11, v3, v7
	v_mul_hi_u32 v13, v6, v8
	v_mul_lo_u32 v8, v6, v8
	v_mul_hi_u32 v14, v6, v7
	v_mul_lo_u32 v7, v6, v7
	v_add_co_u32 v9, vcc_lo, v9, v10
	v_add_co_ci_u32_e32 v10, vcc_lo, 0, v11, vcc_lo
	s_delay_alu instid0(VALU_DEP_2) | instskip(NEXT) | instid1(VALU_DEP_2)
	v_add_co_u32 v8, vcc_lo, v9, v8
	v_add_co_ci_u32_e32 v8, vcc_lo, v10, v13, vcc_lo
	v_add_co_ci_u32_e32 v9, vcc_lo, 0, v14, vcc_lo
	v_ashrrev_i32_e32 v13, 31, v5
	s_delay_alu instid0(VALU_DEP_3) | instskip(NEXT) | instid1(VALU_DEP_3)
	v_add_co_u32 v7, vcc_lo, v8, v7
	v_add_co_ci_u32_e32 v8, vcc_lo, 0, v9, vcc_lo
	s_delay_alu instid0(VALU_DEP_2) | instskip(NEXT) | instid1(VALU_DEP_2)
	v_add_co_u32 v3, vcc_lo, v3, v7
	v_add_co_ci_u32_e32 v6, vcc_lo, v6, v8, vcc_lo
	s_delay_alu instid0(VALU_DEP_2) | instskip(SKIP_1) | instid1(VALU_DEP_3)
	v_mul_hi_u32 v7, s0, v3
	v_mul_lo_u32 v9, s15, v3
	v_mul_lo_u32 v8, s0, v6
	s_delay_alu instid0(VALU_DEP_1) | instskip(SKIP_1) | instid1(VALU_DEP_2)
	v_add_nc_u32_e32 v7, v7, v8
	v_mul_lo_u32 v8, s0, v3
	v_add_nc_u32_e32 v7, v7, v9
	s_delay_alu instid0(VALU_DEP_2) | instskip(NEXT) | instid1(VALU_DEP_2)
	v_mul_hi_u32 v9, v3, v8
	v_mul_lo_u32 v10, v3, v7
	v_mul_hi_u32 v11, v3, v7
	v_mul_hi_u32 v14, v6, v8
	v_mul_lo_u32 v8, v6, v8
	v_mul_hi_u32 v15, v6, v7
	v_mul_lo_u32 v7, v6, v7
	v_add_co_u32 v9, vcc_lo, v9, v10
	v_add_co_ci_u32_e32 v10, vcc_lo, 0, v11, vcc_lo
	s_delay_alu instid0(VALU_DEP_2) | instskip(NEXT) | instid1(VALU_DEP_2)
	v_add_co_u32 v8, vcc_lo, v9, v8
	v_add_co_ci_u32_e32 v8, vcc_lo, v10, v14, vcc_lo
	v_add_co_ci_u32_e32 v9, vcc_lo, 0, v15, vcc_lo
	v_add_co_u32 v10, vcc_lo, v4, v13
	v_add_co_ci_u32_e32 v11, vcc_lo, v5, v13, vcc_lo
	s_delay_alu instid0(VALU_DEP_4) | instskip(NEXT) | instid1(VALU_DEP_4)
	v_add_co_u32 v7, vcc_lo, v8, v7
	v_add_co_ci_u32_e32 v8, vcc_lo, 0, v9, vcc_lo
	s_delay_alu instid0(VALU_DEP_4) | instskip(NEXT) | instid1(VALU_DEP_3)
	v_xor_b32_e32 v14, v10, v13
	v_add_co_u32 v3, vcc_lo, v3, v7
	s_delay_alu instid0(VALU_DEP_3) | instskip(SKIP_1) | instid1(VALU_DEP_3)
	v_add_co_ci_u32_e32 v15, vcc_lo, v6, v8, vcc_lo
	v_xor_b32_e32 v16, v11, v13
	v_mul_hi_u32 v17, v14, v3
	s_delay_alu instid0(VALU_DEP_3) | instskip(NEXT) | instid1(VALU_DEP_3)
	v_mad_u64_u32 v[6:7], null, v14, v15, 0
	v_mad_u64_u32 v[8:9], null, v16, v3, 0
	;; [unrolled: 1-line block ×3, first 2 shown]
	s_delay_alu instid0(VALU_DEP_3) | instskip(NEXT) | instid1(VALU_DEP_4)
	v_add_co_u32 v3, vcc_lo, v17, v6
	v_add_co_ci_u32_e32 v6, vcc_lo, 0, v7, vcc_lo
	s_delay_alu instid0(VALU_DEP_2) | instskip(NEXT) | instid1(VALU_DEP_2)
	v_add_co_u32 v3, vcc_lo, v3, v8
	v_add_co_ci_u32_e32 v3, vcc_lo, v6, v9, vcc_lo
	v_add_co_ci_u32_e32 v6, vcc_lo, 0, v11, vcc_lo
	s_delay_alu instid0(VALU_DEP_2) | instskip(NEXT) | instid1(VALU_DEP_2)
	v_add_co_u32 v3, vcc_lo, v3, v10
	v_add_co_ci_u32_e32 v8, vcc_lo, 0, v6, vcc_lo
	s_delay_alu instid0(VALU_DEP_2) | instskip(SKIP_1) | instid1(VALU_DEP_3)
	v_mul_lo_u32 v9, s21, v3
	v_mad_u64_u32 v[6:7], null, s20, v3, 0
	v_mul_lo_u32 v10, s20, v8
	s_delay_alu instid0(VALU_DEP_2) | instskip(NEXT) | instid1(VALU_DEP_2)
	v_sub_co_u32 v6, vcc_lo, v14, v6
	v_add3_u32 v7, v7, v10, v9
	s_delay_alu instid0(VALU_DEP_1) | instskip(NEXT) | instid1(VALU_DEP_1)
	v_sub_nc_u32_e32 v9, v16, v7
	v_subrev_co_ci_u32_e64 v9, s0, s21, v9, vcc_lo
	v_add_co_u32 v10, s0, v3, 2
	s_delay_alu instid0(VALU_DEP_1) | instskip(SKIP_3) | instid1(VALU_DEP_3)
	v_add_co_ci_u32_e64 v11, s0, 0, v8, s0
	v_sub_co_u32 v14, s0, v6, s20
	v_sub_co_ci_u32_e32 v7, vcc_lo, v16, v7, vcc_lo
	v_subrev_co_ci_u32_e64 v9, s0, 0, v9, s0
	v_cmp_le_u32_e32 vcc_lo, s20, v14
	s_delay_alu instid0(VALU_DEP_3) | instskip(SKIP_1) | instid1(VALU_DEP_4)
	v_cmp_eq_u32_e64 s0, s21, v7
	v_cndmask_b32_e64 v14, 0, -1, vcc_lo
	v_cmp_le_u32_e32 vcc_lo, s21, v9
	v_cndmask_b32_e64 v15, 0, -1, vcc_lo
	v_cmp_le_u32_e32 vcc_lo, s20, v6
	;; [unrolled: 2-line block ×3, first 2 shown]
	v_cndmask_b32_e64 v16, 0, -1, vcc_lo
	v_cmp_eq_u32_e32 vcc_lo, s21, v9
	s_delay_alu instid0(VALU_DEP_2) | instskip(SKIP_3) | instid1(VALU_DEP_3)
	v_cndmask_b32_e64 v6, v16, v6, s0
	v_cndmask_b32_e32 v9, v15, v14, vcc_lo
	v_add_co_u32 v14, vcc_lo, v3, 1
	v_add_co_ci_u32_e32 v15, vcc_lo, 0, v8, vcc_lo
	v_cmp_ne_u32_e32 vcc_lo, 0, v9
	s_delay_alu instid0(VALU_DEP_2) | instskip(NEXT) | instid1(VALU_DEP_4)
	v_cndmask_b32_e32 v7, v15, v11, vcc_lo
	v_cndmask_b32_e32 v9, v14, v10, vcc_lo
	v_cmp_ne_u32_e32 vcc_lo, 0, v6
	v_xor_b32_e32 v10, s14, v13
	s_delay_alu instid0(VALU_DEP_3) | instskip(NEXT) | instid1(VALU_DEP_1)
	v_dual_cndmask_b32 v3, v3, v9 :: v_dual_cndmask_b32 v6, v8, v7
	v_xor_b32_e32 v3, v3, v10
	s_delay_alu instid0(VALU_DEP_2) | instskip(NEXT) | instid1(VALU_DEP_2)
	v_xor_b32_e32 v7, v6, v10
	v_sub_co_u32 v6, vcc_lo, v3, v10
	s_delay_alu instid0(VALU_DEP_2)
	v_sub_co_ci_u32_e32 v7, vcc_lo, v7, v10, vcc_lo
.LBB36_6:                               ;   in Loop: Header=BB36_4 Depth=1
	s_and_not1_saveexec_b32 s0, s19
; %bb.7:                                ;   in Loop: Header=BB36_4 Depth=1
	v_mul_hi_u32 v3, v4, v12
	s_delay_alu instid0(VALU_DEP_1) | instskip(NEXT) | instid1(VALU_DEP_1)
	v_mul_lo_u32 v6, v3, s16
	v_sub_nc_u32_e32 v6, v4, v6
	s_delay_alu instid0(VALU_DEP_1) | instskip(SKIP_1) | instid1(VALU_DEP_2)
	v_subrev_nc_u32_e32 v8, s16, v6
	v_cmp_le_u32_e32 vcc_lo, s16, v6
	v_dual_cndmask_b32 v6, v6, v8 :: v_dual_add_nc_u32 v7, 1, v3
	s_delay_alu instid0(VALU_DEP_1) | instskip(NEXT) | instid1(VALU_DEP_2)
	v_cndmask_b32_e32 v3, v3, v7, vcc_lo
	v_cmp_le_u32_e32 vcc_lo, s16, v6
	s_delay_alu instid0(VALU_DEP_2) | instskip(NEXT) | instid1(VALU_DEP_1)
	v_add_nc_u32_e32 v7, 1, v3
	v_dual_cndmask_b32 v6, v3, v7 :: v_dual_mov_b32 v7, v2
; %bb.8:                                ;   in Loop: Header=BB36_4 Depth=1
	s_or_b32 exec_lo, exec_lo, s0
	v_mov_b32_e32 v8, 0
	v_mov_b32_e32 v9, 0
	s_and_not1_b32 vcc_lo, exec_lo, s26
	s_cbranch_vccnz .LBB36_3
; %bb.9:                                ;   in Loop: Header=BB36_4 Depth=1
	v_add_co_u32 v10, vcc_lo, s24, v4
	v_add_co_ci_u32_e32 v11, vcc_lo, s25, v5, vcc_lo
	v_mul_lo_u32 v3, s1, v7
	v_mul_lo_u32 v13, s23, v6
	s_mov_b32 s0, exec_lo
	s_delay_alu instid0(VALU_DEP_3) | instskip(NEXT) | instid1(VALU_DEP_1)
	v_mad_u64_u32 v[8:9], null, s1, v6, v[10:11]
                                        ; implicit-def: $vgpr10_vgpr11
	v_add3_u32 v9, v13, v9, v3
	s_delay_alu instid0(VALU_DEP_1) | instskip(NEXT) | instid1(VALU_DEP_1)
	v_or_b32_e32 v3, s13, v9
	v_cmpx_ne_u64_e32 0, v[2:3]
	s_xor_b32 s15, exec_lo, s0
	s_cbranch_execz .LBB36_11
; %bb.10:                               ;   in Loop: Header=BB36_4 Depth=1
	s_add_u32 s20, s12, s18
	s_mov_b32 s19, s18
	s_addc_u32 s21, s13, s18
	s_delay_alu instid0(SALU_CYCLE_1) | instskip(NEXT) | instid1(SALU_CYCLE_1)
	s_xor_b64 s[20:21], s[20:21], s[18:19]
	v_cvt_f32_u32_e32 v3, s20
	v_cvt_f32_u32_e32 v10, s21
	s_sub_u32 s0, 0, s20
	s_subb_u32 s19, 0, s21
	s_delay_alu instid0(VALU_DEP_1) | instskip(NEXT) | instid1(VALU_DEP_1)
	v_fmac_f32_e32 v3, 0x4f800000, v10
	v_rcp_f32_e32 v3, v3
	s_waitcnt_depctr 0xfff
	v_mul_f32_e32 v3, 0x5f7ffffc, v3
	s_delay_alu instid0(VALU_DEP_1) | instskip(NEXT) | instid1(VALU_DEP_1)
	v_mul_f32_e32 v10, 0x2f800000, v3
	v_trunc_f32_e32 v10, v10
	s_delay_alu instid0(VALU_DEP_1) | instskip(SKIP_1) | instid1(VALU_DEP_2)
	v_fmac_f32_e32 v3, 0xcf800000, v10
	v_cvt_u32_f32_e32 v10, v10
	v_cvt_u32_f32_e32 v3, v3
	s_delay_alu instid0(VALU_DEP_2) | instskip(NEXT) | instid1(VALU_DEP_2)
	v_mul_lo_u32 v11, s0, v10
	v_mul_hi_u32 v13, s0, v3
	v_mul_lo_u32 v14, s19, v3
	s_delay_alu instid0(VALU_DEP_2) | instskip(SKIP_1) | instid1(VALU_DEP_2)
	v_add_nc_u32_e32 v11, v13, v11
	v_mul_lo_u32 v13, s0, v3
	v_add_nc_u32_e32 v11, v11, v14
	s_delay_alu instid0(VALU_DEP_2) | instskip(NEXT) | instid1(VALU_DEP_2)
	v_mul_hi_u32 v14, v3, v13
	v_mul_lo_u32 v15, v3, v11
	v_mul_hi_u32 v16, v3, v11
	v_mul_hi_u32 v17, v10, v13
	v_mul_lo_u32 v13, v10, v13
	v_mul_hi_u32 v18, v10, v11
	v_mul_lo_u32 v11, v10, v11
	v_add_co_u32 v14, vcc_lo, v14, v15
	v_add_co_ci_u32_e32 v15, vcc_lo, 0, v16, vcc_lo
	s_delay_alu instid0(VALU_DEP_2) | instskip(NEXT) | instid1(VALU_DEP_2)
	v_add_co_u32 v13, vcc_lo, v14, v13
	v_add_co_ci_u32_e32 v13, vcc_lo, v15, v17, vcc_lo
	v_add_co_ci_u32_e32 v14, vcc_lo, 0, v18, vcc_lo
	v_ashrrev_i32_e32 v17, 31, v9
	s_delay_alu instid0(VALU_DEP_3) | instskip(NEXT) | instid1(VALU_DEP_3)
	v_add_co_u32 v11, vcc_lo, v13, v11
	v_add_co_ci_u32_e32 v13, vcc_lo, 0, v14, vcc_lo
	s_delay_alu instid0(VALU_DEP_2) | instskip(NEXT) | instid1(VALU_DEP_2)
	v_add_co_u32 v3, vcc_lo, v3, v11
	v_add_co_ci_u32_e32 v10, vcc_lo, v10, v13, vcc_lo
	s_delay_alu instid0(VALU_DEP_2) | instskip(SKIP_1) | instid1(VALU_DEP_3)
	v_mul_hi_u32 v11, s0, v3
	v_mul_lo_u32 v14, s19, v3
	v_mul_lo_u32 v13, s0, v10
	s_delay_alu instid0(VALU_DEP_1) | instskip(SKIP_1) | instid1(VALU_DEP_2)
	v_add_nc_u32_e32 v11, v11, v13
	v_mul_lo_u32 v13, s0, v3
	v_add_nc_u32_e32 v11, v11, v14
	s_delay_alu instid0(VALU_DEP_2) | instskip(NEXT) | instid1(VALU_DEP_2)
	v_mul_hi_u32 v14, v3, v13
	v_mul_lo_u32 v15, v3, v11
	v_mul_hi_u32 v16, v3, v11
	v_mul_hi_u32 v18, v10, v13
	v_mul_lo_u32 v13, v10, v13
	v_mul_hi_u32 v19, v10, v11
	v_mul_lo_u32 v11, v10, v11
	v_add_co_u32 v14, vcc_lo, v14, v15
	v_add_co_ci_u32_e32 v15, vcc_lo, 0, v16, vcc_lo
	s_delay_alu instid0(VALU_DEP_2) | instskip(NEXT) | instid1(VALU_DEP_2)
	v_add_co_u32 v13, vcc_lo, v14, v13
	v_add_co_ci_u32_e32 v13, vcc_lo, v15, v18, vcc_lo
	v_add_co_ci_u32_e32 v14, vcc_lo, 0, v19, vcc_lo
	v_add_co_u32 v8, vcc_lo, v8, v17
	v_add_co_ci_u32_e32 v9, vcc_lo, v9, v17, vcc_lo
	s_delay_alu instid0(VALU_DEP_4) | instskip(NEXT) | instid1(VALU_DEP_4)
	v_add_co_u32 v11, vcc_lo, v13, v11
	v_add_co_ci_u32_e32 v13, vcc_lo, 0, v14, vcc_lo
	s_delay_alu instid0(VALU_DEP_4) | instskip(NEXT) | instid1(VALU_DEP_3)
	v_xor_b32_e32 v15, v8, v17
	v_add_co_u32 v3, vcc_lo, v3, v11
	s_delay_alu instid0(VALU_DEP_3) | instskip(SKIP_1) | instid1(VALU_DEP_3)
	v_add_co_ci_u32_e32 v16, vcc_lo, v10, v13, vcc_lo
	v_xor_b32_e32 v18, v9, v17
	v_mul_hi_u32 v19, v15, v3
	s_delay_alu instid0(VALU_DEP_3) | instskip(NEXT) | instid1(VALU_DEP_3)
	v_mad_u64_u32 v[8:9], null, v15, v16, 0
	v_mad_u64_u32 v[10:11], null, v18, v3, 0
	;; [unrolled: 1-line block ×3, first 2 shown]
	s_delay_alu instid0(VALU_DEP_3) | instskip(NEXT) | instid1(VALU_DEP_4)
	v_add_co_u32 v3, vcc_lo, v19, v8
	v_add_co_ci_u32_e32 v8, vcc_lo, 0, v9, vcc_lo
	s_delay_alu instid0(VALU_DEP_2) | instskip(NEXT) | instid1(VALU_DEP_2)
	v_add_co_u32 v3, vcc_lo, v3, v10
	v_add_co_ci_u32_e32 v3, vcc_lo, v8, v11, vcc_lo
	v_add_co_ci_u32_e32 v8, vcc_lo, 0, v14, vcc_lo
	s_delay_alu instid0(VALU_DEP_2) | instskip(NEXT) | instid1(VALU_DEP_2)
	v_add_co_u32 v3, vcc_lo, v3, v13
	v_add_co_ci_u32_e32 v10, vcc_lo, 0, v8, vcc_lo
	s_delay_alu instid0(VALU_DEP_2) | instskip(SKIP_1) | instid1(VALU_DEP_3)
	v_mul_lo_u32 v11, s21, v3
	v_mad_u64_u32 v[8:9], null, s20, v3, 0
	v_mul_lo_u32 v3, s20, v10
	s_delay_alu instid0(VALU_DEP_2) | instskip(NEXT) | instid1(VALU_DEP_2)
	v_sub_co_u32 v8, vcc_lo, v15, v8
	v_add3_u32 v3, v9, v3, v11
	s_delay_alu instid0(VALU_DEP_1) | instskip(NEXT) | instid1(VALU_DEP_1)
	v_sub_nc_u32_e32 v9, v18, v3
	v_subrev_co_ci_u32_e64 v9, s0, s21, v9, vcc_lo
	v_sub_co_ci_u32_e32 v3, vcc_lo, v18, v3, vcc_lo
	v_sub_co_u32 v10, vcc_lo, v8, s20
	s_delay_alu instid0(VALU_DEP_1) | instskip(SKIP_3) | instid1(VALU_DEP_3)
	v_subrev_co_ci_u32_e64 v11, s0, 0, v9, vcc_lo
	v_cmp_le_u32_e64 s0, s20, v8
	v_subrev_co_ci_u32_e32 v9, vcc_lo, s21, v9, vcc_lo
	v_cmp_le_u32_e32 vcc_lo, s21, v3
	v_cndmask_b32_e64 v13, 0, -1, s0
	v_cmp_le_u32_e64 s0, s20, v10
	v_cndmask_b32_e64 v16, 0, -1, vcc_lo
	v_cmp_eq_u32_e32 vcc_lo, s21, v11
	s_delay_alu instid0(VALU_DEP_3) | instskip(SKIP_1) | instid1(VALU_DEP_1)
	v_cndmask_b32_e64 v14, 0, -1, s0
	v_cmp_le_u32_e64 s0, s21, v11
	v_cndmask_b32_e64 v15, 0, -1, s0
	v_cmp_eq_u32_e64 s0, s21, v3
	s_delay_alu instid0(VALU_DEP_2) | instskip(SKIP_2) | instid1(VALU_DEP_3)
	v_cndmask_b32_e32 v14, v15, v14, vcc_lo
	v_sub_co_u32 v15, vcc_lo, v10, s20
	v_subrev_co_ci_u32_e32 v9, vcc_lo, 0, v9, vcc_lo
	v_cmp_ne_u32_e32 vcc_lo, 0, v14
	v_cndmask_b32_e64 v13, v16, v13, s0
	s_delay_alu instid0(VALU_DEP_3) | instskip(NEXT) | instid1(VALU_DEP_2)
	v_dual_cndmask_b32 v9, v11, v9 :: v_dual_cndmask_b32 v10, v10, v15
	v_cmp_ne_u32_e32 vcc_lo, 0, v13
	s_delay_alu instid0(VALU_DEP_2) | instskip(NEXT) | instid1(VALU_DEP_1)
	v_dual_cndmask_b32 v8, v8, v10 :: v_dual_cndmask_b32 v3, v3, v9
	v_xor_b32_e32 v8, v8, v17
	s_delay_alu instid0(VALU_DEP_2) | instskip(NEXT) | instid1(VALU_DEP_2)
	v_xor_b32_e32 v3, v3, v17
	v_sub_co_u32 v10, vcc_lo, v8, v17
	s_delay_alu instid0(VALU_DEP_2)
	v_sub_co_ci_u32_e32 v11, vcc_lo, v3, v17, vcc_lo
                                        ; implicit-def: $vgpr8_vgpr9
.LBB36_11:                              ;   in Loop: Header=BB36_4 Depth=1
	s_and_not1_saveexec_b32 s0, s15
	s_cbranch_execz .LBB36_2
; %bb.12:                               ;   in Loop: Header=BB36_4 Depth=1
	v_cvt_f32_u32_e32 v3, s12
	v_mov_b32_e32 v11, v2
	s_delay_alu instid0(VALU_DEP_2) | instskip(SKIP_2) | instid1(VALU_DEP_1)
	v_rcp_iflag_f32_e32 v3, v3
	s_waitcnt_depctr 0xfff
	v_mul_f32_e32 v3, 0x4f7ffffe, v3
	v_cvt_u32_f32_e32 v3, v3
	s_delay_alu instid0(VALU_DEP_1) | instskip(NEXT) | instid1(VALU_DEP_1)
	v_mul_lo_u32 v9, s27, v3
	v_mul_hi_u32 v9, v3, v9
	s_delay_alu instid0(VALU_DEP_1) | instskip(NEXT) | instid1(VALU_DEP_1)
	v_add_nc_u32_e32 v3, v3, v9
	v_mul_hi_u32 v3, v8, v3
	s_delay_alu instid0(VALU_DEP_1) | instskip(NEXT) | instid1(VALU_DEP_1)
	v_mul_lo_u32 v3, v3, s12
	v_sub_nc_u32_e32 v3, v8, v3
	s_delay_alu instid0(VALU_DEP_1) | instskip(SKIP_1) | instid1(VALU_DEP_2)
	v_subrev_nc_u32_e32 v8, s12, v3
	v_cmp_le_u32_e32 vcc_lo, s12, v3
	v_cndmask_b32_e32 v3, v3, v8, vcc_lo
	s_delay_alu instid0(VALU_DEP_1) | instskip(SKIP_1) | instid1(VALU_DEP_2)
	v_subrev_nc_u32_e32 v8, s12, v3
	v_cmp_le_u32_e32 vcc_lo, s12, v3
	v_cndmask_b32_e32 v10, v3, v8, vcc_lo
	s_branch .LBB36_2
.LBB36_13:
	s_nop 0
	s_sendmsg sendmsg(MSG_DEALLOC_VGPRS)
	s_endpgm
	.section	.rodata,"a",@progbits
	.p2align	6, 0x0
	.amdhsa_kernel _ZN2at6native12_GLOBAL__N_121reflection_pad1d_flatIfEEvPKT_PS3_lllll
		.amdhsa_group_segment_fixed_size 0
		.amdhsa_private_segment_fixed_size 0
		.amdhsa_kernarg_size 312
		.amdhsa_user_sgpr_count 15
		.amdhsa_user_sgpr_dispatch_ptr 0
		.amdhsa_user_sgpr_queue_ptr 0
		.amdhsa_user_sgpr_kernarg_segment_ptr 1
		.amdhsa_user_sgpr_dispatch_id 0
		.amdhsa_user_sgpr_private_segment_size 0
		.amdhsa_wavefront_size32 1
		.amdhsa_uses_dynamic_stack 0
		.amdhsa_enable_private_segment 0
		.amdhsa_system_sgpr_workgroup_id_x 1
		.amdhsa_system_sgpr_workgroup_id_y 0
		.amdhsa_system_sgpr_workgroup_id_z 0
		.amdhsa_system_sgpr_workgroup_info 0
		.amdhsa_system_vgpr_workitem_id 0
		.amdhsa_next_free_vgpr 20
		.amdhsa_next_free_sgpr 28
		.amdhsa_reserve_vcc 1
		.amdhsa_float_round_mode_32 0
		.amdhsa_float_round_mode_16_64 0
		.amdhsa_float_denorm_mode_32 3
		.amdhsa_float_denorm_mode_16_64 3
		.amdhsa_dx10_clamp 1
		.amdhsa_ieee_mode 1
		.amdhsa_fp16_overflow 0
		.amdhsa_workgroup_processor_mode 1
		.amdhsa_memory_ordered 1
		.amdhsa_forward_progress 0
		.amdhsa_shared_vgpr_count 0
		.amdhsa_exception_fp_ieee_invalid_op 0
		.amdhsa_exception_fp_denorm_src 0
		.amdhsa_exception_fp_ieee_div_zero 0
		.amdhsa_exception_fp_ieee_overflow 0
		.amdhsa_exception_fp_ieee_underflow 0
		.amdhsa_exception_fp_ieee_inexact 0
		.amdhsa_exception_int_div_zero 0
	.end_amdhsa_kernel
	.section	.text._ZN2at6native12_GLOBAL__N_121reflection_pad1d_flatIfEEvPKT_PS3_lllll,"axG",@progbits,_ZN2at6native12_GLOBAL__N_121reflection_pad1d_flatIfEEvPKT_PS3_lllll,comdat
.Lfunc_end36:
	.size	_ZN2at6native12_GLOBAL__N_121reflection_pad1d_flatIfEEvPKT_PS3_lllll, .Lfunc_end36-_ZN2at6native12_GLOBAL__N_121reflection_pad1d_flatIfEEvPKT_PS3_lllll
                                        ; -- End function
	.section	.AMDGPU.csdata,"",@progbits
; Kernel info:
; codeLenInByte = 2464
; NumSgprs: 30
; NumVgprs: 20
; ScratchSize: 0
; MemoryBound: 0
; FloatMode: 240
; IeeeMode: 1
; LDSByteSize: 0 bytes/workgroup (compile time only)
; SGPRBlocks: 3
; VGPRBlocks: 2
; NumSGPRsForWavesPerEU: 30
; NumVGPRsForWavesPerEU: 20
; Occupancy: 16
; WaveLimiterHint : 0
; COMPUTE_PGM_RSRC2:SCRATCH_EN: 0
; COMPUTE_PGM_RSRC2:USER_SGPR: 15
; COMPUTE_PGM_RSRC2:TRAP_HANDLER: 0
; COMPUTE_PGM_RSRC2:TGID_X_EN: 1
; COMPUTE_PGM_RSRC2:TGID_Y_EN: 0
; COMPUTE_PGM_RSRC2:TGID_Z_EN: 0
; COMPUTE_PGM_RSRC2:TIDIG_COMP_CNT: 0
	.section	.text._ZN2at6native12_GLOBAL__N_127reflection_pad1d_out_kernelIN3c107complexIdEEEEvPKT_PS6_lll,"axG",@progbits,_ZN2at6native12_GLOBAL__N_127reflection_pad1d_out_kernelIN3c107complexIdEEEEvPKT_PS6_lll,comdat
	.globl	_ZN2at6native12_GLOBAL__N_127reflection_pad1d_out_kernelIN3c107complexIdEEEEvPKT_PS6_lll ; -- Begin function _ZN2at6native12_GLOBAL__N_127reflection_pad1d_out_kernelIN3c107complexIdEEEEvPKT_PS6_lll
	.p2align	8
	.type	_ZN2at6native12_GLOBAL__N_127reflection_pad1d_out_kernelIN3c107complexIdEEEEvPKT_PS6_lll,@function
_ZN2at6native12_GLOBAL__N_127reflection_pad1d_out_kernelIN3c107complexIdEEEEvPKT_PS6_lll: ; @_ZN2at6native12_GLOBAL__N_127reflection_pad1d_out_kernelIN3c107complexIdEEEEvPKT_PS6_lll
; %bb.0:
	s_clause 0x2
	s_load_b32 s12, s[0:1], 0x34
	s_load_b256 s[4:11], s[0:1], 0x0
	s_load_b64 s[16:17], s[0:1], 0x20
	v_mov_b32_e32 v1, 0
	s_add_u32 s2, s0, 40
	s_addc_u32 s3, s1, 0
	s_waitcnt lgkmcnt(0)
	s_and_b32 s0, s12, 0xffff
	s_add_u32 s12, s10, s8
	v_mad_u64_u32 v[2:3], null, s0, s13, v[0:1]
	s_addc_u32 s13, s11, s9
	s_add_u32 s0, s12, s16
	s_addc_u32 s1, s13, s17
	s_mov_b32 s16, exec_lo
	s_delay_alu instid0(VALU_DEP_1)
	v_cmpx_gt_i64_e64 s[0:1], v[2:3]
	s_cbranch_execz .LBB37_2
; %bb.1:
	s_load_b32 s16, s[2:3], 0x4
	v_sub_co_u32 v0, vcc_lo, v2, s12
	v_subrev_co_ci_u32_e32 v1, vcc_lo, s13, v3, vcc_lo
	v_sub_co_u32 v4, vcc_lo, v2, s10
	v_subrev_co_ci_u32_e32 v5, vcc_lo, s11, v3, vcc_lo
	s_delay_alu instid0(VALU_DEP_4) | instskip(NEXT) | instid1(VALU_DEP_4)
	v_add_co_u32 v0, vcc_lo, v0, 1
	v_add_co_ci_u32_e32 v1, vcc_lo, 0, v1, vcc_lo
	s_sub_u32 s2, 0, s10
	s_subb_u32 s3, 0, s11
	v_cmp_gt_i64_e64 s17, s[10:11], 0
	s_delay_alu instid0(VALU_DEP_2)
	v_ashrrev_i32_e32 v6, 31, v1
	v_ashrrev_i32_e32 v7, 31, v5
	s_waitcnt lgkmcnt(0)
	s_mul_i32 s15, s16, s15
	v_cmp_gt_i64_e64 s16, s[2:3], 0
	s_add_i32 s14, s15, s14
	v_xor_b32_e32 v0, v0, v6
	s_mul_i32 s9, s14, s9
	s_mul_hi_u32 s15, s14, s8
	s_mul_i32 s1, s1, s14
	s_mul_hi_u32 s18, s0, s14
	v_xor_b32_e32 v1, v1, v6
	s_add_i32 s9, s15, s9
	s_add_i32 s1, s18, s1
	s_and_b32 s15, s16, exec_lo
	s_cselect_b32 s15, s3, 0
	s_cselect_b32 s16, s2, 0
	s_and_b32 s2, s17, exec_lo
	v_sub_co_u32 v0, vcc_lo, v0, v6
	s_cselect_b32 s3, s11, 0
	s_cselect_b32 s2, s10, 0
	v_sub_co_ci_u32_e32 v1, vcc_lo, v1, v6, vcc_lo
	s_not_b64 s[2:3], s[2:3]
	s_add_u32 s10, s12, s10
	s_addc_u32 s11, s13, s11
	v_add_co_u32 v0, vcc_lo, v2, v0
	s_add_u32 s2, s10, s2
	s_addc_u32 s3, s11, s3
	v_add_co_ci_u32_e32 v1, vcc_lo, v3, v1, vcc_lo
	s_add_u32 s2, s2, s16
	v_xor_b32_e32 v4, v4, v7
	s_addc_u32 s3, s3, s15
	v_sub_co_u32 v0, vcc_lo, s2, v0
	v_xor_b32_e32 v5, v5, v7
	v_sub_co_ci_u32_e32 v1, vcc_lo, s3, v1, vcc_lo
	v_sub_co_u32 v4, vcc_lo, v4, v7
	s_delay_alu instid0(VALU_DEP_3) | instskip(NEXT) | instid1(VALU_DEP_3)
	v_sub_co_ci_u32_e32 v5, vcc_lo, v5, v7, vcc_lo
	v_lshlrev_b64 v[0:1], 4, v[0:1]
	s_mul_i32 s8, s14, s8
	s_mul_i32 s0, s0, s14
	s_delay_alu instid0(VALU_DEP_2)
	v_lshlrev_b64 v[4:5], 4, v[4:5]
	s_lshl_b64 s[2:3], s[8:9], 4
	s_lshl_b64 s[0:1], s[0:1], 4
	v_add_co_u32 v0, vcc_lo, s4, v0
	v_add_co_ci_u32_e32 v1, vcc_lo, s5, v1, vcc_lo
	s_add_u32 s0, s6, s0
	s_delay_alu instid0(VALU_DEP_2) | instskip(NEXT) | instid1(VALU_DEP_2)
	v_add_co_u32 v0, vcc_lo, v0, v4
	v_add_co_ci_u32_e32 v1, vcc_lo, v1, v5, vcc_lo
	s_addc_u32 s1, s7, s1
	s_delay_alu instid0(VALU_DEP_2) | instskip(NEXT) | instid1(VALU_DEP_2)
	v_add_co_u32 v0, vcc_lo, v0, s2
	v_add_co_ci_u32_e32 v1, vcc_lo, s3, v1, vcc_lo
	global_load_b128 v[4:7], v[0:1], off
	v_lshlrev_b64 v[0:1], 4, v[2:3]
	s_delay_alu instid0(VALU_DEP_1) | instskip(NEXT) | instid1(VALU_DEP_2)
	v_add_co_u32 v0, vcc_lo, s0, v0
	v_add_co_ci_u32_e32 v1, vcc_lo, s1, v1, vcc_lo
	s_waitcnt vmcnt(0)
	global_store_b128 v[0:1], v[4:7], off
.LBB37_2:
	s_nop 0
	s_sendmsg sendmsg(MSG_DEALLOC_VGPRS)
	s_endpgm
	.section	.rodata,"a",@progbits
	.p2align	6, 0x0
	.amdhsa_kernel _ZN2at6native12_GLOBAL__N_127reflection_pad1d_out_kernelIN3c107complexIdEEEEvPKT_PS6_lll
		.amdhsa_group_segment_fixed_size 0
		.amdhsa_private_segment_fixed_size 0
		.amdhsa_kernarg_size 296
		.amdhsa_user_sgpr_count 13
		.amdhsa_user_sgpr_dispatch_ptr 0
		.amdhsa_user_sgpr_queue_ptr 0
		.amdhsa_user_sgpr_kernarg_segment_ptr 1
		.amdhsa_user_sgpr_dispatch_id 0
		.amdhsa_user_sgpr_private_segment_size 0
		.amdhsa_wavefront_size32 1
		.amdhsa_uses_dynamic_stack 0
		.amdhsa_enable_private_segment 0
		.amdhsa_system_sgpr_workgroup_id_x 1
		.amdhsa_system_sgpr_workgroup_id_y 1
		.amdhsa_system_sgpr_workgroup_id_z 1
		.amdhsa_system_sgpr_workgroup_info 0
		.amdhsa_system_vgpr_workitem_id 0
		.amdhsa_next_free_vgpr 8
		.amdhsa_next_free_sgpr 19
		.amdhsa_reserve_vcc 1
		.amdhsa_float_round_mode_32 0
		.amdhsa_float_round_mode_16_64 0
		.amdhsa_float_denorm_mode_32 3
		.amdhsa_float_denorm_mode_16_64 3
		.amdhsa_dx10_clamp 1
		.amdhsa_ieee_mode 1
		.amdhsa_fp16_overflow 0
		.amdhsa_workgroup_processor_mode 1
		.amdhsa_memory_ordered 1
		.amdhsa_forward_progress 0
		.amdhsa_shared_vgpr_count 0
		.amdhsa_exception_fp_ieee_invalid_op 0
		.amdhsa_exception_fp_denorm_src 0
		.amdhsa_exception_fp_ieee_div_zero 0
		.amdhsa_exception_fp_ieee_overflow 0
		.amdhsa_exception_fp_ieee_underflow 0
		.amdhsa_exception_fp_ieee_inexact 0
		.amdhsa_exception_int_div_zero 0
	.end_amdhsa_kernel
	.section	.text._ZN2at6native12_GLOBAL__N_127reflection_pad1d_out_kernelIN3c107complexIdEEEEvPKT_PS6_lll,"axG",@progbits,_ZN2at6native12_GLOBAL__N_127reflection_pad1d_out_kernelIN3c107complexIdEEEEvPKT_PS6_lll,comdat
.Lfunc_end37:
	.size	_ZN2at6native12_GLOBAL__N_127reflection_pad1d_out_kernelIN3c107complexIdEEEEvPKT_PS6_lll, .Lfunc_end37-_ZN2at6native12_GLOBAL__N_127reflection_pad1d_out_kernelIN3c107complexIdEEEEvPKT_PS6_lll
                                        ; -- End function
	.section	.AMDGPU.csdata,"",@progbits
; Kernel info:
; codeLenInByte = 480
; NumSgprs: 21
; NumVgprs: 8
; ScratchSize: 0
; MemoryBound: 0
; FloatMode: 240
; IeeeMode: 1
; LDSByteSize: 0 bytes/workgroup (compile time only)
; SGPRBlocks: 2
; VGPRBlocks: 0
; NumSGPRsForWavesPerEU: 21
; NumVGPRsForWavesPerEU: 8
; Occupancy: 16
; WaveLimiterHint : 0
; COMPUTE_PGM_RSRC2:SCRATCH_EN: 0
; COMPUTE_PGM_RSRC2:USER_SGPR: 13
; COMPUTE_PGM_RSRC2:TRAP_HANDLER: 0
; COMPUTE_PGM_RSRC2:TGID_X_EN: 1
; COMPUTE_PGM_RSRC2:TGID_Y_EN: 1
; COMPUTE_PGM_RSRC2:TGID_Z_EN: 1
; COMPUTE_PGM_RSRC2:TIDIG_COMP_CNT: 0
	.section	.text._ZN2at6native12_GLOBAL__N_121reflection_pad1d_flatIN3c107complexIdEEEEvPKT_PS6_lllll,"axG",@progbits,_ZN2at6native12_GLOBAL__N_121reflection_pad1d_flatIN3c107complexIdEEEEvPKT_PS6_lllll,comdat
	.globl	_ZN2at6native12_GLOBAL__N_121reflection_pad1d_flatIN3c107complexIdEEEEvPKT_PS6_lllll ; -- Begin function _ZN2at6native12_GLOBAL__N_121reflection_pad1d_flatIN3c107complexIdEEEEvPKT_PS6_lllll
	.p2align	8
	.type	_ZN2at6native12_GLOBAL__N_121reflection_pad1d_flatIN3c107complexIdEEEEvPKT_PS6_lllll,@function
_ZN2at6native12_GLOBAL__N_121reflection_pad1d_flatIN3c107complexIdEEEEvPKT_PS6_lllll: ; @_ZN2at6native12_GLOBAL__N_121reflection_pad1d_flatIN3c107complexIdEEEEvPKT_PS6_lllll
; %bb.0:
	s_clause 0x1
	s_load_b32 s2, s[0:1], 0x44
	s_load_b128 s[16:19], s[0:1], 0x28
	v_mov_b32_e32 v2, 0
	s_add_u32 s12, s0, 56
	s_addc_u32 s13, s1, 0
	s_mov_b32 s22, 0
	s_mov_b32 s4, exec_lo
	v_mov_b32_e32 v1, v2
	s_waitcnt lgkmcnt(0)
	s_and_b32 s14, s2, 0xffff
	s_mul_i32 s2, s18, s17
	s_delay_alu instid0(VALU_DEP_1) | instskip(SKIP_1) | instid1(SALU_CYCLE_1)
	v_mad_u64_u32 v[4:5], null, s14, s15, v[0:1]
	s_mul_hi_u32 s3, s18, s16
	s_add_i32 s2, s3, s2
	s_mul_i32 s3, s19, s16
	s_delay_alu instid0(SALU_CYCLE_1)
	s_add_i32 s3, s2, s3
	s_mul_i32 s2, s18, s16
	s_delay_alu instid0(VALU_DEP_1) | instid1(SALU_CYCLE_1)
	v_cmpx_gt_i64_e64 s[2:3], v[4:5]
	s_cbranch_execz .LBB38_13
; %bb.1:
	s_load_b256 s[4:11], s[0:1], 0x0
	v_cvt_f32_u32_e32 v0, s16
	s_load_b32 s15, s[12:13], 0x0
	s_delay_alu instid0(VALU_DEP_1) | instskip(SKIP_4) | instid1(VALU_DEP_1)
	v_rcp_iflag_f32_e32 v0, v0
	s_waitcnt_depctr 0xfff
	v_mul_f32_e32 v0, 0x4f7ffffe, v0
	s_waitcnt lgkmcnt(0)
	s_lshl_b64 s[0:1], s[8:9], 1
	v_cvt_u32_f32_e32 v3, v0
	s_add_u32 s12, s0, -2
	s_addc_u32 s13, s1, -1
	s_sub_u32 s1, 0, s16
	s_subb_u32 s23, 0, s17
	s_sub_u32 s24, 0, s10
	s_subb_u32 s25, 0, s11
	s_sub_i32 s0, 0, s16
	v_lshlrev_b64 v[0:1], 4, v[4:5]
	v_mul_lo_u32 v6, s0, v3
	v_cmp_gt_i64_e64 s26, s[12:13], 0
	s_mul_hi_u32 s11, s14, s15
	s_mul_i32 s10, s14, s15
	s_ashr_i32 s14, s17, 31
	v_add_co_u32 v0, vcc_lo, s6, v0
	v_add_co_ci_u32_e32 v1, vcc_lo, s7, v1, vcc_lo
	s_delay_alu instid0(VALU_DEP_4) | instskip(SKIP_3) | instid1(VALU_DEP_1)
	v_mul_hi_u32 v6, v3, v6
	s_lshl_b64 s[6:7], s[10:11], 4
	s_ashr_i32 s18, s13, 31
	s_sub_i32 s27, 0, s12
	v_add_nc_u32_e32 v12, v3, v6
	s_branch .LBB38_4
.LBB38_2:                               ;   in Loop: Header=BB38_4 Depth=1
	s_or_b32 exec_lo, exec_lo, s0
	s_delay_alu instid0(VALU_DEP_1) | instskip(NEXT) | instid1(VALU_DEP_1)
	v_ashrrev_i32_e32 v3, 31, v11
	v_and_b32_e32 v8, s12, v3
	v_and_b32_e32 v3, s13, v3
	s_delay_alu instid0(VALU_DEP_2) | instskip(NEXT) | instid1(VALU_DEP_2)
	v_add_co_u32 v8, vcc_lo, v8, v10
	v_add_co_ci_u32_e32 v9, vcc_lo, v3, v11, vcc_lo
	s_delay_alu instid0(VALU_DEP_2) | instskip(NEXT) | instid1(VALU_DEP_2)
	v_sub_co_u32 v3, vcc_lo, s12, v8
	v_sub_co_ci_u32_e32 v10, vcc_lo, s13, v9, vcc_lo
	v_cmp_gt_i64_e32 vcc_lo, s[8:9], v[8:9]
	s_delay_alu instid0(VALU_DEP_2)
	v_dual_cndmask_b32 v9, v10, v9 :: v_dual_cndmask_b32 v8, v3, v8
.LBB38_3:                               ;   in Loop: Header=BB38_4 Depth=1
	v_mul_lo_u32 v3, v7, s8
	v_mul_lo_u32 v7, v6, s9
	v_mad_u64_u32 v[10:11], null, v6, s8, 0
	s_delay_alu instid0(VALU_DEP_4) | instskip(NEXT) | instid1(VALU_DEP_2)
	v_lshlrev_b64 v[8:9], 4, v[8:9]
	v_add3_u32 v11, v11, v7, v3
	s_delay_alu instid0(VALU_DEP_1) | instskip(NEXT) | instid1(VALU_DEP_1)
	v_lshlrev_b64 v[6:7], 4, v[10:11]
	v_add_co_u32 v3, vcc_lo, s4, v6
	s_delay_alu instid0(VALU_DEP_2) | instskip(NEXT) | instid1(VALU_DEP_2)
	v_add_co_ci_u32_e32 v7, vcc_lo, s5, v7, vcc_lo
	v_add_co_u32 v6, vcc_lo, v3, v8
	s_delay_alu instid0(VALU_DEP_2)
	v_add_co_ci_u32_e32 v7, vcc_lo, v7, v9, vcc_lo
	v_add_co_u32 v4, vcc_lo, v4, s10
	v_add_co_ci_u32_e32 v5, vcc_lo, s11, v5, vcc_lo
	global_load_b128 v[6:9], v[6:7], off
	v_cmp_le_i64_e32 vcc_lo, s[2:3], v[4:5]
	s_or_b32 s22, vcc_lo, s22
	s_waitcnt vmcnt(0)
	global_store_b128 v[0:1], v[6:9], off
	v_add_co_u32 v0, s0, v0, s6
	s_delay_alu instid0(VALU_DEP_1)
	v_add_co_ci_u32_e64 v1, s0, s7, v1, s0
	s_and_not1_b32 exec_lo, exec_lo, s22
	s_cbranch_execz .LBB38_13
.LBB38_4:                               ; =>This Inner Loop Header: Depth=1
	v_or_b32_e32 v3, s17, v5
                                        ; implicit-def: $vgpr6_vgpr7
	s_mov_b32 s0, exec_lo
	s_delay_alu instid0(VALU_DEP_1)
	v_cmpx_ne_u64_e32 0, v[2:3]
	s_xor_b32 s19, exec_lo, s0
	s_cbranch_execz .LBB38_6
; %bb.5:                                ;   in Loop: Header=BB38_4 Depth=1
	s_add_u32 s20, s16, s14
	s_mov_b32 s15, s14
	s_addc_u32 s21, s17, s14
	s_delay_alu instid0(SALU_CYCLE_1) | instskip(NEXT) | instid1(SALU_CYCLE_1)
	s_xor_b64 s[20:21], s[20:21], s[14:15]
	v_cvt_f32_u32_e32 v3, s20
	v_cvt_f32_u32_e32 v6, s21
	s_sub_u32 s0, 0, s20
	s_subb_u32 s15, 0, s21
	s_delay_alu instid0(VALU_DEP_1) | instskip(NEXT) | instid1(VALU_DEP_1)
	v_fmac_f32_e32 v3, 0x4f800000, v6
	v_rcp_f32_e32 v3, v3
	s_waitcnt_depctr 0xfff
	v_mul_f32_e32 v3, 0x5f7ffffc, v3
	s_delay_alu instid0(VALU_DEP_1) | instskip(NEXT) | instid1(VALU_DEP_1)
	v_mul_f32_e32 v6, 0x2f800000, v3
	v_trunc_f32_e32 v6, v6
	s_delay_alu instid0(VALU_DEP_1) | instskip(SKIP_1) | instid1(VALU_DEP_2)
	v_fmac_f32_e32 v3, 0xcf800000, v6
	v_cvt_u32_f32_e32 v6, v6
	v_cvt_u32_f32_e32 v3, v3
	s_delay_alu instid0(VALU_DEP_2) | instskip(NEXT) | instid1(VALU_DEP_2)
	v_mul_lo_u32 v7, s0, v6
	v_mul_hi_u32 v8, s0, v3
	v_mul_lo_u32 v9, s15, v3
	s_delay_alu instid0(VALU_DEP_2) | instskip(SKIP_1) | instid1(VALU_DEP_2)
	v_add_nc_u32_e32 v7, v8, v7
	v_mul_lo_u32 v8, s0, v3
	v_add_nc_u32_e32 v7, v7, v9
	s_delay_alu instid0(VALU_DEP_2) | instskip(NEXT) | instid1(VALU_DEP_2)
	v_mul_hi_u32 v9, v3, v8
	v_mul_lo_u32 v10, v3, v7
	v_mul_hi_u32 v11, v3, v7
	v_mul_hi_u32 v13, v6, v8
	v_mul_lo_u32 v8, v6, v8
	v_mul_hi_u32 v14, v6, v7
	v_mul_lo_u32 v7, v6, v7
	v_add_co_u32 v9, vcc_lo, v9, v10
	v_add_co_ci_u32_e32 v10, vcc_lo, 0, v11, vcc_lo
	s_delay_alu instid0(VALU_DEP_2) | instskip(NEXT) | instid1(VALU_DEP_2)
	v_add_co_u32 v8, vcc_lo, v9, v8
	v_add_co_ci_u32_e32 v8, vcc_lo, v10, v13, vcc_lo
	v_add_co_ci_u32_e32 v9, vcc_lo, 0, v14, vcc_lo
	v_ashrrev_i32_e32 v13, 31, v5
	s_delay_alu instid0(VALU_DEP_3) | instskip(NEXT) | instid1(VALU_DEP_3)
	v_add_co_u32 v7, vcc_lo, v8, v7
	v_add_co_ci_u32_e32 v8, vcc_lo, 0, v9, vcc_lo
	s_delay_alu instid0(VALU_DEP_2) | instskip(NEXT) | instid1(VALU_DEP_2)
	v_add_co_u32 v3, vcc_lo, v3, v7
	v_add_co_ci_u32_e32 v6, vcc_lo, v6, v8, vcc_lo
	s_delay_alu instid0(VALU_DEP_2) | instskip(SKIP_1) | instid1(VALU_DEP_3)
	v_mul_hi_u32 v7, s0, v3
	v_mul_lo_u32 v9, s15, v3
	v_mul_lo_u32 v8, s0, v6
	s_delay_alu instid0(VALU_DEP_1) | instskip(SKIP_1) | instid1(VALU_DEP_2)
	v_add_nc_u32_e32 v7, v7, v8
	v_mul_lo_u32 v8, s0, v3
	v_add_nc_u32_e32 v7, v7, v9
	s_delay_alu instid0(VALU_DEP_2) | instskip(NEXT) | instid1(VALU_DEP_2)
	v_mul_hi_u32 v9, v3, v8
	v_mul_lo_u32 v10, v3, v7
	v_mul_hi_u32 v11, v3, v7
	v_mul_hi_u32 v14, v6, v8
	v_mul_lo_u32 v8, v6, v8
	v_mul_hi_u32 v15, v6, v7
	v_mul_lo_u32 v7, v6, v7
	v_add_co_u32 v9, vcc_lo, v9, v10
	v_add_co_ci_u32_e32 v10, vcc_lo, 0, v11, vcc_lo
	s_delay_alu instid0(VALU_DEP_2) | instskip(NEXT) | instid1(VALU_DEP_2)
	v_add_co_u32 v8, vcc_lo, v9, v8
	v_add_co_ci_u32_e32 v8, vcc_lo, v10, v14, vcc_lo
	v_add_co_ci_u32_e32 v9, vcc_lo, 0, v15, vcc_lo
	v_add_co_u32 v10, vcc_lo, v4, v13
	v_add_co_ci_u32_e32 v11, vcc_lo, v5, v13, vcc_lo
	s_delay_alu instid0(VALU_DEP_4) | instskip(NEXT) | instid1(VALU_DEP_4)
	v_add_co_u32 v7, vcc_lo, v8, v7
	v_add_co_ci_u32_e32 v8, vcc_lo, 0, v9, vcc_lo
	s_delay_alu instid0(VALU_DEP_4) | instskip(NEXT) | instid1(VALU_DEP_3)
	v_xor_b32_e32 v14, v10, v13
	v_add_co_u32 v3, vcc_lo, v3, v7
	s_delay_alu instid0(VALU_DEP_3) | instskip(SKIP_1) | instid1(VALU_DEP_3)
	v_add_co_ci_u32_e32 v15, vcc_lo, v6, v8, vcc_lo
	v_xor_b32_e32 v16, v11, v13
	v_mul_hi_u32 v17, v14, v3
	s_delay_alu instid0(VALU_DEP_3) | instskip(NEXT) | instid1(VALU_DEP_3)
	v_mad_u64_u32 v[6:7], null, v14, v15, 0
	v_mad_u64_u32 v[8:9], null, v16, v3, 0
	;; [unrolled: 1-line block ×3, first 2 shown]
	s_delay_alu instid0(VALU_DEP_3) | instskip(NEXT) | instid1(VALU_DEP_4)
	v_add_co_u32 v3, vcc_lo, v17, v6
	v_add_co_ci_u32_e32 v6, vcc_lo, 0, v7, vcc_lo
	s_delay_alu instid0(VALU_DEP_2) | instskip(NEXT) | instid1(VALU_DEP_2)
	v_add_co_u32 v3, vcc_lo, v3, v8
	v_add_co_ci_u32_e32 v3, vcc_lo, v6, v9, vcc_lo
	v_add_co_ci_u32_e32 v6, vcc_lo, 0, v11, vcc_lo
	s_delay_alu instid0(VALU_DEP_2) | instskip(NEXT) | instid1(VALU_DEP_2)
	v_add_co_u32 v3, vcc_lo, v3, v10
	v_add_co_ci_u32_e32 v8, vcc_lo, 0, v6, vcc_lo
	s_delay_alu instid0(VALU_DEP_2) | instskip(SKIP_1) | instid1(VALU_DEP_3)
	v_mul_lo_u32 v9, s21, v3
	v_mad_u64_u32 v[6:7], null, s20, v3, 0
	v_mul_lo_u32 v10, s20, v8
	s_delay_alu instid0(VALU_DEP_2) | instskip(NEXT) | instid1(VALU_DEP_2)
	v_sub_co_u32 v6, vcc_lo, v14, v6
	v_add3_u32 v7, v7, v10, v9
	s_delay_alu instid0(VALU_DEP_1) | instskip(NEXT) | instid1(VALU_DEP_1)
	v_sub_nc_u32_e32 v9, v16, v7
	v_subrev_co_ci_u32_e64 v9, s0, s21, v9, vcc_lo
	v_add_co_u32 v10, s0, v3, 2
	s_delay_alu instid0(VALU_DEP_1) | instskip(SKIP_3) | instid1(VALU_DEP_3)
	v_add_co_ci_u32_e64 v11, s0, 0, v8, s0
	v_sub_co_u32 v14, s0, v6, s20
	v_sub_co_ci_u32_e32 v7, vcc_lo, v16, v7, vcc_lo
	v_subrev_co_ci_u32_e64 v9, s0, 0, v9, s0
	v_cmp_le_u32_e32 vcc_lo, s20, v14
	s_delay_alu instid0(VALU_DEP_3) | instskip(SKIP_1) | instid1(VALU_DEP_4)
	v_cmp_eq_u32_e64 s0, s21, v7
	v_cndmask_b32_e64 v14, 0, -1, vcc_lo
	v_cmp_le_u32_e32 vcc_lo, s21, v9
	v_cndmask_b32_e64 v15, 0, -1, vcc_lo
	v_cmp_le_u32_e32 vcc_lo, s20, v6
	;; [unrolled: 2-line block ×3, first 2 shown]
	v_cndmask_b32_e64 v16, 0, -1, vcc_lo
	v_cmp_eq_u32_e32 vcc_lo, s21, v9
	s_delay_alu instid0(VALU_DEP_2) | instskip(SKIP_3) | instid1(VALU_DEP_3)
	v_cndmask_b32_e64 v6, v16, v6, s0
	v_cndmask_b32_e32 v9, v15, v14, vcc_lo
	v_add_co_u32 v14, vcc_lo, v3, 1
	v_add_co_ci_u32_e32 v15, vcc_lo, 0, v8, vcc_lo
	v_cmp_ne_u32_e32 vcc_lo, 0, v9
	s_delay_alu instid0(VALU_DEP_2) | instskip(NEXT) | instid1(VALU_DEP_4)
	v_cndmask_b32_e32 v7, v15, v11, vcc_lo
	v_cndmask_b32_e32 v9, v14, v10, vcc_lo
	v_cmp_ne_u32_e32 vcc_lo, 0, v6
	v_xor_b32_e32 v10, s14, v13
	s_delay_alu instid0(VALU_DEP_3) | instskip(NEXT) | instid1(VALU_DEP_1)
	v_dual_cndmask_b32 v3, v3, v9 :: v_dual_cndmask_b32 v6, v8, v7
	v_xor_b32_e32 v3, v3, v10
	s_delay_alu instid0(VALU_DEP_2) | instskip(NEXT) | instid1(VALU_DEP_2)
	v_xor_b32_e32 v7, v6, v10
	v_sub_co_u32 v6, vcc_lo, v3, v10
	s_delay_alu instid0(VALU_DEP_2)
	v_sub_co_ci_u32_e32 v7, vcc_lo, v7, v10, vcc_lo
.LBB38_6:                               ;   in Loop: Header=BB38_4 Depth=1
	s_and_not1_saveexec_b32 s0, s19
; %bb.7:                                ;   in Loop: Header=BB38_4 Depth=1
	v_mul_hi_u32 v3, v4, v12
	s_delay_alu instid0(VALU_DEP_1) | instskip(NEXT) | instid1(VALU_DEP_1)
	v_mul_lo_u32 v6, v3, s16
	v_sub_nc_u32_e32 v6, v4, v6
	s_delay_alu instid0(VALU_DEP_1) | instskip(SKIP_1) | instid1(VALU_DEP_2)
	v_subrev_nc_u32_e32 v8, s16, v6
	v_cmp_le_u32_e32 vcc_lo, s16, v6
	v_dual_cndmask_b32 v6, v6, v8 :: v_dual_add_nc_u32 v7, 1, v3
	s_delay_alu instid0(VALU_DEP_1) | instskip(NEXT) | instid1(VALU_DEP_2)
	v_cndmask_b32_e32 v3, v3, v7, vcc_lo
	v_cmp_le_u32_e32 vcc_lo, s16, v6
	s_delay_alu instid0(VALU_DEP_2) | instskip(NEXT) | instid1(VALU_DEP_1)
	v_add_nc_u32_e32 v7, 1, v3
	v_dual_cndmask_b32 v6, v3, v7 :: v_dual_mov_b32 v7, v2
; %bb.8:                                ;   in Loop: Header=BB38_4 Depth=1
	s_or_b32 exec_lo, exec_lo, s0
	v_mov_b32_e32 v8, 0
	v_mov_b32_e32 v9, 0
	s_and_not1_b32 vcc_lo, exec_lo, s26
	s_cbranch_vccnz .LBB38_3
; %bb.9:                                ;   in Loop: Header=BB38_4 Depth=1
	v_add_co_u32 v10, vcc_lo, s24, v4
	v_add_co_ci_u32_e32 v11, vcc_lo, s25, v5, vcc_lo
	v_mul_lo_u32 v3, s1, v7
	v_mul_lo_u32 v13, s23, v6
	s_mov_b32 s0, exec_lo
	s_delay_alu instid0(VALU_DEP_3) | instskip(NEXT) | instid1(VALU_DEP_1)
	v_mad_u64_u32 v[8:9], null, s1, v6, v[10:11]
                                        ; implicit-def: $vgpr10_vgpr11
	v_add3_u32 v9, v13, v9, v3
	s_delay_alu instid0(VALU_DEP_1) | instskip(NEXT) | instid1(VALU_DEP_1)
	v_or_b32_e32 v3, s13, v9
	v_cmpx_ne_u64_e32 0, v[2:3]
	s_xor_b32 s15, exec_lo, s0
	s_cbranch_execz .LBB38_11
; %bb.10:                               ;   in Loop: Header=BB38_4 Depth=1
	s_add_u32 s20, s12, s18
	s_mov_b32 s19, s18
	s_addc_u32 s21, s13, s18
	s_delay_alu instid0(SALU_CYCLE_1) | instskip(NEXT) | instid1(SALU_CYCLE_1)
	s_xor_b64 s[20:21], s[20:21], s[18:19]
	v_cvt_f32_u32_e32 v3, s20
	v_cvt_f32_u32_e32 v10, s21
	s_sub_u32 s0, 0, s20
	s_subb_u32 s19, 0, s21
	s_delay_alu instid0(VALU_DEP_1) | instskip(NEXT) | instid1(VALU_DEP_1)
	v_fmac_f32_e32 v3, 0x4f800000, v10
	v_rcp_f32_e32 v3, v3
	s_waitcnt_depctr 0xfff
	v_mul_f32_e32 v3, 0x5f7ffffc, v3
	s_delay_alu instid0(VALU_DEP_1) | instskip(NEXT) | instid1(VALU_DEP_1)
	v_mul_f32_e32 v10, 0x2f800000, v3
	v_trunc_f32_e32 v10, v10
	s_delay_alu instid0(VALU_DEP_1) | instskip(SKIP_1) | instid1(VALU_DEP_2)
	v_fmac_f32_e32 v3, 0xcf800000, v10
	v_cvt_u32_f32_e32 v10, v10
	v_cvt_u32_f32_e32 v3, v3
	s_delay_alu instid0(VALU_DEP_2) | instskip(NEXT) | instid1(VALU_DEP_2)
	v_mul_lo_u32 v11, s0, v10
	v_mul_hi_u32 v13, s0, v3
	v_mul_lo_u32 v14, s19, v3
	s_delay_alu instid0(VALU_DEP_2) | instskip(SKIP_1) | instid1(VALU_DEP_2)
	v_add_nc_u32_e32 v11, v13, v11
	v_mul_lo_u32 v13, s0, v3
	v_add_nc_u32_e32 v11, v11, v14
	s_delay_alu instid0(VALU_DEP_2) | instskip(NEXT) | instid1(VALU_DEP_2)
	v_mul_hi_u32 v14, v3, v13
	v_mul_lo_u32 v15, v3, v11
	v_mul_hi_u32 v16, v3, v11
	v_mul_hi_u32 v17, v10, v13
	v_mul_lo_u32 v13, v10, v13
	v_mul_hi_u32 v18, v10, v11
	v_mul_lo_u32 v11, v10, v11
	v_add_co_u32 v14, vcc_lo, v14, v15
	v_add_co_ci_u32_e32 v15, vcc_lo, 0, v16, vcc_lo
	s_delay_alu instid0(VALU_DEP_2) | instskip(NEXT) | instid1(VALU_DEP_2)
	v_add_co_u32 v13, vcc_lo, v14, v13
	v_add_co_ci_u32_e32 v13, vcc_lo, v15, v17, vcc_lo
	v_add_co_ci_u32_e32 v14, vcc_lo, 0, v18, vcc_lo
	v_ashrrev_i32_e32 v17, 31, v9
	s_delay_alu instid0(VALU_DEP_3) | instskip(NEXT) | instid1(VALU_DEP_3)
	v_add_co_u32 v11, vcc_lo, v13, v11
	v_add_co_ci_u32_e32 v13, vcc_lo, 0, v14, vcc_lo
	s_delay_alu instid0(VALU_DEP_2) | instskip(NEXT) | instid1(VALU_DEP_2)
	v_add_co_u32 v3, vcc_lo, v3, v11
	v_add_co_ci_u32_e32 v10, vcc_lo, v10, v13, vcc_lo
	s_delay_alu instid0(VALU_DEP_2) | instskip(SKIP_1) | instid1(VALU_DEP_3)
	v_mul_hi_u32 v11, s0, v3
	v_mul_lo_u32 v14, s19, v3
	v_mul_lo_u32 v13, s0, v10
	s_delay_alu instid0(VALU_DEP_1) | instskip(SKIP_1) | instid1(VALU_DEP_2)
	v_add_nc_u32_e32 v11, v11, v13
	v_mul_lo_u32 v13, s0, v3
	v_add_nc_u32_e32 v11, v11, v14
	s_delay_alu instid0(VALU_DEP_2) | instskip(NEXT) | instid1(VALU_DEP_2)
	v_mul_hi_u32 v14, v3, v13
	v_mul_lo_u32 v15, v3, v11
	v_mul_hi_u32 v16, v3, v11
	v_mul_hi_u32 v18, v10, v13
	v_mul_lo_u32 v13, v10, v13
	v_mul_hi_u32 v19, v10, v11
	v_mul_lo_u32 v11, v10, v11
	v_add_co_u32 v14, vcc_lo, v14, v15
	v_add_co_ci_u32_e32 v15, vcc_lo, 0, v16, vcc_lo
	s_delay_alu instid0(VALU_DEP_2) | instskip(NEXT) | instid1(VALU_DEP_2)
	v_add_co_u32 v13, vcc_lo, v14, v13
	v_add_co_ci_u32_e32 v13, vcc_lo, v15, v18, vcc_lo
	v_add_co_ci_u32_e32 v14, vcc_lo, 0, v19, vcc_lo
	v_add_co_u32 v8, vcc_lo, v8, v17
	v_add_co_ci_u32_e32 v9, vcc_lo, v9, v17, vcc_lo
	s_delay_alu instid0(VALU_DEP_4) | instskip(NEXT) | instid1(VALU_DEP_4)
	v_add_co_u32 v11, vcc_lo, v13, v11
	v_add_co_ci_u32_e32 v13, vcc_lo, 0, v14, vcc_lo
	s_delay_alu instid0(VALU_DEP_4) | instskip(NEXT) | instid1(VALU_DEP_3)
	v_xor_b32_e32 v15, v8, v17
	v_add_co_u32 v3, vcc_lo, v3, v11
	s_delay_alu instid0(VALU_DEP_3) | instskip(SKIP_1) | instid1(VALU_DEP_3)
	v_add_co_ci_u32_e32 v16, vcc_lo, v10, v13, vcc_lo
	v_xor_b32_e32 v18, v9, v17
	v_mul_hi_u32 v19, v15, v3
	s_delay_alu instid0(VALU_DEP_3) | instskip(NEXT) | instid1(VALU_DEP_3)
	v_mad_u64_u32 v[8:9], null, v15, v16, 0
	v_mad_u64_u32 v[10:11], null, v18, v3, 0
	;; [unrolled: 1-line block ×3, first 2 shown]
	s_delay_alu instid0(VALU_DEP_3) | instskip(NEXT) | instid1(VALU_DEP_4)
	v_add_co_u32 v3, vcc_lo, v19, v8
	v_add_co_ci_u32_e32 v8, vcc_lo, 0, v9, vcc_lo
	s_delay_alu instid0(VALU_DEP_2) | instskip(NEXT) | instid1(VALU_DEP_2)
	v_add_co_u32 v3, vcc_lo, v3, v10
	v_add_co_ci_u32_e32 v3, vcc_lo, v8, v11, vcc_lo
	v_add_co_ci_u32_e32 v8, vcc_lo, 0, v14, vcc_lo
	s_delay_alu instid0(VALU_DEP_2) | instskip(NEXT) | instid1(VALU_DEP_2)
	v_add_co_u32 v3, vcc_lo, v3, v13
	v_add_co_ci_u32_e32 v10, vcc_lo, 0, v8, vcc_lo
	s_delay_alu instid0(VALU_DEP_2) | instskip(SKIP_1) | instid1(VALU_DEP_3)
	v_mul_lo_u32 v11, s21, v3
	v_mad_u64_u32 v[8:9], null, s20, v3, 0
	v_mul_lo_u32 v3, s20, v10
	s_delay_alu instid0(VALU_DEP_2) | instskip(NEXT) | instid1(VALU_DEP_2)
	v_sub_co_u32 v8, vcc_lo, v15, v8
	v_add3_u32 v3, v9, v3, v11
	s_delay_alu instid0(VALU_DEP_1) | instskip(NEXT) | instid1(VALU_DEP_1)
	v_sub_nc_u32_e32 v9, v18, v3
	v_subrev_co_ci_u32_e64 v9, s0, s21, v9, vcc_lo
	v_sub_co_ci_u32_e32 v3, vcc_lo, v18, v3, vcc_lo
	v_sub_co_u32 v10, vcc_lo, v8, s20
	s_delay_alu instid0(VALU_DEP_1) | instskip(SKIP_3) | instid1(VALU_DEP_3)
	v_subrev_co_ci_u32_e64 v11, s0, 0, v9, vcc_lo
	v_cmp_le_u32_e64 s0, s20, v8
	v_subrev_co_ci_u32_e32 v9, vcc_lo, s21, v9, vcc_lo
	v_cmp_le_u32_e32 vcc_lo, s21, v3
	v_cndmask_b32_e64 v13, 0, -1, s0
	v_cmp_le_u32_e64 s0, s20, v10
	v_cndmask_b32_e64 v16, 0, -1, vcc_lo
	v_cmp_eq_u32_e32 vcc_lo, s21, v11
	s_delay_alu instid0(VALU_DEP_3) | instskip(SKIP_1) | instid1(VALU_DEP_1)
	v_cndmask_b32_e64 v14, 0, -1, s0
	v_cmp_le_u32_e64 s0, s21, v11
	v_cndmask_b32_e64 v15, 0, -1, s0
	v_cmp_eq_u32_e64 s0, s21, v3
	s_delay_alu instid0(VALU_DEP_2) | instskip(SKIP_2) | instid1(VALU_DEP_3)
	v_cndmask_b32_e32 v14, v15, v14, vcc_lo
	v_sub_co_u32 v15, vcc_lo, v10, s20
	v_subrev_co_ci_u32_e32 v9, vcc_lo, 0, v9, vcc_lo
	v_cmp_ne_u32_e32 vcc_lo, 0, v14
	v_cndmask_b32_e64 v13, v16, v13, s0
	s_delay_alu instid0(VALU_DEP_3) | instskip(NEXT) | instid1(VALU_DEP_2)
	v_dual_cndmask_b32 v9, v11, v9 :: v_dual_cndmask_b32 v10, v10, v15
	v_cmp_ne_u32_e32 vcc_lo, 0, v13
	s_delay_alu instid0(VALU_DEP_2) | instskip(NEXT) | instid1(VALU_DEP_1)
	v_dual_cndmask_b32 v8, v8, v10 :: v_dual_cndmask_b32 v3, v3, v9
	v_xor_b32_e32 v8, v8, v17
	s_delay_alu instid0(VALU_DEP_2) | instskip(NEXT) | instid1(VALU_DEP_2)
	v_xor_b32_e32 v3, v3, v17
	v_sub_co_u32 v10, vcc_lo, v8, v17
	s_delay_alu instid0(VALU_DEP_2)
	v_sub_co_ci_u32_e32 v11, vcc_lo, v3, v17, vcc_lo
                                        ; implicit-def: $vgpr8_vgpr9
.LBB38_11:                              ;   in Loop: Header=BB38_4 Depth=1
	s_and_not1_saveexec_b32 s0, s15
	s_cbranch_execz .LBB38_2
; %bb.12:                               ;   in Loop: Header=BB38_4 Depth=1
	v_cvt_f32_u32_e32 v3, s12
	v_mov_b32_e32 v11, v2
	s_delay_alu instid0(VALU_DEP_2) | instskip(SKIP_2) | instid1(VALU_DEP_1)
	v_rcp_iflag_f32_e32 v3, v3
	s_waitcnt_depctr 0xfff
	v_mul_f32_e32 v3, 0x4f7ffffe, v3
	v_cvt_u32_f32_e32 v3, v3
	s_delay_alu instid0(VALU_DEP_1) | instskip(NEXT) | instid1(VALU_DEP_1)
	v_mul_lo_u32 v9, s27, v3
	v_mul_hi_u32 v9, v3, v9
	s_delay_alu instid0(VALU_DEP_1) | instskip(NEXT) | instid1(VALU_DEP_1)
	v_add_nc_u32_e32 v3, v3, v9
	v_mul_hi_u32 v3, v8, v3
	s_delay_alu instid0(VALU_DEP_1) | instskip(NEXT) | instid1(VALU_DEP_1)
	v_mul_lo_u32 v3, v3, s12
	v_sub_nc_u32_e32 v3, v8, v3
	s_delay_alu instid0(VALU_DEP_1) | instskip(SKIP_1) | instid1(VALU_DEP_2)
	v_subrev_nc_u32_e32 v8, s12, v3
	v_cmp_le_u32_e32 vcc_lo, s12, v3
	v_cndmask_b32_e32 v3, v3, v8, vcc_lo
	s_delay_alu instid0(VALU_DEP_1) | instskip(SKIP_1) | instid1(VALU_DEP_2)
	v_subrev_nc_u32_e32 v8, s12, v3
	v_cmp_le_u32_e32 vcc_lo, s12, v3
	v_cndmask_b32_e32 v10, v3, v8, vcc_lo
	s_branch .LBB38_2
.LBB38_13:
	s_nop 0
	s_sendmsg sendmsg(MSG_DEALLOC_VGPRS)
	s_endpgm
	.section	.rodata,"a",@progbits
	.p2align	6, 0x0
	.amdhsa_kernel _ZN2at6native12_GLOBAL__N_121reflection_pad1d_flatIN3c107complexIdEEEEvPKT_PS6_lllll
		.amdhsa_group_segment_fixed_size 0
		.amdhsa_private_segment_fixed_size 0
		.amdhsa_kernarg_size 312
		.amdhsa_user_sgpr_count 15
		.amdhsa_user_sgpr_dispatch_ptr 0
		.amdhsa_user_sgpr_queue_ptr 0
		.amdhsa_user_sgpr_kernarg_segment_ptr 1
		.amdhsa_user_sgpr_dispatch_id 0
		.amdhsa_user_sgpr_private_segment_size 0
		.amdhsa_wavefront_size32 1
		.amdhsa_uses_dynamic_stack 0
		.amdhsa_enable_private_segment 0
		.amdhsa_system_sgpr_workgroup_id_x 1
		.amdhsa_system_sgpr_workgroup_id_y 0
		.amdhsa_system_sgpr_workgroup_id_z 0
		.amdhsa_system_sgpr_workgroup_info 0
		.amdhsa_system_vgpr_workitem_id 0
		.amdhsa_next_free_vgpr 20
		.amdhsa_next_free_sgpr 28
		.amdhsa_reserve_vcc 1
		.amdhsa_float_round_mode_32 0
		.amdhsa_float_round_mode_16_64 0
		.amdhsa_float_denorm_mode_32 3
		.amdhsa_float_denorm_mode_16_64 3
		.amdhsa_dx10_clamp 1
		.amdhsa_ieee_mode 1
		.amdhsa_fp16_overflow 0
		.amdhsa_workgroup_processor_mode 1
		.amdhsa_memory_ordered 1
		.amdhsa_forward_progress 0
		.amdhsa_shared_vgpr_count 0
		.amdhsa_exception_fp_ieee_invalid_op 0
		.amdhsa_exception_fp_denorm_src 0
		.amdhsa_exception_fp_ieee_div_zero 0
		.amdhsa_exception_fp_ieee_overflow 0
		.amdhsa_exception_fp_ieee_underflow 0
		.amdhsa_exception_fp_ieee_inexact 0
		.amdhsa_exception_int_div_zero 0
	.end_amdhsa_kernel
	.section	.text._ZN2at6native12_GLOBAL__N_121reflection_pad1d_flatIN3c107complexIdEEEEvPKT_PS6_lllll,"axG",@progbits,_ZN2at6native12_GLOBAL__N_121reflection_pad1d_flatIN3c107complexIdEEEEvPKT_PS6_lllll,comdat
.Lfunc_end38:
	.size	_ZN2at6native12_GLOBAL__N_121reflection_pad1d_flatIN3c107complexIdEEEEvPKT_PS6_lllll, .Lfunc_end38-_ZN2at6native12_GLOBAL__N_121reflection_pad1d_flatIN3c107complexIdEEEEvPKT_PS6_lllll
                                        ; -- End function
	.section	.AMDGPU.csdata,"",@progbits
; Kernel info:
; codeLenInByte = 2464
; NumSgprs: 30
; NumVgprs: 20
; ScratchSize: 0
; MemoryBound: 0
; FloatMode: 240
; IeeeMode: 1
; LDSByteSize: 0 bytes/workgroup (compile time only)
; SGPRBlocks: 3
; VGPRBlocks: 2
; NumSGPRsForWavesPerEU: 30
; NumVGPRsForWavesPerEU: 20
; Occupancy: 16
; WaveLimiterHint : 0
; COMPUTE_PGM_RSRC2:SCRATCH_EN: 0
; COMPUTE_PGM_RSRC2:USER_SGPR: 15
; COMPUTE_PGM_RSRC2:TRAP_HANDLER: 0
; COMPUTE_PGM_RSRC2:TGID_X_EN: 1
; COMPUTE_PGM_RSRC2:TGID_Y_EN: 0
; COMPUTE_PGM_RSRC2:TGID_Z_EN: 0
; COMPUTE_PGM_RSRC2:TIDIG_COMP_CNT: 0
	.section	.text._ZN2at6native12_GLOBAL__N_127reflection_pad1d_out_kernelIN3c107complexIfEEEEvPKT_PS6_lll,"axG",@progbits,_ZN2at6native12_GLOBAL__N_127reflection_pad1d_out_kernelIN3c107complexIfEEEEvPKT_PS6_lll,comdat
	.globl	_ZN2at6native12_GLOBAL__N_127reflection_pad1d_out_kernelIN3c107complexIfEEEEvPKT_PS6_lll ; -- Begin function _ZN2at6native12_GLOBAL__N_127reflection_pad1d_out_kernelIN3c107complexIfEEEEvPKT_PS6_lll
	.p2align	8
	.type	_ZN2at6native12_GLOBAL__N_127reflection_pad1d_out_kernelIN3c107complexIfEEEEvPKT_PS6_lll,@function
_ZN2at6native12_GLOBAL__N_127reflection_pad1d_out_kernelIN3c107complexIfEEEEvPKT_PS6_lll: ; @_ZN2at6native12_GLOBAL__N_127reflection_pad1d_out_kernelIN3c107complexIfEEEEvPKT_PS6_lll
; %bb.0:
	s_clause 0x2
	s_load_b32 s12, s[0:1], 0x34
	s_load_b256 s[4:11], s[0:1], 0x0
	s_load_b64 s[16:17], s[0:1], 0x20
	v_mov_b32_e32 v1, 0
	s_add_u32 s2, s0, 40
	s_addc_u32 s3, s1, 0
	s_waitcnt lgkmcnt(0)
	s_and_b32 s0, s12, 0xffff
	s_add_u32 s12, s10, s8
	v_mad_u64_u32 v[2:3], null, s0, s13, v[0:1]
	s_addc_u32 s13, s11, s9
	s_add_u32 s0, s12, s16
	s_addc_u32 s1, s13, s17
	s_mov_b32 s16, exec_lo
	s_delay_alu instid0(VALU_DEP_1)
	v_cmpx_gt_i64_e64 s[0:1], v[2:3]
	s_cbranch_execz .LBB39_2
; %bb.1:
	s_load_b32 s16, s[2:3], 0x4
	v_sub_co_u32 v0, vcc_lo, v2, s12
	v_subrev_co_ci_u32_e32 v1, vcc_lo, s13, v3, vcc_lo
	v_sub_co_u32 v4, vcc_lo, v2, s10
	v_subrev_co_ci_u32_e32 v5, vcc_lo, s11, v3, vcc_lo
	s_delay_alu instid0(VALU_DEP_4) | instskip(NEXT) | instid1(VALU_DEP_4)
	v_add_co_u32 v0, vcc_lo, v0, 1
	v_add_co_ci_u32_e32 v1, vcc_lo, 0, v1, vcc_lo
	s_sub_u32 s2, 0, s10
	s_subb_u32 s3, 0, s11
	v_cmp_gt_i64_e64 s17, s[10:11], 0
	s_delay_alu instid0(VALU_DEP_2)
	v_ashrrev_i32_e32 v6, 31, v1
	v_ashrrev_i32_e32 v7, 31, v5
	s_waitcnt lgkmcnt(0)
	s_mul_i32 s15, s16, s15
	v_cmp_gt_i64_e64 s16, s[2:3], 0
	s_add_i32 s14, s15, s14
	v_xor_b32_e32 v0, v0, v6
	s_mul_i32 s9, s14, s9
	s_mul_hi_u32 s15, s14, s8
	s_mul_i32 s1, s1, s14
	s_mul_hi_u32 s18, s0, s14
	v_xor_b32_e32 v1, v1, v6
	s_add_i32 s9, s15, s9
	s_add_i32 s1, s18, s1
	s_and_b32 s15, s16, exec_lo
	s_cselect_b32 s15, s3, 0
	s_cselect_b32 s16, s2, 0
	s_and_b32 s2, s17, exec_lo
	v_sub_co_u32 v0, vcc_lo, v0, v6
	s_cselect_b32 s3, s11, 0
	s_cselect_b32 s2, s10, 0
	v_sub_co_ci_u32_e32 v1, vcc_lo, v1, v6, vcc_lo
	s_not_b64 s[2:3], s[2:3]
	s_add_u32 s10, s12, s10
	s_addc_u32 s11, s13, s11
	v_add_co_u32 v0, vcc_lo, v2, v0
	s_add_u32 s2, s10, s2
	s_addc_u32 s3, s11, s3
	v_add_co_ci_u32_e32 v1, vcc_lo, v3, v1, vcc_lo
	s_add_u32 s2, s2, s16
	v_xor_b32_e32 v4, v4, v7
	s_addc_u32 s3, s3, s15
	v_sub_co_u32 v0, vcc_lo, s2, v0
	v_xor_b32_e32 v5, v5, v7
	v_sub_co_ci_u32_e32 v1, vcc_lo, s3, v1, vcc_lo
	v_sub_co_u32 v4, vcc_lo, v4, v7
	s_delay_alu instid0(VALU_DEP_3) | instskip(NEXT) | instid1(VALU_DEP_3)
	v_sub_co_ci_u32_e32 v5, vcc_lo, v5, v7, vcc_lo
	v_lshlrev_b64 v[0:1], 3, v[0:1]
	s_mul_i32 s8, s14, s8
	s_mul_i32 s0, s0, s14
	s_delay_alu instid0(VALU_DEP_2)
	v_lshlrev_b64 v[4:5], 3, v[4:5]
	s_lshl_b64 s[2:3], s[8:9], 3
	v_lshlrev_b64 v[2:3], 3, v[2:3]
	v_add_co_u32 v0, vcc_lo, s4, v0
	v_add_co_ci_u32_e32 v1, vcc_lo, s5, v1, vcc_lo
	s_lshl_b64 s[0:1], s[0:1], 3
	s_delay_alu instid0(VALU_DEP_2) | instskip(NEXT) | instid1(VALU_DEP_2)
	v_add_co_u32 v0, vcc_lo, v0, v4
	v_add_co_ci_u32_e32 v1, vcc_lo, v1, v5, vcc_lo
	s_add_u32 s0, s6, s0
	s_delay_alu instid0(VALU_DEP_2) | instskip(NEXT) | instid1(VALU_DEP_2)
	v_add_co_u32 v0, vcc_lo, v0, s2
	v_add_co_ci_u32_e32 v1, vcc_lo, s3, v1, vcc_lo
	s_addc_u32 s1, s7, s1
	v_add_co_u32 v2, vcc_lo, s0, v2
	global_load_b64 v[0:1], v[0:1], off
	v_add_co_ci_u32_e32 v3, vcc_lo, s1, v3, vcc_lo
	s_waitcnt vmcnt(0)
	global_store_b64 v[2:3], v[0:1], off
.LBB39_2:
	s_nop 0
	s_sendmsg sendmsg(MSG_DEALLOC_VGPRS)
	s_endpgm
	.section	.rodata,"a",@progbits
	.p2align	6, 0x0
	.amdhsa_kernel _ZN2at6native12_GLOBAL__N_127reflection_pad1d_out_kernelIN3c107complexIfEEEEvPKT_PS6_lll
		.amdhsa_group_segment_fixed_size 0
		.amdhsa_private_segment_fixed_size 0
		.amdhsa_kernarg_size 296
		.amdhsa_user_sgpr_count 13
		.amdhsa_user_sgpr_dispatch_ptr 0
		.amdhsa_user_sgpr_queue_ptr 0
		.amdhsa_user_sgpr_kernarg_segment_ptr 1
		.amdhsa_user_sgpr_dispatch_id 0
		.amdhsa_user_sgpr_private_segment_size 0
		.amdhsa_wavefront_size32 1
		.amdhsa_uses_dynamic_stack 0
		.amdhsa_enable_private_segment 0
		.amdhsa_system_sgpr_workgroup_id_x 1
		.amdhsa_system_sgpr_workgroup_id_y 1
		.amdhsa_system_sgpr_workgroup_id_z 1
		.amdhsa_system_sgpr_workgroup_info 0
		.amdhsa_system_vgpr_workitem_id 0
		.amdhsa_next_free_vgpr 8
		.amdhsa_next_free_sgpr 19
		.amdhsa_reserve_vcc 1
		.amdhsa_float_round_mode_32 0
		.amdhsa_float_round_mode_16_64 0
		.amdhsa_float_denorm_mode_32 3
		.amdhsa_float_denorm_mode_16_64 3
		.amdhsa_dx10_clamp 1
		.amdhsa_ieee_mode 1
		.amdhsa_fp16_overflow 0
		.amdhsa_workgroup_processor_mode 1
		.amdhsa_memory_ordered 1
		.amdhsa_forward_progress 0
		.amdhsa_shared_vgpr_count 0
		.amdhsa_exception_fp_ieee_invalid_op 0
		.amdhsa_exception_fp_denorm_src 0
		.amdhsa_exception_fp_ieee_div_zero 0
		.amdhsa_exception_fp_ieee_overflow 0
		.amdhsa_exception_fp_ieee_underflow 0
		.amdhsa_exception_fp_ieee_inexact 0
		.amdhsa_exception_int_div_zero 0
	.end_amdhsa_kernel
	.section	.text._ZN2at6native12_GLOBAL__N_127reflection_pad1d_out_kernelIN3c107complexIfEEEEvPKT_PS6_lll,"axG",@progbits,_ZN2at6native12_GLOBAL__N_127reflection_pad1d_out_kernelIN3c107complexIfEEEEvPKT_PS6_lll,comdat
.Lfunc_end39:
	.size	_ZN2at6native12_GLOBAL__N_127reflection_pad1d_out_kernelIN3c107complexIfEEEEvPKT_PS6_lll, .Lfunc_end39-_ZN2at6native12_GLOBAL__N_127reflection_pad1d_out_kernelIN3c107complexIfEEEEvPKT_PS6_lll
                                        ; -- End function
	.section	.AMDGPU.csdata,"",@progbits
; Kernel info:
; codeLenInByte = 476
; NumSgprs: 21
; NumVgprs: 8
; ScratchSize: 0
; MemoryBound: 0
; FloatMode: 240
; IeeeMode: 1
; LDSByteSize: 0 bytes/workgroup (compile time only)
; SGPRBlocks: 2
; VGPRBlocks: 0
; NumSGPRsForWavesPerEU: 21
; NumVGPRsForWavesPerEU: 8
; Occupancy: 16
; WaveLimiterHint : 0
; COMPUTE_PGM_RSRC2:SCRATCH_EN: 0
; COMPUTE_PGM_RSRC2:USER_SGPR: 13
; COMPUTE_PGM_RSRC2:TRAP_HANDLER: 0
; COMPUTE_PGM_RSRC2:TGID_X_EN: 1
; COMPUTE_PGM_RSRC2:TGID_Y_EN: 1
; COMPUTE_PGM_RSRC2:TGID_Z_EN: 1
; COMPUTE_PGM_RSRC2:TIDIG_COMP_CNT: 0
	.section	.text._ZN2at6native12_GLOBAL__N_121reflection_pad1d_flatIN3c107complexIfEEEEvPKT_PS6_lllll,"axG",@progbits,_ZN2at6native12_GLOBAL__N_121reflection_pad1d_flatIN3c107complexIfEEEEvPKT_PS6_lllll,comdat
	.globl	_ZN2at6native12_GLOBAL__N_121reflection_pad1d_flatIN3c107complexIfEEEEvPKT_PS6_lllll ; -- Begin function _ZN2at6native12_GLOBAL__N_121reflection_pad1d_flatIN3c107complexIfEEEEvPKT_PS6_lllll
	.p2align	8
	.type	_ZN2at6native12_GLOBAL__N_121reflection_pad1d_flatIN3c107complexIfEEEEvPKT_PS6_lllll,@function
_ZN2at6native12_GLOBAL__N_121reflection_pad1d_flatIN3c107complexIfEEEEvPKT_PS6_lllll: ; @_ZN2at6native12_GLOBAL__N_121reflection_pad1d_flatIN3c107complexIfEEEEvPKT_PS6_lllll
; %bb.0:
	s_clause 0x1
	s_load_b32 s2, s[0:1], 0x44
	s_load_b128 s[16:19], s[0:1], 0x28
	v_mov_b32_e32 v2, 0
	s_add_u32 s12, s0, 56
	s_addc_u32 s13, s1, 0
	s_mov_b32 s22, 0
	s_mov_b32 s4, exec_lo
	v_mov_b32_e32 v1, v2
	s_waitcnt lgkmcnt(0)
	s_and_b32 s14, s2, 0xffff
	s_mul_i32 s2, s18, s17
	s_delay_alu instid0(VALU_DEP_1) | instskip(SKIP_1) | instid1(SALU_CYCLE_1)
	v_mad_u64_u32 v[4:5], null, s14, s15, v[0:1]
	s_mul_hi_u32 s3, s18, s16
	s_add_i32 s2, s3, s2
	s_mul_i32 s3, s19, s16
	s_delay_alu instid0(SALU_CYCLE_1)
	s_add_i32 s3, s2, s3
	s_mul_i32 s2, s18, s16
	s_delay_alu instid0(VALU_DEP_1) | instid1(SALU_CYCLE_1)
	v_cmpx_gt_i64_e64 s[2:3], v[4:5]
	s_cbranch_execz .LBB40_13
; %bb.1:
	s_load_b256 s[4:11], s[0:1], 0x0
	v_cvt_f32_u32_e32 v0, s16
	s_load_b32 s15, s[12:13], 0x0
	s_delay_alu instid0(VALU_DEP_1) | instskip(SKIP_4) | instid1(VALU_DEP_1)
	v_rcp_iflag_f32_e32 v0, v0
	s_waitcnt_depctr 0xfff
	v_mul_f32_e32 v0, 0x4f7ffffe, v0
	s_waitcnt lgkmcnt(0)
	s_lshl_b64 s[0:1], s[8:9], 1
	v_cvt_u32_f32_e32 v3, v0
	s_add_u32 s12, s0, -2
	s_addc_u32 s13, s1, -1
	s_sub_u32 s1, 0, s16
	s_subb_u32 s23, 0, s17
	s_sub_u32 s24, 0, s10
	s_subb_u32 s25, 0, s11
	s_sub_i32 s0, 0, s16
	v_lshlrev_b64 v[0:1], 3, v[4:5]
	v_mul_lo_u32 v6, s0, v3
	v_cmp_gt_i64_e64 s26, s[12:13], 0
	s_mul_hi_u32 s11, s14, s15
	s_mul_i32 s10, s14, s15
	s_ashr_i32 s14, s17, 31
	v_add_co_u32 v0, vcc_lo, s6, v0
	v_add_co_ci_u32_e32 v1, vcc_lo, s7, v1, vcc_lo
	s_delay_alu instid0(VALU_DEP_4) | instskip(SKIP_3) | instid1(VALU_DEP_1)
	v_mul_hi_u32 v6, v3, v6
	s_lshl_b64 s[6:7], s[10:11], 3
	s_ashr_i32 s18, s13, 31
	s_sub_i32 s27, 0, s12
	v_add_nc_u32_e32 v12, v3, v6
	s_branch .LBB40_4
.LBB40_2:                               ;   in Loop: Header=BB40_4 Depth=1
	s_or_b32 exec_lo, exec_lo, s0
	s_delay_alu instid0(VALU_DEP_1) | instskip(NEXT) | instid1(VALU_DEP_1)
	v_ashrrev_i32_e32 v3, 31, v11
	v_and_b32_e32 v8, s12, v3
	v_and_b32_e32 v3, s13, v3
	s_delay_alu instid0(VALU_DEP_2) | instskip(NEXT) | instid1(VALU_DEP_2)
	v_add_co_u32 v8, vcc_lo, v8, v10
	v_add_co_ci_u32_e32 v9, vcc_lo, v3, v11, vcc_lo
	s_delay_alu instid0(VALU_DEP_2) | instskip(NEXT) | instid1(VALU_DEP_2)
	v_sub_co_u32 v3, vcc_lo, s12, v8
	v_sub_co_ci_u32_e32 v10, vcc_lo, s13, v9, vcc_lo
	v_cmp_gt_i64_e32 vcc_lo, s[8:9], v[8:9]
	s_delay_alu instid0(VALU_DEP_2)
	v_dual_cndmask_b32 v9, v10, v9 :: v_dual_cndmask_b32 v8, v3, v8
.LBB40_3:                               ;   in Loop: Header=BB40_4 Depth=1
	v_mul_lo_u32 v3, v7, s8
	v_mul_lo_u32 v7, v6, s9
	v_mad_u64_u32 v[10:11], null, v6, s8, 0
	s_delay_alu instid0(VALU_DEP_4) | instskip(NEXT) | instid1(VALU_DEP_2)
	v_lshlrev_b64 v[8:9], 3, v[8:9]
	v_add3_u32 v11, v11, v7, v3
	s_delay_alu instid0(VALU_DEP_1) | instskip(NEXT) | instid1(VALU_DEP_1)
	v_lshlrev_b64 v[6:7], 3, v[10:11]
	v_add_co_u32 v3, vcc_lo, s4, v6
	s_delay_alu instid0(VALU_DEP_2) | instskip(NEXT) | instid1(VALU_DEP_2)
	v_add_co_ci_u32_e32 v7, vcc_lo, s5, v7, vcc_lo
	v_add_co_u32 v6, vcc_lo, v3, v8
	s_delay_alu instid0(VALU_DEP_2)
	v_add_co_ci_u32_e32 v7, vcc_lo, v7, v9, vcc_lo
	v_add_co_u32 v4, vcc_lo, v4, s10
	v_add_co_ci_u32_e32 v5, vcc_lo, s11, v5, vcc_lo
	global_load_b64 v[6:7], v[6:7], off
	v_cmp_le_i64_e32 vcc_lo, s[2:3], v[4:5]
	s_or_b32 s22, vcc_lo, s22
	s_waitcnt vmcnt(0)
	global_store_b64 v[0:1], v[6:7], off
	v_add_co_u32 v0, s0, v0, s6
	s_delay_alu instid0(VALU_DEP_1)
	v_add_co_ci_u32_e64 v1, s0, s7, v1, s0
	s_and_not1_b32 exec_lo, exec_lo, s22
	s_cbranch_execz .LBB40_13
.LBB40_4:                               ; =>This Inner Loop Header: Depth=1
	v_or_b32_e32 v3, s17, v5
                                        ; implicit-def: $vgpr6_vgpr7
	s_mov_b32 s0, exec_lo
	s_delay_alu instid0(VALU_DEP_1)
	v_cmpx_ne_u64_e32 0, v[2:3]
	s_xor_b32 s19, exec_lo, s0
	s_cbranch_execz .LBB40_6
; %bb.5:                                ;   in Loop: Header=BB40_4 Depth=1
	s_add_u32 s20, s16, s14
	s_mov_b32 s15, s14
	s_addc_u32 s21, s17, s14
	s_delay_alu instid0(SALU_CYCLE_1) | instskip(NEXT) | instid1(SALU_CYCLE_1)
	s_xor_b64 s[20:21], s[20:21], s[14:15]
	v_cvt_f32_u32_e32 v3, s20
	v_cvt_f32_u32_e32 v6, s21
	s_sub_u32 s0, 0, s20
	s_subb_u32 s15, 0, s21
	s_delay_alu instid0(VALU_DEP_1) | instskip(NEXT) | instid1(VALU_DEP_1)
	v_fmac_f32_e32 v3, 0x4f800000, v6
	v_rcp_f32_e32 v3, v3
	s_waitcnt_depctr 0xfff
	v_mul_f32_e32 v3, 0x5f7ffffc, v3
	s_delay_alu instid0(VALU_DEP_1) | instskip(NEXT) | instid1(VALU_DEP_1)
	v_mul_f32_e32 v6, 0x2f800000, v3
	v_trunc_f32_e32 v6, v6
	s_delay_alu instid0(VALU_DEP_1) | instskip(SKIP_1) | instid1(VALU_DEP_2)
	v_fmac_f32_e32 v3, 0xcf800000, v6
	v_cvt_u32_f32_e32 v6, v6
	v_cvt_u32_f32_e32 v3, v3
	s_delay_alu instid0(VALU_DEP_2) | instskip(NEXT) | instid1(VALU_DEP_2)
	v_mul_lo_u32 v7, s0, v6
	v_mul_hi_u32 v8, s0, v3
	v_mul_lo_u32 v9, s15, v3
	s_delay_alu instid0(VALU_DEP_2) | instskip(SKIP_1) | instid1(VALU_DEP_2)
	v_add_nc_u32_e32 v7, v8, v7
	v_mul_lo_u32 v8, s0, v3
	v_add_nc_u32_e32 v7, v7, v9
	s_delay_alu instid0(VALU_DEP_2) | instskip(NEXT) | instid1(VALU_DEP_2)
	v_mul_hi_u32 v9, v3, v8
	v_mul_lo_u32 v10, v3, v7
	v_mul_hi_u32 v11, v3, v7
	v_mul_hi_u32 v13, v6, v8
	v_mul_lo_u32 v8, v6, v8
	v_mul_hi_u32 v14, v6, v7
	v_mul_lo_u32 v7, v6, v7
	v_add_co_u32 v9, vcc_lo, v9, v10
	v_add_co_ci_u32_e32 v10, vcc_lo, 0, v11, vcc_lo
	s_delay_alu instid0(VALU_DEP_2) | instskip(NEXT) | instid1(VALU_DEP_2)
	v_add_co_u32 v8, vcc_lo, v9, v8
	v_add_co_ci_u32_e32 v8, vcc_lo, v10, v13, vcc_lo
	v_add_co_ci_u32_e32 v9, vcc_lo, 0, v14, vcc_lo
	v_ashrrev_i32_e32 v13, 31, v5
	s_delay_alu instid0(VALU_DEP_3) | instskip(NEXT) | instid1(VALU_DEP_3)
	v_add_co_u32 v7, vcc_lo, v8, v7
	v_add_co_ci_u32_e32 v8, vcc_lo, 0, v9, vcc_lo
	s_delay_alu instid0(VALU_DEP_2) | instskip(NEXT) | instid1(VALU_DEP_2)
	v_add_co_u32 v3, vcc_lo, v3, v7
	v_add_co_ci_u32_e32 v6, vcc_lo, v6, v8, vcc_lo
	s_delay_alu instid0(VALU_DEP_2) | instskip(SKIP_1) | instid1(VALU_DEP_3)
	v_mul_hi_u32 v7, s0, v3
	v_mul_lo_u32 v9, s15, v3
	v_mul_lo_u32 v8, s0, v6
	s_delay_alu instid0(VALU_DEP_1) | instskip(SKIP_1) | instid1(VALU_DEP_2)
	v_add_nc_u32_e32 v7, v7, v8
	v_mul_lo_u32 v8, s0, v3
	v_add_nc_u32_e32 v7, v7, v9
	s_delay_alu instid0(VALU_DEP_2) | instskip(NEXT) | instid1(VALU_DEP_2)
	v_mul_hi_u32 v9, v3, v8
	v_mul_lo_u32 v10, v3, v7
	v_mul_hi_u32 v11, v3, v7
	v_mul_hi_u32 v14, v6, v8
	v_mul_lo_u32 v8, v6, v8
	v_mul_hi_u32 v15, v6, v7
	v_mul_lo_u32 v7, v6, v7
	v_add_co_u32 v9, vcc_lo, v9, v10
	v_add_co_ci_u32_e32 v10, vcc_lo, 0, v11, vcc_lo
	s_delay_alu instid0(VALU_DEP_2) | instskip(NEXT) | instid1(VALU_DEP_2)
	v_add_co_u32 v8, vcc_lo, v9, v8
	v_add_co_ci_u32_e32 v8, vcc_lo, v10, v14, vcc_lo
	v_add_co_ci_u32_e32 v9, vcc_lo, 0, v15, vcc_lo
	v_add_co_u32 v10, vcc_lo, v4, v13
	v_add_co_ci_u32_e32 v11, vcc_lo, v5, v13, vcc_lo
	s_delay_alu instid0(VALU_DEP_4) | instskip(NEXT) | instid1(VALU_DEP_4)
	v_add_co_u32 v7, vcc_lo, v8, v7
	v_add_co_ci_u32_e32 v8, vcc_lo, 0, v9, vcc_lo
	s_delay_alu instid0(VALU_DEP_4) | instskip(NEXT) | instid1(VALU_DEP_3)
	v_xor_b32_e32 v14, v10, v13
	v_add_co_u32 v3, vcc_lo, v3, v7
	s_delay_alu instid0(VALU_DEP_3) | instskip(SKIP_1) | instid1(VALU_DEP_3)
	v_add_co_ci_u32_e32 v15, vcc_lo, v6, v8, vcc_lo
	v_xor_b32_e32 v16, v11, v13
	v_mul_hi_u32 v17, v14, v3
	s_delay_alu instid0(VALU_DEP_3) | instskip(NEXT) | instid1(VALU_DEP_3)
	v_mad_u64_u32 v[6:7], null, v14, v15, 0
	v_mad_u64_u32 v[8:9], null, v16, v3, 0
	;; [unrolled: 1-line block ×3, first 2 shown]
	s_delay_alu instid0(VALU_DEP_3) | instskip(NEXT) | instid1(VALU_DEP_4)
	v_add_co_u32 v3, vcc_lo, v17, v6
	v_add_co_ci_u32_e32 v6, vcc_lo, 0, v7, vcc_lo
	s_delay_alu instid0(VALU_DEP_2) | instskip(NEXT) | instid1(VALU_DEP_2)
	v_add_co_u32 v3, vcc_lo, v3, v8
	v_add_co_ci_u32_e32 v3, vcc_lo, v6, v9, vcc_lo
	v_add_co_ci_u32_e32 v6, vcc_lo, 0, v11, vcc_lo
	s_delay_alu instid0(VALU_DEP_2) | instskip(NEXT) | instid1(VALU_DEP_2)
	v_add_co_u32 v3, vcc_lo, v3, v10
	v_add_co_ci_u32_e32 v8, vcc_lo, 0, v6, vcc_lo
	s_delay_alu instid0(VALU_DEP_2) | instskip(SKIP_1) | instid1(VALU_DEP_3)
	v_mul_lo_u32 v9, s21, v3
	v_mad_u64_u32 v[6:7], null, s20, v3, 0
	v_mul_lo_u32 v10, s20, v8
	s_delay_alu instid0(VALU_DEP_2) | instskip(NEXT) | instid1(VALU_DEP_2)
	v_sub_co_u32 v6, vcc_lo, v14, v6
	v_add3_u32 v7, v7, v10, v9
	s_delay_alu instid0(VALU_DEP_1) | instskip(NEXT) | instid1(VALU_DEP_1)
	v_sub_nc_u32_e32 v9, v16, v7
	v_subrev_co_ci_u32_e64 v9, s0, s21, v9, vcc_lo
	v_add_co_u32 v10, s0, v3, 2
	s_delay_alu instid0(VALU_DEP_1) | instskip(SKIP_3) | instid1(VALU_DEP_3)
	v_add_co_ci_u32_e64 v11, s0, 0, v8, s0
	v_sub_co_u32 v14, s0, v6, s20
	v_sub_co_ci_u32_e32 v7, vcc_lo, v16, v7, vcc_lo
	v_subrev_co_ci_u32_e64 v9, s0, 0, v9, s0
	v_cmp_le_u32_e32 vcc_lo, s20, v14
	s_delay_alu instid0(VALU_DEP_3) | instskip(SKIP_1) | instid1(VALU_DEP_4)
	v_cmp_eq_u32_e64 s0, s21, v7
	v_cndmask_b32_e64 v14, 0, -1, vcc_lo
	v_cmp_le_u32_e32 vcc_lo, s21, v9
	v_cndmask_b32_e64 v15, 0, -1, vcc_lo
	v_cmp_le_u32_e32 vcc_lo, s20, v6
	;; [unrolled: 2-line block ×3, first 2 shown]
	v_cndmask_b32_e64 v16, 0, -1, vcc_lo
	v_cmp_eq_u32_e32 vcc_lo, s21, v9
	s_delay_alu instid0(VALU_DEP_2) | instskip(SKIP_3) | instid1(VALU_DEP_3)
	v_cndmask_b32_e64 v6, v16, v6, s0
	v_cndmask_b32_e32 v9, v15, v14, vcc_lo
	v_add_co_u32 v14, vcc_lo, v3, 1
	v_add_co_ci_u32_e32 v15, vcc_lo, 0, v8, vcc_lo
	v_cmp_ne_u32_e32 vcc_lo, 0, v9
	s_delay_alu instid0(VALU_DEP_2) | instskip(NEXT) | instid1(VALU_DEP_4)
	v_cndmask_b32_e32 v7, v15, v11, vcc_lo
	v_cndmask_b32_e32 v9, v14, v10, vcc_lo
	v_cmp_ne_u32_e32 vcc_lo, 0, v6
	v_xor_b32_e32 v10, s14, v13
	s_delay_alu instid0(VALU_DEP_3) | instskip(NEXT) | instid1(VALU_DEP_1)
	v_dual_cndmask_b32 v3, v3, v9 :: v_dual_cndmask_b32 v6, v8, v7
	v_xor_b32_e32 v3, v3, v10
	s_delay_alu instid0(VALU_DEP_2) | instskip(NEXT) | instid1(VALU_DEP_2)
	v_xor_b32_e32 v7, v6, v10
	v_sub_co_u32 v6, vcc_lo, v3, v10
	s_delay_alu instid0(VALU_DEP_2)
	v_sub_co_ci_u32_e32 v7, vcc_lo, v7, v10, vcc_lo
.LBB40_6:                               ;   in Loop: Header=BB40_4 Depth=1
	s_and_not1_saveexec_b32 s0, s19
; %bb.7:                                ;   in Loop: Header=BB40_4 Depth=1
	v_mul_hi_u32 v3, v4, v12
	s_delay_alu instid0(VALU_DEP_1) | instskip(NEXT) | instid1(VALU_DEP_1)
	v_mul_lo_u32 v6, v3, s16
	v_sub_nc_u32_e32 v6, v4, v6
	s_delay_alu instid0(VALU_DEP_1) | instskip(SKIP_1) | instid1(VALU_DEP_2)
	v_subrev_nc_u32_e32 v8, s16, v6
	v_cmp_le_u32_e32 vcc_lo, s16, v6
	v_dual_cndmask_b32 v6, v6, v8 :: v_dual_add_nc_u32 v7, 1, v3
	s_delay_alu instid0(VALU_DEP_1) | instskip(NEXT) | instid1(VALU_DEP_2)
	v_cndmask_b32_e32 v3, v3, v7, vcc_lo
	v_cmp_le_u32_e32 vcc_lo, s16, v6
	s_delay_alu instid0(VALU_DEP_2) | instskip(NEXT) | instid1(VALU_DEP_1)
	v_add_nc_u32_e32 v7, 1, v3
	v_dual_cndmask_b32 v6, v3, v7 :: v_dual_mov_b32 v7, v2
; %bb.8:                                ;   in Loop: Header=BB40_4 Depth=1
	s_or_b32 exec_lo, exec_lo, s0
	v_mov_b32_e32 v8, 0
	v_mov_b32_e32 v9, 0
	s_and_not1_b32 vcc_lo, exec_lo, s26
	s_cbranch_vccnz .LBB40_3
; %bb.9:                                ;   in Loop: Header=BB40_4 Depth=1
	v_add_co_u32 v10, vcc_lo, s24, v4
	v_add_co_ci_u32_e32 v11, vcc_lo, s25, v5, vcc_lo
	v_mul_lo_u32 v3, s1, v7
	v_mul_lo_u32 v13, s23, v6
	s_mov_b32 s0, exec_lo
	s_delay_alu instid0(VALU_DEP_3) | instskip(NEXT) | instid1(VALU_DEP_1)
	v_mad_u64_u32 v[8:9], null, s1, v6, v[10:11]
                                        ; implicit-def: $vgpr10_vgpr11
	v_add3_u32 v9, v13, v9, v3
	s_delay_alu instid0(VALU_DEP_1) | instskip(NEXT) | instid1(VALU_DEP_1)
	v_or_b32_e32 v3, s13, v9
	v_cmpx_ne_u64_e32 0, v[2:3]
	s_xor_b32 s15, exec_lo, s0
	s_cbranch_execz .LBB40_11
; %bb.10:                               ;   in Loop: Header=BB40_4 Depth=1
	s_add_u32 s20, s12, s18
	s_mov_b32 s19, s18
	s_addc_u32 s21, s13, s18
	s_delay_alu instid0(SALU_CYCLE_1) | instskip(NEXT) | instid1(SALU_CYCLE_1)
	s_xor_b64 s[20:21], s[20:21], s[18:19]
	v_cvt_f32_u32_e32 v3, s20
	v_cvt_f32_u32_e32 v10, s21
	s_sub_u32 s0, 0, s20
	s_subb_u32 s19, 0, s21
	s_delay_alu instid0(VALU_DEP_1) | instskip(NEXT) | instid1(VALU_DEP_1)
	v_fmac_f32_e32 v3, 0x4f800000, v10
	v_rcp_f32_e32 v3, v3
	s_waitcnt_depctr 0xfff
	v_mul_f32_e32 v3, 0x5f7ffffc, v3
	s_delay_alu instid0(VALU_DEP_1) | instskip(NEXT) | instid1(VALU_DEP_1)
	v_mul_f32_e32 v10, 0x2f800000, v3
	v_trunc_f32_e32 v10, v10
	s_delay_alu instid0(VALU_DEP_1) | instskip(SKIP_1) | instid1(VALU_DEP_2)
	v_fmac_f32_e32 v3, 0xcf800000, v10
	v_cvt_u32_f32_e32 v10, v10
	v_cvt_u32_f32_e32 v3, v3
	s_delay_alu instid0(VALU_DEP_2) | instskip(NEXT) | instid1(VALU_DEP_2)
	v_mul_lo_u32 v11, s0, v10
	v_mul_hi_u32 v13, s0, v3
	v_mul_lo_u32 v14, s19, v3
	s_delay_alu instid0(VALU_DEP_2) | instskip(SKIP_1) | instid1(VALU_DEP_2)
	v_add_nc_u32_e32 v11, v13, v11
	v_mul_lo_u32 v13, s0, v3
	v_add_nc_u32_e32 v11, v11, v14
	s_delay_alu instid0(VALU_DEP_2) | instskip(NEXT) | instid1(VALU_DEP_2)
	v_mul_hi_u32 v14, v3, v13
	v_mul_lo_u32 v15, v3, v11
	v_mul_hi_u32 v16, v3, v11
	v_mul_hi_u32 v17, v10, v13
	v_mul_lo_u32 v13, v10, v13
	v_mul_hi_u32 v18, v10, v11
	v_mul_lo_u32 v11, v10, v11
	v_add_co_u32 v14, vcc_lo, v14, v15
	v_add_co_ci_u32_e32 v15, vcc_lo, 0, v16, vcc_lo
	s_delay_alu instid0(VALU_DEP_2) | instskip(NEXT) | instid1(VALU_DEP_2)
	v_add_co_u32 v13, vcc_lo, v14, v13
	v_add_co_ci_u32_e32 v13, vcc_lo, v15, v17, vcc_lo
	v_add_co_ci_u32_e32 v14, vcc_lo, 0, v18, vcc_lo
	v_ashrrev_i32_e32 v17, 31, v9
	s_delay_alu instid0(VALU_DEP_3) | instskip(NEXT) | instid1(VALU_DEP_3)
	v_add_co_u32 v11, vcc_lo, v13, v11
	v_add_co_ci_u32_e32 v13, vcc_lo, 0, v14, vcc_lo
	s_delay_alu instid0(VALU_DEP_2) | instskip(NEXT) | instid1(VALU_DEP_2)
	v_add_co_u32 v3, vcc_lo, v3, v11
	v_add_co_ci_u32_e32 v10, vcc_lo, v10, v13, vcc_lo
	s_delay_alu instid0(VALU_DEP_2) | instskip(SKIP_1) | instid1(VALU_DEP_3)
	v_mul_hi_u32 v11, s0, v3
	v_mul_lo_u32 v14, s19, v3
	v_mul_lo_u32 v13, s0, v10
	s_delay_alu instid0(VALU_DEP_1) | instskip(SKIP_1) | instid1(VALU_DEP_2)
	v_add_nc_u32_e32 v11, v11, v13
	v_mul_lo_u32 v13, s0, v3
	v_add_nc_u32_e32 v11, v11, v14
	s_delay_alu instid0(VALU_DEP_2) | instskip(NEXT) | instid1(VALU_DEP_2)
	v_mul_hi_u32 v14, v3, v13
	v_mul_lo_u32 v15, v3, v11
	v_mul_hi_u32 v16, v3, v11
	v_mul_hi_u32 v18, v10, v13
	v_mul_lo_u32 v13, v10, v13
	v_mul_hi_u32 v19, v10, v11
	v_mul_lo_u32 v11, v10, v11
	v_add_co_u32 v14, vcc_lo, v14, v15
	v_add_co_ci_u32_e32 v15, vcc_lo, 0, v16, vcc_lo
	s_delay_alu instid0(VALU_DEP_2) | instskip(NEXT) | instid1(VALU_DEP_2)
	v_add_co_u32 v13, vcc_lo, v14, v13
	v_add_co_ci_u32_e32 v13, vcc_lo, v15, v18, vcc_lo
	v_add_co_ci_u32_e32 v14, vcc_lo, 0, v19, vcc_lo
	v_add_co_u32 v8, vcc_lo, v8, v17
	v_add_co_ci_u32_e32 v9, vcc_lo, v9, v17, vcc_lo
	s_delay_alu instid0(VALU_DEP_4) | instskip(NEXT) | instid1(VALU_DEP_4)
	v_add_co_u32 v11, vcc_lo, v13, v11
	v_add_co_ci_u32_e32 v13, vcc_lo, 0, v14, vcc_lo
	s_delay_alu instid0(VALU_DEP_4) | instskip(NEXT) | instid1(VALU_DEP_3)
	v_xor_b32_e32 v15, v8, v17
	v_add_co_u32 v3, vcc_lo, v3, v11
	s_delay_alu instid0(VALU_DEP_3) | instskip(SKIP_1) | instid1(VALU_DEP_3)
	v_add_co_ci_u32_e32 v16, vcc_lo, v10, v13, vcc_lo
	v_xor_b32_e32 v18, v9, v17
	v_mul_hi_u32 v19, v15, v3
	s_delay_alu instid0(VALU_DEP_3) | instskip(NEXT) | instid1(VALU_DEP_3)
	v_mad_u64_u32 v[8:9], null, v15, v16, 0
	v_mad_u64_u32 v[10:11], null, v18, v3, 0
	;; [unrolled: 1-line block ×3, first 2 shown]
	s_delay_alu instid0(VALU_DEP_3) | instskip(NEXT) | instid1(VALU_DEP_4)
	v_add_co_u32 v3, vcc_lo, v19, v8
	v_add_co_ci_u32_e32 v8, vcc_lo, 0, v9, vcc_lo
	s_delay_alu instid0(VALU_DEP_2) | instskip(NEXT) | instid1(VALU_DEP_2)
	v_add_co_u32 v3, vcc_lo, v3, v10
	v_add_co_ci_u32_e32 v3, vcc_lo, v8, v11, vcc_lo
	v_add_co_ci_u32_e32 v8, vcc_lo, 0, v14, vcc_lo
	s_delay_alu instid0(VALU_DEP_2) | instskip(NEXT) | instid1(VALU_DEP_2)
	v_add_co_u32 v3, vcc_lo, v3, v13
	v_add_co_ci_u32_e32 v10, vcc_lo, 0, v8, vcc_lo
	s_delay_alu instid0(VALU_DEP_2) | instskip(SKIP_1) | instid1(VALU_DEP_3)
	v_mul_lo_u32 v11, s21, v3
	v_mad_u64_u32 v[8:9], null, s20, v3, 0
	v_mul_lo_u32 v3, s20, v10
	s_delay_alu instid0(VALU_DEP_2) | instskip(NEXT) | instid1(VALU_DEP_2)
	v_sub_co_u32 v8, vcc_lo, v15, v8
	v_add3_u32 v3, v9, v3, v11
	s_delay_alu instid0(VALU_DEP_1) | instskip(NEXT) | instid1(VALU_DEP_1)
	v_sub_nc_u32_e32 v9, v18, v3
	v_subrev_co_ci_u32_e64 v9, s0, s21, v9, vcc_lo
	v_sub_co_ci_u32_e32 v3, vcc_lo, v18, v3, vcc_lo
	v_sub_co_u32 v10, vcc_lo, v8, s20
	s_delay_alu instid0(VALU_DEP_1) | instskip(SKIP_3) | instid1(VALU_DEP_3)
	v_subrev_co_ci_u32_e64 v11, s0, 0, v9, vcc_lo
	v_cmp_le_u32_e64 s0, s20, v8
	v_subrev_co_ci_u32_e32 v9, vcc_lo, s21, v9, vcc_lo
	v_cmp_le_u32_e32 vcc_lo, s21, v3
	v_cndmask_b32_e64 v13, 0, -1, s0
	v_cmp_le_u32_e64 s0, s20, v10
	v_cndmask_b32_e64 v16, 0, -1, vcc_lo
	v_cmp_eq_u32_e32 vcc_lo, s21, v11
	s_delay_alu instid0(VALU_DEP_3) | instskip(SKIP_1) | instid1(VALU_DEP_1)
	v_cndmask_b32_e64 v14, 0, -1, s0
	v_cmp_le_u32_e64 s0, s21, v11
	v_cndmask_b32_e64 v15, 0, -1, s0
	v_cmp_eq_u32_e64 s0, s21, v3
	s_delay_alu instid0(VALU_DEP_2) | instskip(SKIP_2) | instid1(VALU_DEP_3)
	v_cndmask_b32_e32 v14, v15, v14, vcc_lo
	v_sub_co_u32 v15, vcc_lo, v10, s20
	v_subrev_co_ci_u32_e32 v9, vcc_lo, 0, v9, vcc_lo
	v_cmp_ne_u32_e32 vcc_lo, 0, v14
	v_cndmask_b32_e64 v13, v16, v13, s0
	s_delay_alu instid0(VALU_DEP_3) | instskip(NEXT) | instid1(VALU_DEP_2)
	v_dual_cndmask_b32 v9, v11, v9 :: v_dual_cndmask_b32 v10, v10, v15
	v_cmp_ne_u32_e32 vcc_lo, 0, v13
	s_delay_alu instid0(VALU_DEP_2) | instskip(NEXT) | instid1(VALU_DEP_1)
	v_dual_cndmask_b32 v8, v8, v10 :: v_dual_cndmask_b32 v3, v3, v9
	v_xor_b32_e32 v8, v8, v17
	s_delay_alu instid0(VALU_DEP_2) | instskip(NEXT) | instid1(VALU_DEP_2)
	v_xor_b32_e32 v3, v3, v17
	v_sub_co_u32 v10, vcc_lo, v8, v17
	s_delay_alu instid0(VALU_DEP_2)
	v_sub_co_ci_u32_e32 v11, vcc_lo, v3, v17, vcc_lo
                                        ; implicit-def: $vgpr8_vgpr9
.LBB40_11:                              ;   in Loop: Header=BB40_4 Depth=1
	s_and_not1_saveexec_b32 s0, s15
	s_cbranch_execz .LBB40_2
; %bb.12:                               ;   in Loop: Header=BB40_4 Depth=1
	v_cvt_f32_u32_e32 v3, s12
	v_mov_b32_e32 v11, v2
	s_delay_alu instid0(VALU_DEP_2) | instskip(SKIP_2) | instid1(VALU_DEP_1)
	v_rcp_iflag_f32_e32 v3, v3
	s_waitcnt_depctr 0xfff
	v_mul_f32_e32 v3, 0x4f7ffffe, v3
	v_cvt_u32_f32_e32 v3, v3
	s_delay_alu instid0(VALU_DEP_1) | instskip(NEXT) | instid1(VALU_DEP_1)
	v_mul_lo_u32 v9, s27, v3
	v_mul_hi_u32 v9, v3, v9
	s_delay_alu instid0(VALU_DEP_1) | instskip(NEXT) | instid1(VALU_DEP_1)
	v_add_nc_u32_e32 v3, v3, v9
	v_mul_hi_u32 v3, v8, v3
	s_delay_alu instid0(VALU_DEP_1) | instskip(NEXT) | instid1(VALU_DEP_1)
	v_mul_lo_u32 v3, v3, s12
	v_sub_nc_u32_e32 v3, v8, v3
	s_delay_alu instid0(VALU_DEP_1) | instskip(SKIP_1) | instid1(VALU_DEP_2)
	v_subrev_nc_u32_e32 v8, s12, v3
	v_cmp_le_u32_e32 vcc_lo, s12, v3
	v_cndmask_b32_e32 v3, v3, v8, vcc_lo
	s_delay_alu instid0(VALU_DEP_1) | instskip(SKIP_1) | instid1(VALU_DEP_2)
	v_subrev_nc_u32_e32 v8, s12, v3
	v_cmp_le_u32_e32 vcc_lo, s12, v3
	v_cndmask_b32_e32 v10, v3, v8, vcc_lo
	s_branch .LBB40_2
.LBB40_13:
	s_nop 0
	s_sendmsg sendmsg(MSG_DEALLOC_VGPRS)
	s_endpgm
	.section	.rodata,"a",@progbits
	.p2align	6, 0x0
	.amdhsa_kernel _ZN2at6native12_GLOBAL__N_121reflection_pad1d_flatIN3c107complexIfEEEEvPKT_PS6_lllll
		.amdhsa_group_segment_fixed_size 0
		.amdhsa_private_segment_fixed_size 0
		.amdhsa_kernarg_size 312
		.amdhsa_user_sgpr_count 15
		.amdhsa_user_sgpr_dispatch_ptr 0
		.amdhsa_user_sgpr_queue_ptr 0
		.amdhsa_user_sgpr_kernarg_segment_ptr 1
		.amdhsa_user_sgpr_dispatch_id 0
		.amdhsa_user_sgpr_private_segment_size 0
		.amdhsa_wavefront_size32 1
		.amdhsa_uses_dynamic_stack 0
		.amdhsa_enable_private_segment 0
		.amdhsa_system_sgpr_workgroup_id_x 1
		.amdhsa_system_sgpr_workgroup_id_y 0
		.amdhsa_system_sgpr_workgroup_id_z 0
		.amdhsa_system_sgpr_workgroup_info 0
		.amdhsa_system_vgpr_workitem_id 0
		.amdhsa_next_free_vgpr 20
		.amdhsa_next_free_sgpr 28
		.amdhsa_reserve_vcc 1
		.amdhsa_float_round_mode_32 0
		.amdhsa_float_round_mode_16_64 0
		.amdhsa_float_denorm_mode_32 3
		.amdhsa_float_denorm_mode_16_64 3
		.amdhsa_dx10_clamp 1
		.amdhsa_ieee_mode 1
		.amdhsa_fp16_overflow 0
		.amdhsa_workgroup_processor_mode 1
		.amdhsa_memory_ordered 1
		.amdhsa_forward_progress 0
		.amdhsa_shared_vgpr_count 0
		.amdhsa_exception_fp_ieee_invalid_op 0
		.amdhsa_exception_fp_denorm_src 0
		.amdhsa_exception_fp_ieee_div_zero 0
		.amdhsa_exception_fp_ieee_overflow 0
		.amdhsa_exception_fp_ieee_underflow 0
		.amdhsa_exception_fp_ieee_inexact 0
		.amdhsa_exception_int_div_zero 0
	.end_amdhsa_kernel
	.section	.text._ZN2at6native12_GLOBAL__N_121reflection_pad1d_flatIN3c107complexIfEEEEvPKT_PS6_lllll,"axG",@progbits,_ZN2at6native12_GLOBAL__N_121reflection_pad1d_flatIN3c107complexIfEEEEvPKT_PS6_lllll,comdat
.Lfunc_end40:
	.size	_ZN2at6native12_GLOBAL__N_121reflection_pad1d_flatIN3c107complexIfEEEEvPKT_PS6_lllll, .Lfunc_end40-_ZN2at6native12_GLOBAL__N_121reflection_pad1d_flatIN3c107complexIfEEEEvPKT_PS6_lllll
                                        ; -- End function
	.section	.AMDGPU.csdata,"",@progbits
; Kernel info:
; codeLenInByte = 2464
; NumSgprs: 30
; NumVgprs: 20
; ScratchSize: 0
; MemoryBound: 0
; FloatMode: 240
; IeeeMode: 1
; LDSByteSize: 0 bytes/workgroup (compile time only)
; SGPRBlocks: 3
; VGPRBlocks: 2
; NumSGPRsForWavesPerEU: 30
; NumVGPRsForWavesPerEU: 20
; Occupancy: 16
; WaveLimiterHint : 0
; COMPUTE_PGM_RSRC2:SCRATCH_EN: 0
; COMPUTE_PGM_RSRC2:USER_SGPR: 15
; COMPUTE_PGM_RSRC2:TRAP_HANDLER: 0
; COMPUTE_PGM_RSRC2:TGID_X_EN: 1
; COMPUTE_PGM_RSRC2:TGID_Y_EN: 0
; COMPUTE_PGM_RSRC2:TGID_Z_EN: 0
; COMPUTE_PGM_RSRC2:TIDIG_COMP_CNT: 0
	.section	.text._ZN2at6native12_GLOBAL__N_127reflection_pad1d_out_kernelIN3c104HalfEEEvPKT_PS5_lll,"axG",@progbits,_ZN2at6native12_GLOBAL__N_127reflection_pad1d_out_kernelIN3c104HalfEEEvPKT_PS5_lll,comdat
	.globl	_ZN2at6native12_GLOBAL__N_127reflection_pad1d_out_kernelIN3c104HalfEEEvPKT_PS5_lll ; -- Begin function _ZN2at6native12_GLOBAL__N_127reflection_pad1d_out_kernelIN3c104HalfEEEvPKT_PS5_lll
	.p2align	8
	.type	_ZN2at6native12_GLOBAL__N_127reflection_pad1d_out_kernelIN3c104HalfEEEvPKT_PS5_lll,@function
_ZN2at6native12_GLOBAL__N_127reflection_pad1d_out_kernelIN3c104HalfEEEvPKT_PS5_lll: ; @_ZN2at6native12_GLOBAL__N_127reflection_pad1d_out_kernelIN3c104HalfEEEvPKT_PS5_lll
; %bb.0:
	s_clause 0x2
	s_load_b32 s12, s[0:1], 0x34
	s_load_b256 s[4:11], s[0:1], 0x0
	s_load_b64 s[16:17], s[0:1], 0x20
	v_mov_b32_e32 v1, 0
	s_add_u32 s2, s0, 40
	s_addc_u32 s3, s1, 0
	s_waitcnt lgkmcnt(0)
	s_and_b32 s0, s12, 0xffff
	s_add_u32 s12, s10, s8
	v_mad_u64_u32 v[2:3], null, s0, s13, v[0:1]
	s_addc_u32 s13, s11, s9
	s_add_u32 s0, s12, s16
	s_addc_u32 s1, s13, s17
	s_mov_b32 s16, exec_lo
	s_delay_alu instid0(VALU_DEP_1)
	v_cmpx_gt_i64_e64 s[0:1], v[2:3]
	s_cbranch_execz .LBB41_2
; %bb.1:
	s_load_b32 s16, s[2:3], 0x4
	v_sub_co_u32 v0, vcc_lo, v2, s12
	v_subrev_co_ci_u32_e32 v1, vcc_lo, s13, v3, vcc_lo
	v_sub_co_u32 v4, vcc_lo, v2, s10
	v_subrev_co_ci_u32_e32 v5, vcc_lo, s11, v3, vcc_lo
	s_delay_alu instid0(VALU_DEP_4) | instskip(NEXT) | instid1(VALU_DEP_4)
	v_add_co_u32 v0, vcc_lo, v0, 1
	v_add_co_ci_u32_e32 v1, vcc_lo, 0, v1, vcc_lo
	s_sub_u32 s2, 0, s10
	s_subb_u32 s3, 0, s11
	v_cmp_gt_i64_e64 s17, s[10:11], 0
	s_delay_alu instid0(VALU_DEP_2)
	v_ashrrev_i32_e32 v6, 31, v1
	v_ashrrev_i32_e32 v7, 31, v5
	s_waitcnt lgkmcnt(0)
	s_mul_i32 s15, s16, s15
	v_cmp_gt_i64_e64 s16, s[2:3], 0
	s_add_i32 s14, s15, s14
	v_xor_b32_e32 v0, v0, v6
	s_mul_i32 s9, s14, s9
	s_mul_hi_u32 s15, s14, s8
	s_mul_i32 s1, s1, s14
	s_mul_hi_u32 s18, s0, s14
	v_xor_b32_e32 v1, v1, v6
	s_add_i32 s9, s15, s9
	s_add_i32 s1, s18, s1
	s_and_b32 s15, s16, exec_lo
	s_cselect_b32 s15, s3, 0
	s_cselect_b32 s16, s2, 0
	s_and_b32 s2, s17, exec_lo
	v_sub_co_u32 v0, vcc_lo, v0, v6
	s_cselect_b32 s3, s11, 0
	s_cselect_b32 s2, s10, 0
	v_sub_co_ci_u32_e32 v1, vcc_lo, v1, v6, vcc_lo
	s_not_b64 s[2:3], s[2:3]
	s_add_u32 s10, s12, s10
	s_addc_u32 s11, s13, s11
	v_add_co_u32 v0, vcc_lo, v2, v0
	s_add_u32 s2, s10, s2
	s_addc_u32 s3, s11, s3
	v_add_co_ci_u32_e32 v1, vcc_lo, v3, v1, vcc_lo
	s_add_u32 s2, s2, s16
	v_xor_b32_e32 v4, v4, v7
	s_addc_u32 s3, s3, s15
	v_sub_co_u32 v0, vcc_lo, s2, v0
	v_xor_b32_e32 v5, v5, v7
	v_sub_co_ci_u32_e32 v1, vcc_lo, s3, v1, vcc_lo
	v_sub_co_u32 v4, vcc_lo, v4, v7
	s_delay_alu instid0(VALU_DEP_3) | instskip(NEXT) | instid1(VALU_DEP_3)
	v_sub_co_ci_u32_e32 v5, vcc_lo, v5, v7, vcc_lo
	v_lshlrev_b64 v[0:1], 1, v[0:1]
	s_mul_i32 s8, s14, s8
	s_mul_i32 s0, s0, s14
	s_delay_alu instid0(VALU_DEP_2)
	v_lshlrev_b64 v[4:5], 1, v[4:5]
	s_lshl_b64 s[2:3], s[8:9], 1
	s_lshl_b64 s[0:1], s[0:1], 1
	v_add_co_u32 v0, vcc_lo, s4, v0
	v_add_co_ci_u32_e32 v1, vcc_lo, s5, v1, vcc_lo
	s_add_u32 s0, s6, s0
	s_delay_alu instid0(VALU_DEP_2) | instskip(NEXT) | instid1(VALU_DEP_2)
	v_add_co_u32 v0, vcc_lo, v0, v4
	v_add_co_ci_u32_e32 v1, vcc_lo, v1, v5, vcc_lo
	s_addc_u32 s1, s7, s1
	s_delay_alu instid0(VALU_DEP_2) | instskip(NEXT) | instid1(VALU_DEP_2)
	v_add_co_u32 v0, vcc_lo, v0, s2
	v_add_co_ci_u32_e32 v1, vcc_lo, s3, v1, vcc_lo
	global_load_u16 v4, v[0:1], off
	v_lshlrev_b64 v[0:1], 1, v[2:3]
	s_delay_alu instid0(VALU_DEP_1) | instskip(NEXT) | instid1(VALU_DEP_2)
	v_add_co_u32 v0, vcc_lo, s0, v0
	v_add_co_ci_u32_e32 v1, vcc_lo, s1, v1, vcc_lo
	s_waitcnt vmcnt(0)
	global_store_b16 v[0:1], v4, off
.LBB41_2:
	s_nop 0
	s_sendmsg sendmsg(MSG_DEALLOC_VGPRS)
	s_endpgm
	.section	.rodata,"a",@progbits
	.p2align	6, 0x0
	.amdhsa_kernel _ZN2at6native12_GLOBAL__N_127reflection_pad1d_out_kernelIN3c104HalfEEEvPKT_PS5_lll
		.amdhsa_group_segment_fixed_size 0
		.amdhsa_private_segment_fixed_size 0
		.amdhsa_kernarg_size 296
		.amdhsa_user_sgpr_count 13
		.amdhsa_user_sgpr_dispatch_ptr 0
		.amdhsa_user_sgpr_queue_ptr 0
		.amdhsa_user_sgpr_kernarg_segment_ptr 1
		.amdhsa_user_sgpr_dispatch_id 0
		.amdhsa_user_sgpr_private_segment_size 0
		.amdhsa_wavefront_size32 1
		.amdhsa_uses_dynamic_stack 0
		.amdhsa_enable_private_segment 0
		.amdhsa_system_sgpr_workgroup_id_x 1
		.amdhsa_system_sgpr_workgroup_id_y 1
		.amdhsa_system_sgpr_workgroup_id_z 1
		.amdhsa_system_sgpr_workgroup_info 0
		.amdhsa_system_vgpr_workitem_id 0
		.amdhsa_next_free_vgpr 8
		.amdhsa_next_free_sgpr 19
		.amdhsa_reserve_vcc 1
		.amdhsa_float_round_mode_32 0
		.amdhsa_float_round_mode_16_64 0
		.amdhsa_float_denorm_mode_32 3
		.amdhsa_float_denorm_mode_16_64 3
		.amdhsa_dx10_clamp 1
		.amdhsa_ieee_mode 1
		.amdhsa_fp16_overflow 0
		.amdhsa_workgroup_processor_mode 1
		.amdhsa_memory_ordered 1
		.amdhsa_forward_progress 0
		.amdhsa_shared_vgpr_count 0
		.amdhsa_exception_fp_ieee_invalid_op 0
		.amdhsa_exception_fp_denorm_src 0
		.amdhsa_exception_fp_ieee_div_zero 0
		.amdhsa_exception_fp_ieee_overflow 0
		.amdhsa_exception_fp_ieee_underflow 0
		.amdhsa_exception_fp_ieee_inexact 0
		.amdhsa_exception_int_div_zero 0
	.end_amdhsa_kernel
	.section	.text._ZN2at6native12_GLOBAL__N_127reflection_pad1d_out_kernelIN3c104HalfEEEvPKT_PS5_lll,"axG",@progbits,_ZN2at6native12_GLOBAL__N_127reflection_pad1d_out_kernelIN3c104HalfEEEvPKT_PS5_lll,comdat
.Lfunc_end41:
	.size	_ZN2at6native12_GLOBAL__N_127reflection_pad1d_out_kernelIN3c104HalfEEEvPKT_PS5_lll, .Lfunc_end41-_ZN2at6native12_GLOBAL__N_127reflection_pad1d_out_kernelIN3c104HalfEEEvPKT_PS5_lll
                                        ; -- End function
	.section	.AMDGPU.csdata,"",@progbits
; Kernel info:
; codeLenInByte = 480
; NumSgprs: 21
; NumVgprs: 8
; ScratchSize: 0
; MemoryBound: 0
; FloatMode: 240
; IeeeMode: 1
; LDSByteSize: 0 bytes/workgroup (compile time only)
; SGPRBlocks: 2
; VGPRBlocks: 0
; NumSGPRsForWavesPerEU: 21
; NumVGPRsForWavesPerEU: 8
; Occupancy: 16
; WaveLimiterHint : 0
; COMPUTE_PGM_RSRC2:SCRATCH_EN: 0
; COMPUTE_PGM_RSRC2:USER_SGPR: 13
; COMPUTE_PGM_RSRC2:TRAP_HANDLER: 0
; COMPUTE_PGM_RSRC2:TGID_X_EN: 1
; COMPUTE_PGM_RSRC2:TGID_Y_EN: 1
; COMPUTE_PGM_RSRC2:TGID_Z_EN: 1
; COMPUTE_PGM_RSRC2:TIDIG_COMP_CNT: 0
	.section	.text._ZN2at6native12_GLOBAL__N_121reflection_pad1d_flatIN3c104HalfEEEvPKT_PS5_lllll,"axG",@progbits,_ZN2at6native12_GLOBAL__N_121reflection_pad1d_flatIN3c104HalfEEEvPKT_PS5_lllll,comdat
	.globl	_ZN2at6native12_GLOBAL__N_121reflection_pad1d_flatIN3c104HalfEEEvPKT_PS5_lllll ; -- Begin function _ZN2at6native12_GLOBAL__N_121reflection_pad1d_flatIN3c104HalfEEEvPKT_PS5_lllll
	.p2align	8
	.type	_ZN2at6native12_GLOBAL__N_121reflection_pad1d_flatIN3c104HalfEEEvPKT_PS5_lllll,@function
_ZN2at6native12_GLOBAL__N_121reflection_pad1d_flatIN3c104HalfEEEvPKT_PS5_lllll: ; @_ZN2at6native12_GLOBAL__N_121reflection_pad1d_flatIN3c104HalfEEEvPKT_PS5_lllll
; %bb.0:
	s_clause 0x1
	s_load_b32 s8, s[0:1], 0x44
	s_load_b128 s[4:7], s[0:1], 0x28
	v_mov_b32_e32 v1, 0
	s_add_u32 s2, s0, 56
	s_addc_u32 s3, s1, 0
	s_waitcnt lgkmcnt(0)
	s_and_b32 s8, s8, 0xffff
	s_mul_i32 s9, s6, s5
	v_mad_u64_u32 v[2:3], null, s8, s15, v[0:1]
	s_mul_hi_u32 s10, s6, s4
	s_mul_i32 s7, s7, s4
	s_add_i32 s9, s10, s9
	s_mul_i32 s6, s6, s4
	s_add_i32 s7, s9, s7
	s_mov_b32 s9, exec_lo
	s_delay_alu instid0(VALU_DEP_1)
	v_cmpx_gt_i64_e64 s[6:7], v[2:3]
	s_cbranch_execz .LBB42_44
; %bb.1:
	s_load_b32 s2, s[2:3], 0x0
	s_waitcnt lgkmcnt(0)
	s_add_u32 s3, s15, s2
	s_mul_hi_u32 s17, s8, s2
	v_mad_u64_u32 v[6:7], null, s3, s8, v[0:1]
	s_addc_u32 s3, 0, 0
	s_mul_i32 s16, s8, s2
	s_mov_b32 s2, exec_lo
	s_delay_alu instid0(VALU_DEP_1) | instskip(NEXT) | instid1(VALU_DEP_1)
	v_mov_b32_e32 v0, v7
	v_mad_u64_u32 v[4:5], null, s3, s8, v[0:1]
	s_delay_alu instid0(VALU_DEP_1) | instskip(NEXT) | instid1(VALU_DEP_1)
	v_mov_b32_e32 v7, v4
	v_cmp_gt_i64_e32 vcc_lo, s[6:7], v[6:7]
	v_cndmask_b32_e64 v0, v4, s7, vcc_lo
	v_cndmask_b32_e64 v4, 0, 1, vcc_lo
	;; [unrolled: 1-line block ×3, first 2 shown]
	s_delay_alu instid0(VALU_DEP_2) | instskip(SKIP_1) | instid1(VALU_DEP_2)
	v_add_co_u32 v8, vcc_lo, v6, v4
	v_add_co_ci_u32_e32 v9, vcc_lo, 0, v7, vcc_lo
	v_sub_co_u32 v5, vcc_lo, v5, v8
	s_delay_alu instid0(VALU_DEP_2) | instskip(SKIP_1) | instid1(VALU_DEP_2)
	v_sub_co_ci_u32_e32 v8, vcc_lo, v0, v9, vcc_lo
	v_mov_b32_e32 v9, v1
                                        ; implicit-def: $vgpr0_vgpr1
	v_or_b32_e32 v10, s17, v8
	s_delay_alu instid0(VALU_DEP_1)
	v_cmpx_ne_u64_e32 0, v[9:10]
	s_xor_b32 s3, exec_lo, s2
	s_cbranch_execz .LBB42_3
; %bb.2:
	v_cvt_f32_u32_e32 v0, s16
	v_cvt_f32_u32_e32 v1, s17
	s_sub_u32 s2, 0, s16
	s_subb_u32 s8, 0, s17
	s_delay_alu instid0(VALU_DEP_1) | instskip(NEXT) | instid1(VALU_DEP_1)
	v_fmamk_f32 v0, v1, 0x4f800000, v0
	v_rcp_f32_e32 v0, v0
	s_waitcnt_depctr 0xfff
	v_mul_f32_e32 v0, 0x5f7ffffc, v0
	s_delay_alu instid0(VALU_DEP_1) | instskip(NEXT) | instid1(VALU_DEP_1)
	v_mul_f32_e32 v1, 0x2f800000, v0
	v_trunc_f32_e32 v1, v1
	s_delay_alu instid0(VALU_DEP_1) | instskip(SKIP_1) | instid1(VALU_DEP_2)
	v_fmamk_f32 v0, v1, 0xcf800000, v0
	v_cvt_u32_f32_e32 v1, v1
	v_cvt_u32_f32_e32 v0, v0
	s_delay_alu instid0(VALU_DEP_2) | instskip(NEXT) | instid1(VALU_DEP_2)
	v_mul_lo_u32 v9, s2, v1
	v_mul_hi_u32 v10, s2, v0
	v_mul_lo_u32 v11, s8, v0
	s_delay_alu instid0(VALU_DEP_2) | instskip(SKIP_1) | instid1(VALU_DEP_2)
	v_add_nc_u32_e32 v9, v10, v9
	v_mul_lo_u32 v10, s2, v0
	v_add_nc_u32_e32 v9, v9, v11
	s_delay_alu instid0(VALU_DEP_2) | instskip(NEXT) | instid1(VALU_DEP_2)
	v_mul_hi_u32 v11, v0, v10
	v_mul_lo_u32 v12, v0, v9
	v_mul_hi_u32 v13, v0, v9
	v_mul_hi_u32 v14, v1, v10
	v_mul_lo_u32 v10, v1, v10
	v_mul_hi_u32 v15, v1, v9
	v_mul_lo_u32 v9, v1, v9
	v_add_co_u32 v11, vcc_lo, v11, v12
	v_add_co_ci_u32_e32 v12, vcc_lo, 0, v13, vcc_lo
	s_delay_alu instid0(VALU_DEP_2) | instskip(NEXT) | instid1(VALU_DEP_2)
	v_add_co_u32 v10, vcc_lo, v11, v10
	v_add_co_ci_u32_e32 v10, vcc_lo, v12, v14, vcc_lo
	v_add_co_ci_u32_e32 v11, vcc_lo, 0, v15, vcc_lo
	s_delay_alu instid0(VALU_DEP_2) | instskip(NEXT) | instid1(VALU_DEP_2)
	v_add_co_u32 v9, vcc_lo, v10, v9
	v_add_co_ci_u32_e32 v10, vcc_lo, 0, v11, vcc_lo
	s_delay_alu instid0(VALU_DEP_2) | instskip(NEXT) | instid1(VALU_DEP_2)
	v_add_co_u32 v0, vcc_lo, v0, v9
	v_add_co_ci_u32_e32 v1, vcc_lo, v1, v10, vcc_lo
	s_delay_alu instid0(VALU_DEP_2) | instskip(SKIP_1) | instid1(VALU_DEP_3)
	v_mul_hi_u32 v9, s2, v0
	v_mul_lo_u32 v11, s8, v0
	v_mul_lo_u32 v10, s2, v1
	s_delay_alu instid0(VALU_DEP_1) | instskip(SKIP_1) | instid1(VALU_DEP_2)
	v_add_nc_u32_e32 v9, v9, v10
	v_mul_lo_u32 v10, s2, v0
	v_add_nc_u32_e32 v9, v9, v11
	s_delay_alu instid0(VALU_DEP_2) | instskip(NEXT) | instid1(VALU_DEP_2)
	v_mul_hi_u32 v11, v0, v10
	v_mul_lo_u32 v12, v0, v9
	v_mul_hi_u32 v13, v0, v9
	v_mul_hi_u32 v14, v1, v10
	v_mul_lo_u32 v10, v1, v10
	v_mul_hi_u32 v15, v1, v9
	v_mul_lo_u32 v9, v1, v9
	v_add_co_u32 v11, vcc_lo, v11, v12
	v_add_co_ci_u32_e32 v12, vcc_lo, 0, v13, vcc_lo
	s_delay_alu instid0(VALU_DEP_2) | instskip(NEXT) | instid1(VALU_DEP_2)
	v_add_co_u32 v10, vcc_lo, v11, v10
	v_add_co_ci_u32_e32 v10, vcc_lo, v12, v14, vcc_lo
	v_add_co_ci_u32_e32 v11, vcc_lo, 0, v15, vcc_lo
	s_delay_alu instid0(VALU_DEP_2) | instskip(NEXT) | instid1(VALU_DEP_2)
	v_add_co_u32 v9, vcc_lo, v10, v9
	v_add_co_ci_u32_e32 v10, vcc_lo, 0, v11, vcc_lo
	s_delay_alu instid0(VALU_DEP_2) | instskip(NEXT) | instid1(VALU_DEP_2)
	v_add_co_u32 v11, vcc_lo, v0, v9
	v_add_co_ci_u32_e32 v13, vcc_lo, v1, v10, vcc_lo
	s_delay_alu instid0(VALU_DEP_2) | instskip(SKIP_1) | instid1(VALU_DEP_3)
	v_mul_hi_u32 v14, v5, v11
	v_mad_u64_u32 v[9:10], null, v8, v11, 0
	v_mad_u64_u32 v[0:1], null, v5, v13, 0
	;; [unrolled: 1-line block ×3, first 2 shown]
	s_delay_alu instid0(VALU_DEP_2) | instskip(NEXT) | instid1(VALU_DEP_3)
	v_add_co_u32 v0, vcc_lo, v14, v0
	v_add_co_ci_u32_e32 v1, vcc_lo, 0, v1, vcc_lo
	s_delay_alu instid0(VALU_DEP_2) | instskip(NEXT) | instid1(VALU_DEP_2)
	v_add_co_u32 v0, vcc_lo, v0, v9
	v_add_co_ci_u32_e32 v0, vcc_lo, v1, v10, vcc_lo
	v_add_co_ci_u32_e32 v1, vcc_lo, 0, v12, vcc_lo
	s_delay_alu instid0(VALU_DEP_2) | instskip(NEXT) | instid1(VALU_DEP_2)
	v_add_co_u32 v9, vcc_lo, v0, v11
	v_add_co_ci_u32_e32 v10, vcc_lo, 0, v1, vcc_lo
	s_delay_alu instid0(VALU_DEP_2) | instskip(SKIP_1) | instid1(VALU_DEP_3)
	v_mul_lo_u32 v11, s17, v9
	v_mad_u64_u32 v[0:1], null, s16, v9, 0
	v_mul_lo_u32 v12, s16, v10
	s_delay_alu instid0(VALU_DEP_2) | instskip(NEXT) | instid1(VALU_DEP_2)
	v_sub_co_u32 v0, vcc_lo, v5, v0
	v_add3_u32 v1, v1, v12, v11
	s_delay_alu instid0(VALU_DEP_1) | instskip(NEXT) | instid1(VALU_DEP_1)
	v_sub_nc_u32_e32 v11, v8, v1
	v_subrev_co_ci_u32_e64 v5, s2, s17, v11, vcc_lo
	v_add_co_u32 v11, s2, v9, 2
	s_delay_alu instid0(VALU_DEP_1) | instskip(SKIP_3) | instid1(VALU_DEP_3)
	v_add_co_ci_u32_e64 v12, s2, 0, v10, s2
	v_sub_co_u32 v13, s2, v0, s16
	v_sub_co_ci_u32_e32 v1, vcc_lo, v8, v1, vcc_lo
	v_subrev_co_ci_u32_e64 v5, s2, 0, v5, s2
	v_cmp_le_u32_e32 vcc_lo, s16, v13
	s_delay_alu instid0(VALU_DEP_3) | instskip(SKIP_1) | instid1(VALU_DEP_4)
	v_cmp_eq_u32_e64 s2, s17, v1
	v_cndmask_b32_e64 v8, 0, -1, vcc_lo
	v_cmp_le_u32_e32 vcc_lo, s17, v5
	v_cndmask_b32_e64 v13, 0, -1, vcc_lo
	v_cmp_le_u32_e32 vcc_lo, s16, v0
	;; [unrolled: 2-line block ×3, first 2 shown]
	v_cndmask_b32_e64 v14, 0, -1, vcc_lo
	v_cmp_eq_u32_e32 vcc_lo, s17, v5
	s_delay_alu instid0(VALU_DEP_2) | instskip(SKIP_3) | instid1(VALU_DEP_3)
	v_cndmask_b32_e64 v0, v14, v0, s2
	v_cndmask_b32_e32 v5, v13, v8, vcc_lo
	v_add_co_u32 v8, vcc_lo, v9, 1
	v_add_co_ci_u32_e32 v13, vcc_lo, 0, v10, vcc_lo
	v_cmp_ne_u32_e32 vcc_lo, 0, v5
	s_delay_alu instid0(VALU_DEP_3) | instskip(NEXT) | instid1(VALU_DEP_3)
	v_cndmask_b32_e32 v5, v8, v11, vcc_lo
	v_cndmask_b32_e32 v1, v13, v12, vcc_lo
	v_cmp_ne_u32_e32 vcc_lo, 0, v0
	s_delay_alu instid0(VALU_DEP_2) | instskip(NEXT) | instid1(VALU_DEP_4)
	v_cndmask_b32_e32 v1, v10, v1, vcc_lo
	v_cndmask_b32_e32 v0, v9, v5, vcc_lo
                                        ; implicit-def: $vgpr5
.LBB42_3:
	s_or_saveexec_b32 s2, s3
	s_load_b128 s[8:11], s[0:1], 0x0
	s_xor_b32 exec_lo, exec_lo, s2
	s_cbranch_execz .LBB42_5
; %bb.4:
	v_cvt_f32_u32_e32 v0, s16
	s_sub_i32 s3, 0, s16
	s_delay_alu instid0(VALU_DEP_1) | instskip(SKIP_2) | instid1(VALU_DEP_1)
	v_rcp_iflag_f32_e32 v0, v0
	s_waitcnt_depctr 0xfff
	v_mul_f32_e32 v0, 0x4f7ffffe, v0
	v_cvt_u32_f32_e32 v0, v0
	s_delay_alu instid0(VALU_DEP_1) | instskip(NEXT) | instid1(VALU_DEP_1)
	v_mul_lo_u32 v1, s3, v0
	v_mul_hi_u32 v1, v0, v1
	s_delay_alu instid0(VALU_DEP_1) | instskip(NEXT) | instid1(VALU_DEP_1)
	v_add_nc_u32_e32 v0, v0, v1
	v_mul_hi_u32 v0, v5, v0
	s_delay_alu instid0(VALU_DEP_1) | instskip(NEXT) | instid1(VALU_DEP_1)
	v_mul_lo_u32 v1, v0, s16
	v_sub_nc_u32_e32 v1, v5, v1
	v_add_nc_u32_e32 v5, 1, v0
	s_delay_alu instid0(VALU_DEP_2) | instskip(SKIP_1) | instid1(VALU_DEP_2)
	v_subrev_nc_u32_e32 v8, s16, v1
	v_cmp_le_u32_e32 vcc_lo, s16, v1
	v_dual_cndmask_b32 v1, v1, v8 :: v_dual_cndmask_b32 v0, v0, v5
	s_delay_alu instid0(VALU_DEP_1) | instskip(NEXT) | instid1(VALU_DEP_2)
	v_cmp_le_u32_e32 vcc_lo, s16, v1
	v_add_nc_u32_e32 v5, 1, v0
	s_delay_alu instid0(VALU_DEP_1)
	v_dual_mov_b32 v1, 0 :: v_dual_cndmask_b32 v0, v0, v5
.LBB42_5:
	s_or_b32 exec_lo, exec_lo, s2
	s_load_b128 s[12:15], s[0:1], 0x10
	s_delay_alu instid0(VALU_DEP_1) | instskip(NEXT) | instid1(VALU_DEP_2)
	v_add_co_u32 v0, vcc_lo, v0, v4
	v_add_co_ci_u32_e32 v1, vcc_lo, 0, v1, vcc_lo
                                        ; implicit-def: $vgpr4_vgpr5
                                        ; implicit-def: $sgpr20_sgpr21
                                        ; implicit-def: $sgpr18_sgpr19
	s_mov_b32 s22, exec_lo
	s_delay_alu instid0(VALU_DEP_2) | instskip(NEXT) | instid1(VALU_DEP_2)
	v_add_co_u32 v0, vcc_lo, v0, 1
	v_add_co_ci_u32_e32 v1, vcc_lo, 0, v1, vcc_lo
	s_waitcnt lgkmcnt(0)
	s_lshl_b64 s[0:1], s[12:13], 1
	s_delay_alu instid0(SALU_CYCLE_1)
	s_add_u32 s2, s0, -2
	s_addc_u32 s3, s1, -1
	s_mov_b32 s0, 0
	v_cmp_lt_i64_e64 s34, s[2:3], 1
	v_cmp_gt_i64_e64 s1, s[2:3], 0
	v_cmpx_lt_u64_e32 1, v[0:1]
	s_xor_b32 s33, exec_lo, s22
	s_cbranch_execz .LBB42_29
; %bb.6:
	v_add_co_u32 v4, vcc_lo, v2, s16
	v_lshlrev_b64 v[8:9], 1, v[2:3]
	v_add_co_ci_u32_e32 v5, vcc_lo, s17, v3, vcc_lo
	v_sub_co_u32 v14, vcc_lo, v2, s14
	v_dual_mov_b32 v13, v1 :: v_dual_and_b32 v12, -2, v0
	v_subrev_co_ci_u32_e32 v15, vcc_lo, s15, v3, vcc_lo
	v_add_co_u32 v16, vcc_lo, s10, v8
	v_add_co_ci_u32_e32 v17, vcc_lo, s11, v9, vcc_lo
	v_sub_co_u32 v18, vcc_lo, v6, s14
	v_dual_mov_b32 v20, 0 :: v_dual_mov_b32 v23, v13
	v_subrev_co_ci_u32_e32 v19, vcc_lo, s15, v7, vcc_lo
	v_dual_mov_b32 v22, v12 :: v_dual_mov_b32 v7, v5
	v_dual_mov_b32 v6, v4 :: v_dual_mov_b32 v5, v3
	v_mov_b32_e32 v4, v2
	s_lshl_b64 s[18:19], s[16:17], 1
	s_xor_b32 s39, s34, -1
	s_sub_u32 s20, 0, s4
	s_mov_b32 s35, s18
	s_mov_b32 s36, s19
	;; [unrolled: 1-line block ×8, first 2 shown]
	s_subb_u32 s21, 0, s5
	s_lshl_b64 s[26:27], s[16:17], 2
	s_mov_b32 s40, 0
	s_ashr_i32 s28, s5, 31
	s_sub_i32 s41, 0, s4
	s_branch .LBB42_9
.LBB42_7:                               ;   in Loop: Header=BB42_9 Depth=1
	s_or_b32 exec_lo, exec_lo, s0
.LBB42_8:                               ;   in Loop: Header=BB42_9 Depth=1
	s_delay_alu instid0(VALU_DEP_1) | instskip(SKIP_3) | instid1(VALU_DEP_4)
	v_ashrrev_i32_e32 v21, 31, v11
	v_ashrrev_i32_e32 v28, 31, v9
	v_mul_lo_u32 v25, v25, s22
	v_mul_lo_u32 v33, v24, s23
	v_and_b32_e32 v29, s37, v21
	v_and_b32_e32 v21, s38, v21
	v_and_b32_e32 v30, s3, v28
	v_and_b32_e32 v28, s2, v28
	s_delay_alu instid0(VALU_DEP_4) | instskip(NEXT) | instid1(VALU_DEP_4)
	v_add_co_u32 v10, vcc_lo, v29, v10
	v_add_co_ci_u32_e32 v11, vcc_lo, v21, v11, vcc_lo
	s_delay_alu instid0(VALU_DEP_3) | instskip(SKIP_1) | instid1(VALU_DEP_4)
	v_add_co_u32 v8, vcc_lo, v28, v8
	v_add_co_ci_u32_e32 v9, vcc_lo, v30, v9, vcc_lo
	v_sub_co_u32 v21, vcc_lo, s37, v10
	s_delay_alu instid0(VALU_DEP_4) | instskip(NEXT) | instid1(VALU_DEP_4)
	v_sub_co_ci_u32_e32 v30, vcc_lo, s38, v11, vcc_lo
	v_sub_co_u32 v31, vcc_lo, s2, v8
	v_mad_u64_u32 v[28:29], null, v24, s22, 0
	v_sub_co_ci_u32_e32 v32, vcc_lo, s3, v9, vcc_lo
	v_cmp_gt_i64_e32 vcc_lo, s[22:23], v[8:9]
	v_cmp_gt_i64_e64 s0, s[24:25], v[10:11]
	s_delay_alu instid0(VALU_DEP_4) | instskip(SKIP_2) | instid1(VALU_DEP_4)
	v_add3_u32 v29, v29, v33, v25
	v_mad_u64_u32 v[24:25], null, v26, s24, 0
	v_dual_cndmask_b32 v9, v32, v9 :: v_dual_cndmask_b32 v8, v31, v8
	v_cndmask_b32_e64 v21, v21, v10, s0
	v_cndmask_b32_e64 v30, v30, v11, s0
	v_mul_lo_u32 v31, v27, s24
	s_delay_alu instid0(VALU_DEP_4)
	v_cndmask_b32_e64 v9, v9, 0, s34
	v_cndmask_b32_e64 v8, v8, 0, s34
	v_mul_lo_u32 v32, v26, s25
	v_lshlrev_b64 v[10:11], 1, v[28:29]
	v_cndmask_b32_e64 v27, v30, 0, s34
	v_cndmask_b32_e64 v26, v21, 0, s34
	v_lshlrev_b64 v[8:9], 1, v[8:9]
	s_delay_alu instid0(VALU_DEP_4) | instskip(SKIP_2) | instid1(VALU_DEP_3)
	v_add_co_u32 v10, vcc_lo, s8, v10
	v_add_co_ci_u32_e32 v11, vcc_lo, s9, v11, vcc_lo
	v_add3_u32 v25, v25, v32, v31
	v_add_co_u32 v8, vcc_lo, v10, v8
	s_delay_alu instid0(VALU_DEP_3) | instskip(NEXT) | instid1(VALU_DEP_3)
	v_add_co_ci_u32_e32 v9, vcc_lo, v11, v9, vcc_lo
	v_lshlrev_b64 v[10:11], 1, v[24:25]
	v_lshlrev_b64 v[24:25], 1, v[26:27]
	global_load_u16 v21, v[8:9], off
	v_add_co_u32 v8, vcc_lo, s8, v10
	v_add_co_ci_u32_e32 v9, vcc_lo, s9, v11, vcc_lo
	s_delay_alu instid0(VALU_DEP_2) | instskip(NEXT) | instid1(VALU_DEP_2)
	v_add_co_u32 v8, vcc_lo, v8, v24
	v_add_co_ci_u32_e32 v9, vcc_lo, v9, v25, vcc_lo
	global_load_u16 v10, v[8:9], off
	v_add_co_u32 v8, vcc_lo, v16, s18
	v_add_co_ci_u32_e32 v9, vcc_lo, s19, v17, vcc_lo
	v_add_co_u32 v6, vcc_lo, v6, s35
	v_add_co_ci_u32_e32 v7, vcc_lo, s36, v7, vcc_lo
	;; [unrolled: 2-line block ×3, first 2 shown]
	v_add_co_u32 v22, vcc_lo, v22, -2
	v_add_co_ci_u32_e32 v23, vcc_lo, -1, v23, vcc_lo
	v_add_co_u32 v14, vcc_lo, v14, s18
	v_add_co_ci_u32_e32 v15, vcc_lo, s19, v15, vcc_lo
	s_delay_alu instid0(VALU_DEP_3) | instskip(SKIP_4) | instid1(VALU_DEP_1)
	v_cmp_eq_u64_e32 vcc_lo, 0, v[22:23]
	s_or_b32 s40, vcc_lo, s40
	s_waitcnt vmcnt(1)
	global_store_b16 v[16:17], v21, off
	v_add_co_u32 v16, s0, v16, s26
	v_add_co_ci_u32_e64 v17, s0, s27, v17, s0
	v_add_co_u32 v18, s0, v18, s18
	s_delay_alu instid0(VALU_DEP_1)
	v_add_co_ci_u32_e64 v19, s0, s19, v19, s0
	s_waitcnt vmcnt(0)
	global_store_b16 v[8:9], v10, off
	s_and_not1_b32 exec_lo, exec_lo, s40
	s_cbranch_execz .LBB42_28
.LBB42_9:                               ; =>This Inner Loop Header: Depth=1
	v_or_b32_e32 v21, s5, v5
                                        ; implicit-def: $vgpr24_vgpr25
	s_mov_b32 s0, exec_lo
	s_delay_alu instid0(VALU_DEP_1)
	v_cmpx_ne_u64_e32 0, v[20:21]
	s_xor_b32 s42, exec_lo, s0
	s_cbranch_execz .LBB42_11
; %bb.10:                               ;   in Loop: Header=BB42_9 Depth=1
	s_add_u32 s30, s4, s28
	s_mov_b32 s29, s28
	s_addc_u32 s31, s5, s28
	s_delay_alu instid0(SALU_CYCLE_1) | instskip(NEXT) | instid1(SALU_CYCLE_1)
	s_xor_b64 s[30:31], s[30:31], s[28:29]
	v_cvt_f32_u32_e32 v8, s30
	v_cvt_f32_u32_e32 v9, s31
	s_sub_u32 s0, 0, s30
	s_subb_u32 s29, 0, s31
	s_delay_alu instid0(VALU_DEP_1) | instskip(NEXT) | instid1(VALU_DEP_1)
	v_fmac_f32_e32 v8, 0x4f800000, v9
	v_rcp_f32_e32 v8, v8
	s_waitcnt_depctr 0xfff
	v_mul_f32_e32 v8, 0x5f7ffffc, v8
	s_delay_alu instid0(VALU_DEP_1) | instskip(NEXT) | instid1(VALU_DEP_1)
	v_mul_f32_e32 v9, 0x2f800000, v8
	v_trunc_f32_e32 v9, v9
	s_delay_alu instid0(VALU_DEP_1) | instskip(SKIP_1) | instid1(VALU_DEP_2)
	v_fmac_f32_e32 v8, 0xcf800000, v9
	v_cvt_u32_f32_e32 v9, v9
	v_cvt_u32_f32_e32 v8, v8
	s_delay_alu instid0(VALU_DEP_2) | instskip(NEXT) | instid1(VALU_DEP_2)
	v_mul_lo_u32 v10, s0, v9
	v_mul_hi_u32 v11, s0, v8
	v_mul_lo_u32 v21, s29, v8
	s_delay_alu instid0(VALU_DEP_2) | instskip(SKIP_1) | instid1(VALU_DEP_2)
	v_add_nc_u32_e32 v10, v11, v10
	v_mul_lo_u32 v11, s0, v8
	v_add_nc_u32_e32 v10, v10, v21
	s_delay_alu instid0(VALU_DEP_2) | instskip(NEXT) | instid1(VALU_DEP_2)
	v_mul_hi_u32 v21, v8, v11
	v_mul_lo_u32 v24, v8, v10
	v_mul_hi_u32 v25, v8, v10
	v_mul_hi_u32 v26, v9, v11
	v_mul_lo_u32 v11, v9, v11
	v_mul_hi_u32 v27, v9, v10
	v_mul_lo_u32 v10, v9, v10
	v_add_co_u32 v21, vcc_lo, v21, v24
	v_add_co_ci_u32_e32 v24, vcc_lo, 0, v25, vcc_lo
	s_delay_alu instid0(VALU_DEP_2) | instskip(NEXT) | instid1(VALU_DEP_2)
	v_add_co_u32 v11, vcc_lo, v21, v11
	v_add_co_ci_u32_e32 v11, vcc_lo, v24, v26, vcc_lo
	v_add_co_ci_u32_e32 v21, vcc_lo, 0, v27, vcc_lo
	v_ashrrev_i32_e32 v26, 31, v5
	s_delay_alu instid0(VALU_DEP_3) | instskip(NEXT) | instid1(VALU_DEP_3)
	v_add_co_u32 v10, vcc_lo, v11, v10
	v_add_co_ci_u32_e32 v11, vcc_lo, 0, v21, vcc_lo
	s_delay_alu instid0(VALU_DEP_2) | instskip(NEXT) | instid1(VALU_DEP_2)
	v_add_co_u32 v8, vcc_lo, v8, v10
	v_add_co_ci_u32_e32 v9, vcc_lo, v9, v11, vcc_lo
	s_delay_alu instid0(VALU_DEP_2) | instskip(SKIP_1) | instid1(VALU_DEP_3)
	v_mul_hi_u32 v10, s0, v8
	v_mul_lo_u32 v21, s29, v8
	v_mul_lo_u32 v11, s0, v9
	s_delay_alu instid0(VALU_DEP_1) | instskip(SKIP_1) | instid1(VALU_DEP_2)
	v_add_nc_u32_e32 v10, v10, v11
	v_mul_lo_u32 v11, s0, v8
	v_add_nc_u32_e32 v10, v10, v21
	s_delay_alu instid0(VALU_DEP_2) | instskip(NEXT) | instid1(VALU_DEP_2)
	v_mul_hi_u32 v21, v8, v11
	v_mul_lo_u32 v24, v8, v10
	v_mul_hi_u32 v25, v8, v10
	v_mul_hi_u32 v27, v9, v11
	v_mul_lo_u32 v11, v9, v11
	v_mul_hi_u32 v28, v9, v10
	v_mul_lo_u32 v10, v9, v10
	v_add_co_u32 v21, vcc_lo, v21, v24
	v_add_co_ci_u32_e32 v24, vcc_lo, 0, v25, vcc_lo
	s_delay_alu instid0(VALU_DEP_2) | instskip(NEXT) | instid1(VALU_DEP_2)
	v_add_co_u32 v11, vcc_lo, v21, v11
	v_add_co_ci_u32_e32 v11, vcc_lo, v24, v27, vcc_lo
	v_add_co_ci_u32_e32 v21, vcc_lo, 0, v28, vcc_lo
	v_add_co_u32 v24, vcc_lo, v4, v26
	v_add_co_ci_u32_e32 v25, vcc_lo, v5, v26, vcc_lo
	s_delay_alu instid0(VALU_DEP_4) | instskip(NEXT) | instid1(VALU_DEP_4)
	v_add_co_u32 v10, vcc_lo, v11, v10
	v_add_co_ci_u32_e32 v11, vcc_lo, 0, v21, vcc_lo
	s_delay_alu instid0(VALU_DEP_4) | instskip(NEXT) | instid1(VALU_DEP_3)
	v_xor_b32_e32 v21, v24, v26
	v_add_co_u32 v24, vcc_lo, v8, v10
	s_delay_alu instid0(VALU_DEP_3) | instskip(SKIP_1) | instid1(VALU_DEP_3)
	v_add_co_ci_u32_e32 v27, vcc_lo, v9, v11, vcc_lo
	v_xor_b32_e32 v28, v25, v26
	v_mul_hi_u32 v29, v21, v24
	s_delay_alu instid0(VALU_DEP_3) | instskip(NEXT) | instid1(VALU_DEP_3)
	v_mad_u64_u32 v[8:9], null, v21, v27, 0
	v_mad_u64_u32 v[10:11], null, v28, v24, 0
	;; [unrolled: 1-line block ×3, first 2 shown]
	s_delay_alu instid0(VALU_DEP_3) | instskip(NEXT) | instid1(VALU_DEP_4)
	v_add_co_u32 v8, vcc_lo, v29, v8
	v_add_co_ci_u32_e32 v9, vcc_lo, 0, v9, vcc_lo
	s_delay_alu instid0(VALU_DEP_2) | instskip(NEXT) | instid1(VALU_DEP_2)
	v_add_co_u32 v8, vcc_lo, v8, v10
	v_add_co_ci_u32_e32 v8, vcc_lo, v9, v11, vcc_lo
	v_add_co_ci_u32_e32 v9, vcc_lo, 0, v25, vcc_lo
	s_delay_alu instid0(VALU_DEP_2) | instskip(NEXT) | instid1(VALU_DEP_2)
	v_add_co_u32 v10, vcc_lo, v8, v24
	v_add_co_ci_u32_e32 v11, vcc_lo, 0, v9, vcc_lo
	s_delay_alu instid0(VALU_DEP_2) | instskip(SKIP_1) | instid1(VALU_DEP_3)
	v_mul_lo_u32 v24, s31, v10
	v_mad_u64_u32 v[8:9], null, s30, v10, 0
	v_mul_lo_u32 v25, s30, v11
	s_delay_alu instid0(VALU_DEP_2) | instskip(NEXT) | instid1(VALU_DEP_2)
	v_sub_co_u32 v8, vcc_lo, v21, v8
	v_add3_u32 v9, v9, v25, v24
	s_delay_alu instid0(VALU_DEP_1) | instskip(NEXT) | instid1(VALU_DEP_1)
	v_sub_nc_u32_e32 v24, v28, v9
	v_subrev_co_ci_u32_e64 v21, s0, s31, v24, vcc_lo
	v_add_co_u32 v24, s0, v10, 2
	s_delay_alu instid0(VALU_DEP_1) | instskip(SKIP_3) | instid1(VALU_DEP_3)
	v_add_co_ci_u32_e64 v25, s0, 0, v11, s0
	v_sub_co_u32 v27, s0, v8, s30
	v_sub_co_ci_u32_e32 v9, vcc_lo, v28, v9, vcc_lo
	v_subrev_co_ci_u32_e64 v21, s0, 0, v21, s0
	v_cmp_le_u32_e32 vcc_lo, s30, v27
	s_delay_alu instid0(VALU_DEP_3) | instskip(SKIP_1) | instid1(VALU_DEP_4)
	v_cmp_eq_u32_e64 s0, s31, v9
	v_cndmask_b32_e64 v27, 0, -1, vcc_lo
	v_cmp_le_u32_e32 vcc_lo, s31, v21
	v_cndmask_b32_e64 v28, 0, -1, vcc_lo
	v_cmp_le_u32_e32 vcc_lo, s30, v8
	;; [unrolled: 2-line block ×3, first 2 shown]
	v_cndmask_b32_e64 v29, 0, -1, vcc_lo
	v_cmp_eq_u32_e32 vcc_lo, s31, v21
	s_delay_alu instid0(VALU_DEP_2) | instskip(SKIP_3) | instid1(VALU_DEP_3)
	v_cndmask_b32_e64 v8, v29, v8, s0
	v_cndmask_b32_e32 v21, v28, v27, vcc_lo
	v_add_co_u32 v27, vcc_lo, v10, 1
	v_add_co_ci_u32_e32 v28, vcc_lo, 0, v11, vcc_lo
	v_cmp_ne_u32_e32 vcc_lo, 0, v21
	s_delay_alu instid0(VALU_DEP_2) | instskip(NEXT) | instid1(VALU_DEP_4)
	v_cndmask_b32_e32 v9, v28, v25, vcc_lo
	v_cndmask_b32_e32 v21, v27, v24, vcc_lo
	v_cmp_ne_u32_e32 vcc_lo, 0, v8
	v_xor_b32_e32 v8, s28, v26
	s_delay_alu instid0(VALU_DEP_4) | instskip(NEXT) | instid1(VALU_DEP_4)
	v_cndmask_b32_e32 v9, v11, v9, vcc_lo
	v_cndmask_b32_e32 v10, v10, v21, vcc_lo
	s_delay_alu instid0(VALU_DEP_2) | instskip(NEXT) | instid1(VALU_DEP_2)
	v_xor_b32_e32 v9, v9, v8
	v_xor_b32_e32 v10, v10, v8
	s_delay_alu instid0(VALU_DEP_1) | instskip(NEXT) | instid1(VALU_DEP_3)
	v_sub_co_u32 v24, vcc_lo, v10, v8
	v_sub_co_ci_u32_e32 v25, vcc_lo, v9, v8, vcc_lo
.LBB42_11:                              ;   in Loop: Header=BB42_9 Depth=1
	s_or_saveexec_b32 s0, s42
	v_cvt_f32_u32_e32 v8, s4
	s_delay_alu instid0(VALU_DEP_1)
	v_rcp_iflag_f32_e32 v8, v8
	s_xor_b32 exec_lo, exec_lo, s0
	s_cbranch_execz .LBB42_13
; %bb.12:                               ;   in Loop: Header=BB42_9 Depth=1
	s_waitcnt_depctr 0xfff
	v_mul_f32_e32 v9, 0x4f7ffffe, v8
	v_mov_b32_e32 v25, v20
	s_delay_alu instid0(VALU_DEP_2) | instskip(NEXT) | instid1(VALU_DEP_1)
	v_cvt_u32_f32_e32 v9, v9
	v_mul_lo_u32 v10, s41, v9
	s_delay_alu instid0(VALU_DEP_1) | instskip(NEXT) | instid1(VALU_DEP_1)
	v_mul_hi_u32 v10, v9, v10
	v_add_nc_u32_e32 v9, v9, v10
	s_delay_alu instid0(VALU_DEP_1) | instskip(NEXT) | instid1(VALU_DEP_1)
	v_mul_hi_u32 v9, v4, v9
	v_mul_lo_u32 v10, v9, s4
	v_add_nc_u32_e32 v11, 1, v9
	s_delay_alu instid0(VALU_DEP_2) | instskip(NEXT) | instid1(VALU_DEP_1)
	v_sub_nc_u32_e32 v10, v4, v10
	v_subrev_nc_u32_e32 v21, s4, v10
	v_cmp_le_u32_e32 vcc_lo, s4, v10
	s_delay_alu instid0(VALU_DEP_2) | instskip(NEXT) | instid1(VALU_DEP_1)
	v_dual_cndmask_b32 v10, v10, v21 :: v_dual_cndmask_b32 v9, v9, v11
	v_cmp_le_u32_e32 vcc_lo, s4, v10
	s_delay_alu instid0(VALU_DEP_2) | instskip(NEXT) | instid1(VALU_DEP_1)
	v_add_nc_u32_e32 v11, 1, v9
	v_cndmask_b32_e32 v24, v9, v11, vcc_lo
.LBB42_13:                              ;   in Loop: Header=BB42_9 Depth=1
	s_or_b32 exec_lo, exec_lo, s0
	v_or_b32_e32 v21, s5, v7
                                        ; implicit-def: $vgpr26_vgpr27
	s_mov_b32 s0, exec_lo
	s_delay_alu instid0(VALU_DEP_1)
	v_cmpx_ne_u64_e32 0, v[20:21]
	s_xor_b32 s42, exec_lo, s0
	s_cbranch_execnz .LBB42_17
; %bb.14:                               ;   in Loop: Header=BB42_9 Depth=1
	s_and_not1_saveexec_b32 s0, s42
	s_cbranch_execnz .LBB42_18
.LBB42_15:                              ;   in Loop: Header=BB42_9 Depth=1
	s_or_b32 exec_lo, exec_lo, s0
	s_delay_alu instid0(SALU_CYCLE_1)
	s_and_not1_b32 vcc_lo, exec_lo, s39
                                        ; implicit-def: $vgpr8_vgpr9_vgpr10_vgpr11
	s_cbranch_vccz .LBB42_19
.LBB42_16:                              ;   in Loop: Header=BB42_9 Depth=1
	s_and_not1_b32 vcc_lo, exec_lo, s39
	s_cbranch_vccnz .LBB42_8
	s_branch .LBB42_24
.LBB42_17:                              ;   in Loop: Header=BB42_9 Depth=1
	s_add_u32 s30, s4, s28
	s_mov_b32 s29, s28
	s_addc_u32 s31, s5, s28
	s_delay_alu instid0(SALU_CYCLE_1) | instskip(NEXT) | instid1(SALU_CYCLE_1)
	s_xor_b64 s[30:31], s[30:31], s[28:29]
	v_cvt_f32_u32_e32 v8, s30
	v_cvt_f32_u32_e32 v9, s31
	s_sub_u32 s0, 0, s30
	s_subb_u32 s29, 0, s31
	s_waitcnt_depctr 0xfff
	v_fmac_f32_e32 v8, 0x4f800000, v9
	s_delay_alu instid0(VALU_DEP_1) | instskip(SKIP_2) | instid1(VALU_DEP_1)
	v_rcp_f32_e32 v8, v8
	s_waitcnt_depctr 0xfff
	v_mul_f32_e32 v8, 0x5f7ffffc, v8
	v_mul_f32_e32 v9, 0x2f800000, v8
	s_delay_alu instid0(VALU_DEP_1) | instskip(NEXT) | instid1(VALU_DEP_1)
	v_trunc_f32_e32 v9, v9
	v_fmac_f32_e32 v8, 0xcf800000, v9
	v_cvt_u32_f32_e32 v9, v9
	s_delay_alu instid0(VALU_DEP_2) | instskip(NEXT) | instid1(VALU_DEP_2)
	v_cvt_u32_f32_e32 v8, v8
	v_mul_lo_u32 v10, s0, v9
	s_delay_alu instid0(VALU_DEP_2) | instskip(SKIP_1) | instid1(VALU_DEP_2)
	v_mul_hi_u32 v11, s0, v8
	v_mul_lo_u32 v21, s29, v8
	v_add_nc_u32_e32 v10, v11, v10
	v_mul_lo_u32 v11, s0, v8
	s_delay_alu instid0(VALU_DEP_2) | instskip(NEXT) | instid1(VALU_DEP_2)
	v_add_nc_u32_e32 v10, v10, v21
	v_mul_hi_u32 v21, v8, v11
	s_delay_alu instid0(VALU_DEP_2)
	v_mul_lo_u32 v26, v8, v10
	v_mul_hi_u32 v27, v8, v10
	v_mul_hi_u32 v28, v9, v11
	v_mul_lo_u32 v11, v9, v11
	v_mul_hi_u32 v29, v9, v10
	v_mul_lo_u32 v10, v9, v10
	v_add_co_u32 v21, vcc_lo, v21, v26
	v_add_co_ci_u32_e32 v26, vcc_lo, 0, v27, vcc_lo
	s_delay_alu instid0(VALU_DEP_2) | instskip(NEXT) | instid1(VALU_DEP_2)
	v_add_co_u32 v11, vcc_lo, v21, v11
	v_add_co_ci_u32_e32 v11, vcc_lo, v26, v28, vcc_lo
	v_add_co_ci_u32_e32 v21, vcc_lo, 0, v29, vcc_lo
	v_ashrrev_i32_e32 v28, 31, v7
	s_delay_alu instid0(VALU_DEP_3) | instskip(NEXT) | instid1(VALU_DEP_3)
	v_add_co_u32 v10, vcc_lo, v11, v10
	v_add_co_ci_u32_e32 v11, vcc_lo, 0, v21, vcc_lo
	s_delay_alu instid0(VALU_DEP_2) | instskip(NEXT) | instid1(VALU_DEP_2)
	v_add_co_u32 v8, vcc_lo, v8, v10
	v_add_co_ci_u32_e32 v9, vcc_lo, v9, v11, vcc_lo
	s_delay_alu instid0(VALU_DEP_2) | instskip(SKIP_1) | instid1(VALU_DEP_3)
	v_mul_hi_u32 v10, s0, v8
	v_mul_lo_u32 v21, s29, v8
	v_mul_lo_u32 v11, s0, v9
	s_delay_alu instid0(VALU_DEP_1) | instskip(SKIP_1) | instid1(VALU_DEP_2)
	v_add_nc_u32_e32 v10, v10, v11
	v_mul_lo_u32 v11, s0, v8
	v_add_nc_u32_e32 v10, v10, v21
	s_delay_alu instid0(VALU_DEP_2) | instskip(NEXT) | instid1(VALU_DEP_2)
	v_mul_hi_u32 v21, v8, v11
	v_mul_lo_u32 v26, v8, v10
	v_mul_hi_u32 v27, v8, v10
	v_mul_hi_u32 v29, v9, v11
	v_mul_lo_u32 v11, v9, v11
	v_mul_hi_u32 v30, v9, v10
	v_mul_lo_u32 v10, v9, v10
	v_add_co_u32 v21, vcc_lo, v21, v26
	v_add_co_ci_u32_e32 v26, vcc_lo, 0, v27, vcc_lo
	s_delay_alu instid0(VALU_DEP_2) | instskip(NEXT) | instid1(VALU_DEP_2)
	v_add_co_u32 v11, vcc_lo, v21, v11
	v_add_co_ci_u32_e32 v11, vcc_lo, v26, v29, vcc_lo
	v_add_co_ci_u32_e32 v21, vcc_lo, 0, v30, vcc_lo
	v_add_co_u32 v26, vcc_lo, v6, v28
	v_add_co_ci_u32_e32 v27, vcc_lo, v7, v28, vcc_lo
	s_delay_alu instid0(VALU_DEP_4) | instskip(NEXT) | instid1(VALU_DEP_4)
	v_add_co_u32 v10, vcc_lo, v11, v10
	v_add_co_ci_u32_e32 v11, vcc_lo, 0, v21, vcc_lo
	s_delay_alu instid0(VALU_DEP_4) | instskip(NEXT) | instid1(VALU_DEP_3)
	v_xor_b32_e32 v21, v26, v28
	v_add_co_u32 v26, vcc_lo, v8, v10
	s_delay_alu instid0(VALU_DEP_3) | instskip(SKIP_1) | instid1(VALU_DEP_3)
	v_add_co_ci_u32_e32 v29, vcc_lo, v9, v11, vcc_lo
	v_xor_b32_e32 v30, v27, v28
	v_mul_hi_u32 v31, v21, v26
	s_delay_alu instid0(VALU_DEP_3) | instskip(NEXT) | instid1(VALU_DEP_3)
	v_mad_u64_u32 v[8:9], null, v21, v29, 0
	v_mad_u64_u32 v[10:11], null, v30, v26, 0
	;; [unrolled: 1-line block ×3, first 2 shown]
	s_delay_alu instid0(VALU_DEP_3) | instskip(NEXT) | instid1(VALU_DEP_4)
	v_add_co_u32 v8, vcc_lo, v31, v8
	v_add_co_ci_u32_e32 v9, vcc_lo, 0, v9, vcc_lo
	s_delay_alu instid0(VALU_DEP_2) | instskip(NEXT) | instid1(VALU_DEP_2)
	v_add_co_u32 v8, vcc_lo, v8, v10
	v_add_co_ci_u32_e32 v8, vcc_lo, v9, v11, vcc_lo
	v_add_co_ci_u32_e32 v9, vcc_lo, 0, v27, vcc_lo
	s_delay_alu instid0(VALU_DEP_2) | instskip(NEXT) | instid1(VALU_DEP_2)
	v_add_co_u32 v10, vcc_lo, v8, v26
	v_add_co_ci_u32_e32 v11, vcc_lo, 0, v9, vcc_lo
	s_delay_alu instid0(VALU_DEP_2) | instskip(SKIP_1) | instid1(VALU_DEP_3)
	v_mul_lo_u32 v26, s31, v10
	v_mad_u64_u32 v[8:9], null, s30, v10, 0
	v_mul_lo_u32 v27, s30, v11
	s_delay_alu instid0(VALU_DEP_2) | instskip(NEXT) | instid1(VALU_DEP_2)
	v_sub_co_u32 v8, vcc_lo, v21, v8
	v_add3_u32 v9, v9, v27, v26
	s_delay_alu instid0(VALU_DEP_1) | instskip(NEXT) | instid1(VALU_DEP_1)
	v_sub_nc_u32_e32 v26, v30, v9
	v_subrev_co_ci_u32_e64 v21, s0, s31, v26, vcc_lo
	v_add_co_u32 v26, s0, v10, 2
	s_delay_alu instid0(VALU_DEP_1) | instskip(SKIP_3) | instid1(VALU_DEP_3)
	v_add_co_ci_u32_e64 v27, s0, 0, v11, s0
	v_sub_co_u32 v29, s0, v8, s30
	v_sub_co_ci_u32_e32 v9, vcc_lo, v30, v9, vcc_lo
	v_subrev_co_ci_u32_e64 v21, s0, 0, v21, s0
	v_cmp_le_u32_e32 vcc_lo, s30, v29
	s_delay_alu instid0(VALU_DEP_3) | instskip(SKIP_1) | instid1(VALU_DEP_4)
	v_cmp_eq_u32_e64 s0, s31, v9
	v_cndmask_b32_e64 v29, 0, -1, vcc_lo
	v_cmp_le_u32_e32 vcc_lo, s31, v21
	v_cndmask_b32_e64 v30, 0, -1, vcc_lo
	v_cmp_le_u32_e32 vcc_lo, s30, v8
	v_cndmask_b32_e64 v8, 0, -1, vcc_lo
	v_cmp_le_u32_e32 vcc_lo, s31, v9
	v_cndmask_b32_e64 v31, 0, -1, vcc_lo
	v_cmp_eq_u32_e32 vcc_lo, s31, v21
	s_delay_alu instid0(VALU_DEP_2) | instskip(SKIP_3) | instid1(VALU_DEP_3)
	v_cndmask_b32_e64 v8, v31, v8, s0
	v_cndmask_b32_e32 v21, v30, v29, vcc_lo
	v_add_co_u32 v29, vcc_lo, v10, 1
	v_add_co_ci_u32_e32 v30, vcc_lo, 0, v11, vcc_lo
	v_cmp_ne_u32_e32 vcc_lo, 0, v21
	s_delay_alu instid0(VALU_DEP_2) | instskip(NEXT) | instid1(VALU_DEP_4)
	v_cndmask_b32_e32 v9, v30, v27, vcc_lo
	v_cndmask_b32_e32 v21, v29, v26, vcc_lo
	v_cmp_ne_u32_e32 vcc_lo, 0, v8
	v_xor_b32_e32 v8, s28, v28
	s_delay_alu instid0(VALU_DEP_4) | instskip(NEXT) | instid1(VALU_DEP_4)
	v_cndmask_b32_e32 v9, v11, v9, vcc_lo
	v_cndmask_b32_e32 v10, v10, v21, vcc_lo
	s_delay_alu instid0(VALU_DEP_2) | instskip(NEXT) | instid1(VALU_DEP_2)
	v_xor_b32_e32 v9, v9, v8
	v_xor_b32_e32 v10, v10, v8
	s_delay_alu instid0(VALU_DEP_1) | instskip(NEXT) | instid1(VALU_DEP_3)
	v_sub_co_u32 v26, vcc_lo, v10, v8
	v_sub_co_ci_u32_e32 v27, vcc_lo, v9, v8, vcc_lo
                                        ; implicit-def: $vgpr8
	s_and_not1_saveexec_b32 s0, s42
	s_cbranch_execz .LBB42_15
.LBB42_18:                              ;   in Loop: Header=BB42_9 Depth=1
	s_waitcnt_depctr 0xfff
	v_dual_mul_f32 v8, 0x4f7ffffe, v8 :: v_dual_mov_b32 v27, v20
	s_delay_alu instid0(VALU_DEP_1) | instskip(NEXT) | instid1(VALU_DEP_1)
	v_cvt_u32_f32_e32 v8, v8
	v_mul_lo_u32 v9, s41, v8
	s_delay_alu instid0(VALU_DEP_1) | instskip(NEXT) | instid1(VALU_DEP_1)
	v_mul_hi_u32 v9, v8, v9
	v_add_nc_u32_e32 v8, v8, v9
	s_delay_alu instid0(VALU_DEP_1) | instskip(NEXT) | instid1(VALU_DEP_1)
	v_mul_hi_u32 v8, v6, v8
	v_mul_lo_u32 v9, v8, s4
	v_add_nc_u32_e32 v10, 1, v8
	s_delay_alu instid0(VALU_DEP_2) | instskip(NEXT) | instid1(VALU_DEP_1)
	v_sub_nc_u32_e32 v9, v6, v9
	v_subrev_nc_u32_e32 v11, s4, v9
	v_cmp_le_u32_e32 vcc_lo, s4, v9
	s_delay_alu instid0(VALU_DEP_2) | instskip(NEXT) | instid1(VALU_DEP_1)
	v_dual_cndmask_b32 v9, v9, v11 :: v_dual_cndmask_b32 v8, v8, v10
	v_cmp_le_u32_e32 vcc_lo, s4, v9
	s_delay_alu instid0(VALU_DEP_2) | instskip(NEXT) | instid1(VALU_DEP_1)
	v_add_nc_u32_e32 v10, 1, v8
	v_cndmask_b32_e32 v26, v8, v10, vcc_lo
	s_or_b32 exec_lo, exec_lo, s0
	s_delay_alu instid0(SALU_CYCLE_1)
	s_and_not1_b32 vcc_lo, exec_lo, s39
                                        ; implicit-def: $vgpr8_vgpr9_vgpr10_vgpr11
	s_cbranch_vccnz .LBB42_16
.LBB42_19:                              ;   in Loop: Header=BB42_9 Depth=1
	v_mad_u64_u32 v[10:11], null, s20, v24, v[14:15]
	v_mul_lo_u32 v8, s20, v25
	v_mul_lo_u32 v9, s21, v24
	s_mov_b32 s0, exec_lo
	s_waitcnt_depctr 0xfff
	v_add3_u32 v11, v9, v11, v8
                                        ; implicit-def: $vgpr8_vgpr9
	s_delay_alu instid0(VALU_DEP_1) | instskip(NEXT) | instid1(VALU_DEP_1)
	v_or_b32_e32 v21, s3, v11
	v_cmpx_ne_u64_e32 0, v[20:21]
	s_xor_b32 s29, exec_lo, s0
	s_cbranch_execz .LBB42_21
; %bb.20:                               ;   in Loop: Header=BB42_9 Depth=1
	s_ashr_i32 s30, s3, 31
	s_delay_alu instid0(SALU_CYCLE_1) | instskip(SKIP_2) | instid1(SALU_CYCLE_1)
	s_add_u32 s42, s2, s30
	s_mov_b32 s31, s30
	s_addc_u32 s43, s3, s30
	s_xor_b64 s[30:31], s[42:43], s[30:31]
	s_delay_alu instid0(SALU_CYCLE_1) | instskip(SKIP_3) | instid1(VALU_DEP_1)
	v_cvt_f32_u32_e32 v8, s30
	v_cvt_f32_u32_e32 v9, s31
	s_sub_u32 s0, 0, s30
	s_subb_u32 s42, 0, s31
	v_fmac_f32_e32 v8, 0x4f800000, v9
	s_delay_alu instid0(VALU_DEP_1) | instskip(SKIP_2) | instid1(VALU_DEP_1)
	v_rcp_f32_e32 v8, v8
	s_waitcnt_depctr 0xfff
	v_mul_f32_e32 v8, 0x5f7ffffc, v8
	v_mul_f32_e32 v9, 0x2f800000, v8
	s_delay_alu instid0(VALU_DEP_1) | instskip(NEXT) | instid1(VALU_DEP_1)
	v_trunc_f32_e32 v9, v9
	v_fmac_f32_e32 v8, 0xcf800000, v9
	v_cvt_u32_f32_e32 v9, v9
	s_delay_alu instid0(VALU_DEP_2) | instskip(NEXT) | instid1(VALU_DEP_2)
	v_cvt_u32_f32_e32 v8, v8
	v_mul_lo_u32 v21, s0, v9
	s_delay_alu instid0(VALU_DEP_2) | instskip(SKIP_1) | instid1(VALU_DEP_2)
	v_mul_hi_u32 v28, s0, v8
	v_mul_lo_u32 v29, s42, v8
	v_add_nc_u32_e32 v21, v28, v21
	v_mul_lo_u32 v28, s0, v8
	s_delay_alu instid0(VALU_DEP_2) | instskip(NEXT) | instid1(VALU_DEP_2)
	v_add_nc_u32_e32 v21, v21, v29
	v_mul_hi_u32 v29, v8, v28
	s_delay_alu instid0(VALU_DEP_2)
	v_mul_lo_u32 v30, v8, v21
	v_mul_hi_u32 v31, v8, v21
	v_mul_hi_u32 v32, v9, v28
	v_mul_lo_u32 v28, v9, v28
	v_mul_hi_u32 v33, v9, v21
	v_mul_lo_u32 v21, v9, v21
	v_add_co_u32 v29, vcc_lo, v29, v30
	v_add_co_ci_u32_e32 v30, vcc_lo, 0, v31, vcc_lo
	s_delay_alu instid0(VALU_DEP_2) | instskip(NEXT) | instid1(VALU_DEP_2)
	v_add_co_u32 v28, vcc_lo, v29, v28
	v_add_co_ci_u32_e32 v28, vcc_lo, v30, v32, vcc_lo
	v_add_co_ci_u32_e32 v29, vcc_lo, 0, v33, vcc_lo
	v_ashrrev_i32_e32 v32, 31, v11
	s_delay_alu instid0(VALU_DEP_3) | instskip(NEXT) | instid1(VALU_DEP_3)
	v_add_co_u32 v21, vcc_lo, v28, v21
	v_add_co_ci_u32_e32 v28, vcc_lo, 0, v29, vcc_lo
	s_delay_alu instid0(VALU_DEP_2) | instskip(NEXT) | instid1(VALU_DEP_2)
	v_add_co_u32 v8, vcc_lo, v8, v21
	v_add_co_ci_u32_e32 v9, vcc_lo, v9, v28, vcc_lo
	s_delay_alu instid0(VALU_DEP_2) | instskip(SKIP_1) | instid1(VALU_DEP_3)
	v_mul_hi_u32 v21, s0, v8
	v_mul_lo_u32 v29, s42, v8
	v_mul_lo_u32 v28, s0, v9
	s_delay_alu instid0(VALU_DEP_1) | instskip(SKIP_1) | instid1(VALU_DEP_2)
	v_add_nc_u32_e32 v21, v21, v28
	v_mul_lo_u32 v28, s0, v8
	v_add_nc_u32_e32 v21, v21, v29
	s_delay_alu instid0(VALU_DEP_2) | instskip(NEXT) | instid1(VALU_DEP_2)
	v_mul_hi_u32 v29, v8, v28
	v_mul_lo_u32 v30, v8, v21
	v_mul_hi_u32 v31, v8, v21
	v_mul_hi_u32 v33, v9, v28
	v_mul_lo_u32 v28, v9, v28
	v_mul_hi_u32 v34, v9, v21
	v_mul_lo_u32 v21, v9, v21
	v_add_co_u32 v29, vcc_lo, v29, v30
	v_add_co_ci_u32_e32 v30, vcc_lo, 0, v31, vcc_lo
	s_delay_alu instid0(VALU_DEP_2) | instskip(NEXT) | instid1(VALU_DEP_2)
	v_add_co_u32 v28, vcc_lo, v29, v28
	v_add_co_ci_u32_e32 v28, vcc_lo, v30, v33, vcc_lo
	v_add_co_ci_u32_e32 v29, vcc_lo, 0, v34, vcc_lo
	v_add_co_u32 v10, vcc_lo, v10, v32
	v_add_co_ci_u32_e32 v11, vcc_lo, v11, v32, vcc_lo
	s_delay_alu instid0(VALU_DEP_4) | instskip(NEXT) | instid1(VALU_DEP_4)
	v_add_co_u32 v21, vcc_lo, v28, v21
	v_add_co_ci_u32_e32 v28, vcc_lo, 0, v29, vcc_lo
	s_delay_alu instid0(VALU_DEP_4) | instskip(NEXT) | instid1(VALU_DEP_3)
	v_xor_b32_e32 v30, v10, v32
	v_add_co_u32 v21, vcc_lo, v8, v21
	s_delay_alu instid0(VALU_DEP_3) | instskip(SKIP_1) | instid1(VALU_DEP_3)
	v_add_co_ci_u32_e32 v31, vcc_lo, v9, v28, vcc_lo
	v_xor_b32_e32 v33, v11, v32
	v_mul_hi_u32 v34, v30, v21
	s_delay_alu instid0(VALU_DEP_3) | instskip(NEXT) | instid1(VALU_DEP_3)
	v_mad_u64_u32 v[8:9], null, v30, v31, 0
	v_mad_u64_u32 v[10:11], null, v33, v21, 0
	;; [unrolled: 1-line block ×3, first 2 shown]
	s_delay_alu instid0(VALU_DEP_3) | instskip(NEXT) | instid1(VALU_DEP_4)
	v_add_co_u32 v8, vcc_lo, v34, v8
	v_add_co_ci_u32_e32 v9, vcc_lo, 0, v9, vcc_lo
	s_delay_alu instid0(VALU_DEP_2) | instskip(NEXT) | instid1(VALU_DEP_2)
	v_add_co_u32 v8, vcc_lo, v8, v10
	v_add_co_ci_u32_e32 v8, vcc_lo, v9, v11, vcc_lo
	v_add_co_ci_u32_e32 v9, vcc_lo, 0, v29, vcc_lo
	s_delay_alu instid0(VALU_DEP_2) | instskip(NEXT) | instid1(VALU_DEP_2)
	v_add_co_u32 v10, vcc_lo, v8, v28
	v_add_co_ci_u32_e32 v11, vcc_lo, 0, v9, vcc_lo
	s_delay_alu instid0(VALU_DEP_2) | instskip(SKIP_1) | instid1(VALU_DEP_3)
	v_mul_lo_u32 v21, s31, v10
	v_mad_u64_u32 v[8:9], null, s30, v10, 0
	v_mul_lo_u32 v10, s30, v11
	s_delay_alu instid0(VALU_DEP_2) | instskip(NEXT) | instid1(VALU_DEP_2)
	v_sub_co_u32 v8, vcc_lo, v30, v8
	v_add3_u32 v9, v9, v10, v21
	s_delay_alu instid0(VALU_DEP_1) | instskip(NEXT) | instid1(VALU_DEP_1)
	v_sub_nc_u32_e32 v10, v33, v9
	v_subrev_co_ci_u32_e64 v10, s0, s31, v10, vcc_lo
	v_sub_co_ci_u32_e32 v9, vcc_lo, v33, v9, vcc_lo
	v_sub_co_u32 v11, vcc_lo, v8, s30
	s_delay_alu instid0(VALU_DEP_1) | instskip(SKIP_3) | instid1(VALU_DEP_3)
	v_subrev_co_ci_u32_e64 v21, s0, 0, v10, vcc_lo
	v_cmp_le_u32_e64 s0, s30, v8
	v_subrev_co_ci_u32_e32 v10, vcc_lo, s31, v10, vcc_lo
	v_cmp_le_u32_e32 vcc_lo, s31, v9
	v_cndmask_b32_e64 v28, 0, -1, s0
	v_cmp_le_u32_e64 s0, s30, v11
	v_cndmask_b32_e64 v31, 0, -1, vcc_lo
	v_cmp_eq_u32_e32 vcc_lo, s31, v21
	s_delay_alu instid0(VALU_DEP_3) | instskip(SKIP_1) | instid1(VALU_DEP_1)
	v_cndmask_b32_e64 v29, 0, -1, s0
	v_cmp_le_u32_e64 s0, s31, v21
	v_cndmask_b32_e64 v30, 0, -1, s0
	v_cmp_eq_u32_e64 s0, s31, v9
	s_delay_alu instid0(VALU_DEP_2) | instskip(SKIP_2) | instid1(VALU_DEP_3)
	v_cndmask_b32_e32 v29, v30, v29, vcc_lo
	v_sub_co_u32 v30, vcc_lo, v11, s30
	v_subrev_co_ci_u32_e32 v10, vcc_lo, 0, v10, vcc_lo
	v_cmp_ne_u32_e32 vcc_lo, 0, v29
	v_cndmask_b32_e64 v28, v31, v28, s0
	s_delay_alu instid0(VALU_DEP_3) | instskip(SKIP_1) | instid1(VALU_DEP_3)
	v_cndmask_b32_e32 v10, v21, v10, vcc_lo
	v_cndmask_b32_e32 v11, v11, v30, vcc_lo
	v_cmp_ne_u32_e32 vcc_lo, 0, v28
	s_delay_alu instid0(VALU_DEP_2) | instskip(NEXT) | instid1(VALU_DEP_1)
	v_dual_cndmask_b32 v8, v8, v11 :: v_dual_cndmask_b32 v9, v9, v10
                                        ; implicit-def: $vgpr10_vgpr11
	v_xor_b32_e32 v8, v8, v32
	s_delay_alu instid0(VALU_DEP_2) | instskip(NEXT) | instid1(VALU_DEP_2)
	v_xor_b32_e32 v9, v9, v32
	v_sub_co_u32 v8, vcc_lo, v8, v32
	s_delay_alu instid0(VALU_DEP_2)
	v_sub_co_ci_u32_e32 v9, vcc_lo, v9, v32, vcc_lo
.LBB42_21:                              ;   in Loop: Header=BB42_9 Depth=1
	s_and_not1_saveexec_b32 s0, s29
	s_cbranch_execz .LBB42_23
; %bb.22:                               ;   in Loop: Header=BB42_9 Depth=1
	v_cvt_f32_u32_e32 v8, s2
	s_sub_i32 s29, 0, s2
	s_delay_alu instid0(VALU_DEP_1) | instskip(SKIP_2) | instid1(VALU_DEP_1)
	v_rcp_iflag_f32_e32 v8, v8
	s_waitcnt_depctr 0xfff
	v_mul_f32_e32 v8, 0x4f7ffffe, v8
	v_cvt_u32_f32_e32 v8, v8
	s_delay_alu instid0(VALU_DEP_1) | instskip(NEXT) | instid1(VALU_DEP_1)
	v_mul_lo_u32 v9, s29, v8
	v_mul_hi_u32 v9, v8, v9
	s_delay_alu instid0(VALU_DEP_1) | instskip(NEXT) | instid1(VALU_DEP_1)
	v_add_nc_u32_e32 v8, v8, v9
	v_mul_hi_u32 v8, v10, v8
	s_delay_alu instid0(VALU_DEP_1) | instskip(NEXT) | instid1(VALU_DEP_1)
	v_mul_lo_u32 v8, v8, s2
	v_sub_nc_u32_e32 v8, v10, v8
	s_delay_alu instid0(VALU_DEP_1) | instskip(SKIP_1) | instid1(VALU_DEP_2)
	v_subrev_nc_u32_e32 v9, s2, v8
	v_cmp_le_u32_e32 vcc_lo, s2, v8
	v_cndmask_b32_e32 v8, v8, v9, vcc_lo
	s_delay_alu instid0(VALU_DEP_1) | instskip(SKIP_1) | instid1(VALU_DEP_2)
	v_subrev_nc_u32_e32 v9, s2, v8
	v_cmp_le_u32_e32 vcc_lo, s2, v8
	v_cndmask_b32_e32 v8, v8, v9, vcc_lo
	v_mov_b32_e32 v9, v20
.LBB42_23:                              ;   in Loop: Header=BB42_9 Depth=1
	s_or_b32 exec_lo, exec_lo, s0
                                        ; kill: def $vgpr10 killed $sgpr0 killed $exec
	s_delay_alu instid0(SALU_CYCLE_1)
	s_and_not1_b32 vcc_lo, exec_lo, s39
	s_cbranch_vccnz .LBB42_8
.LBB42_24:                              ;   in Loop: Header=BB42_9 Depth=1
	v_mad_u64_u32 v[28:29], null, s20, v26, v[18:19]
	v_mul_lo_u32 v10, s20, v27
	v_mul_lo_u32 v11, s21, v26
	s_delay_alu instid0(VALU_DEP_1) | instskip(SKIP_1) | instid1(VALU_DEP_1)
	v_add3_u32 v29, v11, v29, v10
                                        ; kill: def $vgpr10_vgpr11 killed $sgpr0_sgpr1 killed $exec
	s_mov_b32 s0, exec_lo
	v_or_b32_e32 v21, s3, v29
	s_delay_alu instid0(VALU_DEP_1)
	v_cmpx_ne_u64_e32 0, v[20:21]
	s_xor_b32 s29, exec_lo, s0
	s_cbranch_execz .LBB42_26
; %bb.25:                               ;   in Loop: Header=BB42_9 Depth=1
	s_ashr_i32 s30, s3, 31
	s_delay_alu instid0(SALU_CYCLE_1) | instskip(SKIP_2) | instid1(SALU_CYCLE_1)
	s_add_u32 s42, s2, s30
	s_mov_b32 s31, s30
	s_addc_u32 s43, s3, s30
	s_xor_b64 s[30:31], s[42:43], s[30:31]
	s_delay_alu instid0(SALU_CYCLE_1) | instskip(SKIP_3) | instid1(VALU_DEP_1)
	v_cvt_f32_u32_e32 v10, s30
	v_cvt_f32_u32_e32 v11, s31
	s_sub_u32 s0, 0, s30
	s_subb_u32 s42, 0, s31
	v_fmac_f32_e32 v10, 0x4f800000, v11
	s_delay_alu instid0(VALU_DEP_1) | instskip(SKIP_2) | instid1(VALU_DEP_1)
	v_rcp_f32_e32 v10, v10
	s_waitcnt_depctr 0xfff
	v_mul_f32_e32 v10, 0x5f7ffffc, v10
	v_mul_f32_e32 v11, 0x2f800000, v10
	s_delay_alu instid0(VALU_DEP_1) | instskip(NEXT) | instid1(VALU_DEP_1)
	v_trunc_f32_e32 v11, v11
	v_fmac_f32_e32 v10, 0xcf800000, v11
	v_cvt_u32_f32_e32 v11, v11
	s_delay_alu instid0(VALU_DEP_2) | instskip(NEXT) | instid1(VALU_DEP_2)
	v_cvt_u32_f32_e32 v10, v10
	v_mul_lo_u32 v21, s0, v11
	s_delay_alu instid0(VALU_DEP_2) | instskip(SKIP_1) | instid1(VALU_DEP_2)
	v_mul_hi_u32 v30, s0, v10
	v_mul_lo_u32 v31, s42, v10
	v_add_nc_u32_e32 v21, v30, v21
	v_mul_lo_u32 v30, s0, v10
	s_delay_alu instid0(VALU_DEP_2) | instskip(NEXT) | instid1(VALU_DEP_2)
	v_add_nc_u32_e32 v21, v21, v31
	v_mul_hi_u32 v31, v10, v30
	s_delay_alu instid0(VALU_DEP_2)
	v_mul_lo_u32 v32, v10, v21
	v_mul_hi_u32 v33, v10, v21
	v_mul_hi_u32 v34, v11, v30
	v_mul_lo_u32 v30, v11, v30
	v_mul_hi_u32 v35, v11, v21
	v_mul_lo_u32 v21, v11, v21
	v_add_co_u32 v31, vcc_lo, v31, v32
	v_add_co_ci_u32_e32 v32, vcc_lo, 0, v33, vcc_lo
	s_delay_alu instid0(VALU_DEP_2) | instskip(NEXT) | instid1(VALU_DEP_2)
	v_add_co_u32 v30, vcc_lo, v31, v30
	v_add_co_ci_u32_e32 v30, vcc_lo, v32, v34, vcc_lo
	v_add_co_ci_u32_e32 v31, vcc_lo, 0, v35, vcc_lo
	v_ashrrev_i32_e32 v34, 31, v29
	s_delay_alu instid0(VALU_DEP_3) | instskip(NEXT) | instid1(VALU_DEP_3)
	v_add_co_u32 v21, vcc_lo, v30, v21
	v_add_co_ci_u32_e32 v30, vcc_lo, 0, v31, vcc_lo
	s_delay_alu instid0(VALU_DEP_2) | instskip(NEXT) | instid1(VALU_DEP_2)
	v_add_co_u32 v10, vcc_lo, v10, v21
	v_add_co_ci_u32_e32 v11, vcc_lo, v11, v30, vcc_lo
	s_delay_alu instid0(VALU_DEP_2) | instskip(SKIP_1) | instid1(VALU_DEP_3)
	v_mul_hi_u32 v21, s0, v10
	v_mul_lo_u32 v31, s42, v10
	v_mul_lo_u32 v30, s0, v11
	s_delay_alu instid0(VALU_DEP_1) | instskip(SKIP_1) | instid1(VALU_DEP_2)
	v_add_nc_u32_e32 v21, v21, v30
	v_mul_lo_u32 v30, s0, v10
	v_add_nc_u32_e32 v21, v21, v31
	s_delay_alu instid0(VALU_DEP_2) | instskip(NEXT) | instid1(VALU_DEP_2)
	v_mul_hi_u32 v31, v10, v30
	v_mul_lo_u32 v32, v10, v21
	v_mul_hi_u32 v33, v10, v21
	v_mul_hi_u32 v35, v11, v30
	v_mul_lo_u32 v30, v11, v30
	v_mul_hi_u32 v36, v11, v21
	v_mul_lo_u32 v21, v11, v21
	v_add_co_u32 v31, vcc_lo, v31, v32
	v_add_co_ci_u32_e32 v32, vcc_lo, 0, v33, vcc_lo
	s_delay_alu instid0(VALU_DEP_2) | instskip(NEXT) | instid1(VALU_DEP_2)
	v_add_co_u32 v30, vcc_lo, v31, v30
	v_add_co_ci_u32_e32 v30, vcc_lo, v32, v35, vcc_lo
	v_add_co_ci_u32_e32 v31, vcc_lo, 0, v36, vcc_lo
	v_add_co_u32 v28, vcc_lo, v28, v34
	v_add_co_ci_u32_e32 v29, vcc_lo, v29, v34, vcc_lo
	s_delay_alu instid0(VALU_DEP_4) | instskip(NEXT) | instid1(VALU_DEP_4)
	v_add_co_u32 v21, vcc_lo, v30, v21
	v_add_co_ci_u32_e32 v30, vcc_lo, 0, v31, vcc_lo
	s_delay_alu instid0(VALU_DEP_4) | instskip(NEXT) | instid1(VALU_DEP_3)
	v_xor_b32_e32 v32, v28, v34
	v_add_co_u32 v21, vcc_lo, v10, v21
	s_delay_alu instid0(VALU_DEP_3) | instskip(SKIP_1) | instid1(VALU_DEP_3)
	v_add_co_ci_u32_e32 v33, vcc_lo, v11, v30, vcc_lo
	v_xor_b32_e32 v35, v29, v34
	v_mul_hi_u32 v36, v32, v21
	s_delay_alu instid0(VALU_DEP_3) | instskip(NEXT) | instid1(VALU_DEP_3)
	v_mad_u64_u32 v[10:11], null, v32, v33, 0
	v_mad_u64_u32 v[28:29], null, v35, v21, 0
	;; [unrolled: 1-line block ×3, first 2 shown]
	s_delay_alu instid0(VALU_DEP_3) | instskip(NEXT) | instid1(VALU_DEP_4)
	v_add_co_u32 v10, vcc_lo, v36, v10
	v_add_co_ci_u32_e32 v11, vcc_lo, 0, v11, vcc_lo
	s_delay_alu instid0(VALU_DEP_2) | instskip(NEXT) | instid1(VALU_DEP_2)
	v_add_co_u32 v10, vcc_lo, v10, v28
	v_add_co_ci_u32_e32 v10, vcc_lo, v11, v29, vcc_lo
	v_add_co_ci_u32_e32 v11, vcc_lo, 0, v31, vcc_lo
	s_delay_alu instid0(VALU_DEP_2) | instskip(NEXT) | instid1(VALU_DEP_2)
	v_add_co_u32 v21, vcc_lo, v10, v30
	v_add_co_ci_u32_e32 v28, vcc_lo, 0, v11, vcc_lo
	s_delay_alu instid0(VALU_DEP_2) | instskip(SKIP_1) | instid1(VALU_DEP_3)
	v_mul_lo_u32 v29, s31, v21
	v_mad_u64_u32 v[10:11], null, s30, v21, 0
	v_mul_lo_u32 v21, s30, v28
	s_delay_alu instid0(VALU_DEP_2) | instskip(NEXT) | instid1(VALU_DEP_2)
	v_sub_co_u32 v10, vcc_lo, v32, v10
	v_add3_u32 v11, v11, v21, v29
	s_delay_alu instid0(VALU_DEP_1) | instskip(NEXT) | instid1(VALU_DEP_1)
	v_sub_nc_u32_e32 v21, v35, v11
	v_subrev_co_ci_u32_e64 v21, s0, s31, v21, vcc_lo
	v_sub_co_ci_u32_e32 v11, vcc_lo, v35, v11, vcc_lo
	v_sub_co_u32 v28, vcc_lo, v10, s30
	s_delay_alu instid0(VALU_DEP_1) | instskip(SKIP_3) | instid1(VALU_DEP_3)
	v_subrev_co_ci_u32_e64 v29, s0, 0, v21, vcc_lo
	v_cmp_le_u32_e64 s0, s30, v10
	v_subrev_co_ci_u32_e32 v21, vcc_lo, s31, v21, vcc_lo
	v_cmp_le_u32_e32 vcc_lo, s31, v11
	v_cndmask_b32_e64 v30, 0, -1, s0
	v_cmp_le_u32_e64 s0, s30, v28
	v_cndmask_b32_e64 v33, 0, -1, vcc_lo
	v_cmp_eq_u32_e32 vcc_lo, s31, v29
	s_delay_alu instid0(VALU_DEP_3) | instskip(SKIP_1) | instid1(VALU_DEP_1)
	v_cndmask_b32_e64 v31, 0, -1, s0
	v_cmp_le_u32_e64 s0, s31, v29
	v_cndmask_b32_e64 v32, 0, -1, s0
	v_cmp_eq_u32_e64 s0, s31, v11
	s_delay_alu instid0(VALU_DEP_2) | instskip(SKIP_2) | instid1(VALU_DEP_3)
	v_cndmask_b32_e32 v31, v32, v31, vcc_lo
	v_sub_co_u32 v32, vcc_lo, v28, s30
	v_subrev_co_ci_u32_e32 v21, vcc_lo, 0, v21, vcc_lo
	v_cmp_ne_u32_e32 vcc_lo, 0, v31
	v_cndmask_b32_e64 v30, v33, v30, s0
	s_delay_alu instid0(VALU_DEP_3) | instskip(NEXT) | instid1(VALU_DEP_2)
	v_dual_cndmask_b32 v21, v29, v21 :: v_dual_cndmask_b32 v28, v28, v32
	v_cmp_ne_u32_e32 vcc_lo, 0, v30
	s_delay_alu instid0(VALU_DEP_2) | instskip(NEXT) | instid1(VALU_DEP_1)
	v_dual_cndmask_b32 v10, v10, v28 :: v_dual_cndmask_b32 v11, v11, v21
                                        ; implicit-def: $vgpr28_vgpr29
	v_xor_b32_e32 v10, v10, v34
	s_delay_alu instid0(VALU_DEP_2) | instskip(NEXT) | instid1(VALU_DEP_2)
	v_xor_b32_e32 v11, v11, v34
	v_sub_co_u32 v10, vcc_lo, v10, v34
	s_delay_alu instid0(VALU_DEP_2)
	v_sub_co_ci_u32_e32 v11, vcc_lo, v11, v34, vcc_lo
.LBB42_26:                              ;   in Loop: Header=BB42_9 Depth=1
	s_and_not1_saveexec_b32 s0, s29
	s_cbranch_execz .LBB42_7
; %bb.27:                               ;   in Loop: Header=BB42_9 Depth=1
	v_cvt_f32_u32_e32 v10, s2
	s_sub_i32 s29, 0, s2
	s_delay_alu instid0(VALU_DEP_1) | instskip(SKIP_2) | instid1(VALU_DEP_1)
	v_rcp_iflag_f32_e32 v10, v10
	s_waitcnt_depctr 0xfff
	v_mul_f32_e32 v10, 0x4f7ffffe, v10
	v_cvt_u32_f32_e32 v10, v10
	s_delay_alu instid0(VALU_DEP_1) | instskip(NEXT) | instid1(VALU_DEP_1)
	v_mul_lo_u32 v11, s29, v10
	v_mul_hi_u32 v11, v10, v11
	s_delay_alu instid0(VALU_DEP_1) | instskip(NEXT) | instid1(VALU_DEP_1)
	v_add_nc_u32_e32 v10, v10, v11
	v_mul_hi_u32 v10, v28, v10
	s_delay_alu instid0(VALU_DEP_1) | instskip(NEXT) | instid1(VALU_DEP_1)
	v_mul_lo_u32 v10, v10, s2
	v_sub_nc_u32_e32 v10, v28, v10
	s_delay_alu instid0(VALU_DEP_1) | instskip(SKIP_1) | instid1(VALU_DEP_2)
	v_subrev_nc_u32_e32 v11, s2, v10
	v_cmp_le_u32_e32 vcc_lo, s2, v10
	v_cndmask_b32_e32 v10, v10, v11, vcc_lo
	s_delay_alu instid0(VALU_DEP_1) | instskip(SKIP_1) | instid1(VALU_DEP_2)
	v_subrev_nc_u32_e32 v11, s2, v10
	v_cmp_le_u32_e32 vcc_lo, s2, v10
	v_dual_cndmask_b32 v10, v10, v11 :: v_dual_mov_b32 v11, v20
	s_branch .LBB42_7
.LBB42_28:
	s_or_b32 exec_lo, exec_lo, s40
	v_mad_u64_u32 v[4:5], null, v12, s16, v[2:3]
	v_mul_lo_u32 v2, v12, s17
	v_mul_lo_u32 v3, v13, s16
	v_cmp_ne_u64_e32 vcc_lo, v[0:1], v[12:13]
	s_and_b32 s0, vcc_lo, exec_lo
	s_delay_alu instid0(VALU_DEP_2)
	v_add3_u32 v5, v3, v5, v2
                                        ; implicit-def: $vgpr2_vgpr3
.LBB42_29:
	s_or_saveexec_b32 s22, s33
	v_dual_mov_b32 v0, s20 :: v_dual_mov_b32 v1, s21
	v_dual_mov_b32 v6, s18 :: v_dual_mov_b32 v7, s19
	s_xor_b32 exec_lo, exec_lo, s22
; %bb.30:
	s_sub_u32 s18, 0, s4
	s_subb_u32 s19, 0, s5
	s_lshl_b64 s[20:21], s[16:17], 1
	v_dual_mov_b32 v0, s18 :: v_dual_mov_b32 v1, s19
	v_dual_mov_b32 v6, s20 :: v_dual_mov_b32 v7, s21
	;; [unrolled: 1-line block ×3, first 2 shown]
	s_or_b32 s0, s0, exec_lo
; %bb.31:
	s_or_b32 exec_lo, exec_lo, s22
	s_delay_alu instid0(SALU_CYCLE_1)
	s_and_b32 exec_lo, exec_lo, s0
	s_cbranch_execz .LBB42_44
; %bb.32:
	v_cvt_f32_u32_e32 v2, s4
	s_sub_u32 s20, 0, s14
	s_subb_u32 s21, 0, s15
	s_sub_i32 s0, 0, s4
	v_lshlrev_b64 v[8:9], 1, v[4:5]
	v_rcp_iflag_f32_e32 v2, v2
	s_mov_b32 s22, 0
	s_ashr_i32 s14, s3, 31
	s_sub_i32 s23, 0, s2
	s_delay_alu instid0(VALU_DEP_1) | instskip(SKIP_4) | instid1(VALU_DEP_1)
	v_add_co_u32 v8, vcc_lo, s10, v8
	v_add_co_ci_u32_e32 v9, vcc_lo, s11, v9, vcc_lo
	s_ashr_i32 s10, s5, 31
	s_waitcnt_depctr 0xfff
	v_mul_f32_e32 v2, 0x4f7ffffe, v2
	v_cvt_u32_f32_e32 v3, v2
	s_delay_alu instid0(VALU_DEP_1) | instskip(NEXT) | instid1(VALU_DEP_1)
	v_mul_lo_u32 v2, s0, v3
	v_mul_hi_u32 v10, v3, v2
	v_mov_b32_e32 v2, 0
	s_delay_alu instid0(VALU_DEP_2)
	v_add_nc_u32_e32 v16, v3, v10
	s_branch .LBB42_35
.LBB42_33:                              ;   in Loop: Header=BB42_35 Depth=1
	s_or_b32 exec_lo, exec_lo, s0
	s_delay_alu instid0(VALU_DEP_1) | instskip(NEXT) | instid1(VALU_DEP_1)
	v_ashrrev_i32_e32 v3, 31, v15
	v_and_b32_e32 v12, s2, v3
	v_and_b32_e32 v3, s3, v3
	s_delay_alu instid0(VALU_DEP_2) | instskip(NEXT) | instid1(VALU_DEP_2)
	v_add_co_u32 v12, vcc_lo, v12, v14
	v_add_co_ci_u32_e32 v13, vcc_lo, v3, v15, vcc_lo
	s_delay_alu instid0(VALU_DEP_2) | instskip(NEXT) | instid1(VALU_DEP_2)
	v_sub_co_u32 v3, vcc_lo, s2, v12
	v_sub_co_ci_u32_e32 v14, vcc_lo, s3, v13, vcc_lo
	v_cmp_gt_i64_e32 vcc_lo, s[12:13], v[12:13]
	s_delay_alu instid0(VALU_DEP_2)
	v_dual_cndmask_b32 v13, v14, v13 :: v_dual_cndmask_b32 v12, v3, v12
.LBB42_34:                              ;   in Loop: Header=BB42_35 Depth=1
	v_mul_lo_u32 v3, v11, s12
	v_mul_lo_u32 v11, v10, s13
	v_mad_u64_u32 v[14:15], null, v10, s12, 0
	s_delay_alu instid0(VALU_DEP_4) | instskip(NEXT) | instid1(VALU_DEP_2)
	v_lshlrev_b64 v[12:13], 1, v[12:13]
	v_add3_u32 v15, v15, v11, v3
	s_delay_alu instid0(VALU_DEP_1) | instskip(NEXT) | instid1(VALU_DEP_1)
	v_lshlrev_b64 v[10:11], 1, v[14:15]
	v_add_co_u32 v3, vcc_lo, s8, v10
	s_delay_alu instid0(VALU_DEP_2) | instskip(NEXT) | instid1(VALU_DEP_2)
	v_add_co_ci_u32_e32 v11, vcc_lo, s9, v11, vcc_lo
	v_add_co_u32 v10, vcc_lo, v3, v12
	s_delay_alu instid0(VALU_DEP_2)
	v_add_co_ci_u32_e32 v11, vcc_lo, v11, v13, vcc_lo
	v_add_co_u32 v4, vcc_lo, v4, s16
	v_add_co_ci_u32_e32 v5, vcc_lo, s17, v5, vcc_lo
	global_load_u16 v3, v[10:11], off
	v_cmp_le_i64_e32 vcc_lo, s[6:7], v[4:5]
	s_or_b32 s22, vcc_lo, s22
	s_waitcnt vmcnt(0)
	global_store_b16 v[8:9], v3, off
	v_add_co_u32 v8, s0, v8, v6
	s_delay_alu instid0(VALU_DEP_1)
	v_add_co_ci_u32_e64 v9, s0, v9, v7, s0
	s_and_not1_b32 exec_lo, exec_lo, s22
	s_cbranch_execz .LBB42_44
.LBB42_35:                              ; =>This Inner Loop Header: Depth=1
	v_or_b32_e32 v3, s5, v5
                                        ; implicit-def: $vgpr10_vgpr11
	s_mov_b32 s0, exec_lo
	s_delay_alu instid0(VALU_DEP_1)
	v_cmpx_ne_u64_e32 0, v[2:3]
	s_xor_b32 s15, exec_lo, s0
	s_cbranch_execz .LBB42_37
; %bb.36:                               ;   in Loop: Header=BB42_35 Depth=1
	s_add_u32 s18, s4, s10
	s_mov_b32 s11, s10
	s_addc_u32 s19, s5, s10
	s_delay_alu instid0(SALU_CYCLE_1) | instskip(NEXT) | instid1(SALU_CYCLE_1)
	s_xor_b64 s[18:19], s[18:19], s[10:11]
	v_cvt_f32_u32_e32 v3, s18
	v_cvt_f32_u32_e32 v10, s19
	s_sub_u32 s0, 0, s18
	s_subb_u32 s11, 0, s19
	s_delay_alu instid0(VALU_DEP_1) | instskip(NEXT) | instid1(VALU_DEP_1)
	v_fmac_f32_e32 v3, 0x4f800000, v10
	v_rcp_f32_e32 v3, v3
	s_waitcnt_depctr 0xfff
	v_mul_f32_e32 v3, 0x5f7ffffc, v3
	s_delay_alu instid0(VALU_DEP_1) | instskip(NEXT) | instid1(VALU_DEP_1)
	v_mul_f32_e32 v10, 0x2f800000, v3
	v_trunc_f32_e32 v10, v10
	s_delay_alu instid0(VALU_DEP_1) | instskip(SKIP_1) | instid1(VALU_DEP_2)
	v_fmac_f32_e32 v3, 0xcf800000, v10
	v_cvt_u32_f32_e32 v10, v10
	v_cvt_u32_f32_e32 v3, v3
	s_delay_alu instid0(VALU_DEP_2) | instskip(NEXT) | instid1(VALU_DEP_2)
	v_mul_lo_u32 v11, s0, v10
	v_mul_hi_u32 v12, s0, v3
	v_mul_lo_u32 v13, s11, v3
	s_delay_alu instid0(VALU_DEP_2) | instskip(SKIP_1) | instid1(VALU_DEP_2)
	v_add_nc_u32_e32 v11, v12, v11
	v_mul_lo_u32 v12, s0, v3
	v_add_nc_u32_e32 v11, v11, v13
	s_delay_alu instid0(VALU_DEP_2) | instskip(NEXT) | instid1(VALU_DEP_2)
	v_mul_hi_u32 v13, v3, v12
	v_mul_lo_u32 v14, v3, v11
	v_mul_hi_u32 v15, v3, v11
	v_mul_hi_u32 v17, v10, v12
	v_mul_lo_u32 v12, v10, v12
	v_mul_hi_u32 v18, v10, v11
	v_mul_lo_u32 v11, v10, v11
	v_add_co_u32 v13, vcc_lo, v13, v14
	v_add_co_ci_u32_e32 v14, vcc_lo, 0, v15, vcc_lo
	s_delay_alu instid0(VALU_DEP_2) | instskip(NEXT) | instid1(VALU_DEP_2)
	v_add_co_u32 v12, vcc_lo, v13, v12
	v_add_co_ci_u32_e32 v12, vcc_lo, v14, v17, vcc_lo
	v_add_co_ci_u32_e32 v13, vcc_lo, 0, v18, vcc_lo
	v_ashrrev_i32_e32 v17, 31, v5
	s_delay_alu instid0(VALU_DEP_3) | instskip(NEXT) | instid1(VALU_DEP_3)
	v_add_co_u32 v11, vcc_lo, v12, v11
	v_add_co_ci_u32_e32 v12, vcc_lo, 0, v13, vcc_lo
	s_delay_alu instid0(VALU_DEP_2) | instskip(NEXT) | instid1(VALU_DEP_2)
	v_add_co_u32 v3, vcc_lo, v3, v11
	v_add_co_ci_u32_e32 v10, vcc_lo, v10, v12, vcc_lo
	s_delay_alu instid0(VALU_DEP_2) | instskip(SKIP_1) | instid1(VALU_DEP_3)
	v_mul_hi_u32 v11, s0, v3
	v_mul_lo_u32 v13, s11, v3
	v_mul_lo_u32 v12, s0, v10
	s_delay_alu instid0(VALU_DEP_1) | instskip(SKIP_1) | instid1(VALU_DEP_2)
	v_add_nc_u32_e32 v11, v11, v12
	v_mul_lo_u32 v12, s0, v3
	v_add_nc_u32_e32 v11, v11, v13
	s_delay_alu instid0(VALU_DEP_2) | instskip(NEXT) | instid1(VALU_DEP_2)
	v_mul_hi_u32 v13, v3, v12
	v_mul_lo_u32 v14, v3, v11
	v_mul_hi_u32 v15, v3, v11
	v_mul_hi_u32 v18, v10, v12
	v_mul_lo_u32 v12, v10, v12
	v_mul_hi_u32 v19, v10, v11
	v_mul_lo_u32 v11, v10, v11
	v_add_co_u32 v13, vcc_lo, v13, v14
	v_add_co_ci_u32_e32 v14, vcc_lo, 0, v15, vcc_lo
	s_delay_alu instid0(VALU_DEP_2) | instskip(NEXT) | instid1(VALU_DEP_2)
	v_add_co_u32 v12, vcc_lo, v13, v12
	v_add_co_ci_u32_e32 v12, vcc_lo, v14, v18, vcc_lo
	v_add_co_ci_u32_e32 v13, vcc_lo, 0, v19, vcc_lo
	v_add_co_u32 v14, vcc_lo, v4, v17
	v_add_co_ci_u32_e32 v15, vcc_lo, v5, v17, vcc_lo
	s_delay_alu instid0(VALU_DEP_4) | instskip(NEXT) | instid1(VALU_DEP_4)
	v_add_co_u32 v11, vcc_lo, v12, v11
	v_add_co_ci_u32_e32 v12, vcc_lo, 0, v13, vcc_lo
	s_delay_alu instid0(VALU_DEP_4) | instskip(NEXT) | instid1(VALU_DEP_3)
	v_xor_b32_e32 v18, v14, v17
	v_add_co_u32 v3, vcc_lo, v3, v11
	s_delay_alu instid0(VALU_DEP_3) | instskip(SKIP_1) | instid1(VALU_DEP_3)
	v_add_co_ci_u32_e32 v19, vcc_lo, v10, v12, vcc_lo
	v_xor_b32_e32 v20, v15, v17
	v_mul_hi_u32 v21, v18, v3
	s_delay_alu instid0(VALU_DEP_3) | instskip(NEXT) | instid1(VALU_DEP_3)
	v_mad_u64_u32 v[10:11], null, v18, v19, 0
	v_mad_u64_u32 v[12:13], null, v20, v3, 0
	;; [unrolled: 1-line block ×3, first 2 shown]
	s_delay_alu instid0(VALU_DEP_3) | instskip(NEXT) | instid1(VALU_DEP_4)
	v_add_co_u32 v3, vcc_lo, v21, v10
	v_add_co_ci_u32_e32 v10, vcc_lo, 0, v11, vcc_lo
	s_delay_alu instid0(VALU_DEP_2) | instskip(NEXT) | instid1(VALU_DEP_2)
	v_add_co_u32 v3, vcc_lo, v3, v12
	v_add_co_ci_u32_e32 v3, vcc_lo, v10, v13, vcc_lo
	v_add_co_ci_u32_e32 v10, vcc_lo, 0, v15, vcc_lo
	s_delay_alu instid0(VALU_DEP_2) | instskip(NEXT) | instid1(VALU_DEP_2)
	v_add_co_u32 v3, vcc_lo, v3, v14
	v_add_co_ci_u32_e32 v12, vcc_lo, 0, v10, vcc_lo
	s_delay_alu instid0(VALU_DEP_2) | instskip(SKIP_1) | instid1(VALU_DEP_3)
	v_mul_lo_u32 v13, s19, v3
	v_mad_u64_u32 v[10:11], null, s18, v3, 0
	v_mul_lo_u32 v14, s18, v12
	s_delay_alu instid0(VALU_DEP_2) | instskip(NEXT) | instid1(VALU_DEP_2)
	v_sub_co_u32 v10, vcc_lo, v18, v10
	v_add3_u32 v11, v11, v14, v13
	s_delay_alu instid0(VALU_DEP_1) | instskip(NEXT) | instid1(VALU_DEP_1)
	v_sub_nc_u32_e32 v13, v20, v11
	v_subrev_co_ci_u32_e64 v13, s0, s19, v13, vcc_lo
	v_add_co_u32 v14, s0, v3, 2
	s_delay_alu instid0(VALU_DEP_1) | instskip(SKIP_3) | instid1(VALU_DEP_3)
	v_add_co_ci_u32_e64 v15, s0, 0, v12, s0
	v_sub_co_u32 v18, s0, v10, s18
	v_sub_co_ci_u32_e32 v11, vcc_lo, v20, v11, vcc_lo
	v_subrev_co_ci_u32_e64 v13, s0, 0, v13, s0
	v_cmp_le_u32_e32 vcc_lo, s18, v18
	s_delay_alu instid0(VALU_DEP_3) | instskip(SKIP_1) | instid1(VALU_DEP_4)
	v_cmp_eq_u32_e64 s0, s19, v11
	v_cndmask_b32_e64 v18, 0, -1, vcc_lo
	v_cmp_le_u32_e32 vcc_lo, s19, v13
	v_cndmask_b32_e64 v19, 0, -1, vcc_lo
	v_cmp_le_u32_e32 vcc_lo, s18, v10
	;; [unrolled: 2-line block ×3, first 2 shown]
	v_cndmask_b32_e64 v20, 0, -1, vcc_lo
	v_cmp_eq_u32_e32 vcc_lo, s19, v13
	s_delay_alu instid0(VALU_DEP_2) | instskip(SKIP_3) | instid1(VALU_DEP_3)
	v_cndmask_b32_e64 v10, v20, v10, s0
	v_cndmask_b32_e32 v13, v19, v18, vcc_lo
	v_add_co_u32 v18, vcc_lo, v3, 1
	v_add_co_ci_u32_e32 v19, vcc_lo, 0, v12, vcc_lo
	v_cmp_ne_u32_e32 vcc_lo, 0, v13
	s_delay_alu instid0(VALU_DEP_2) | instskip(NEXT) | instid1(VALU_DEP_4)
	v_cndmask_b32_e32 v11, v19, v15, vcc_lo
	v_cndmask_b32_e32 v13, v18, v14, vcc_lo
	v_cmp_ne_u32_e32 vcc_lo, 0, v10
	v_xor_b32_e32 v14, s10, v17
	s_delay_alu instid0(VALU_DEP_3) | instskip(NEXT) | instid1(VALU_DEP_1)
	v_dual_cndmask_b32 v3, v3, v13 :: v_dual_cndmask_b32 v10, v12, v11
	v_xor_b32_e32 v3, v3, v14
	s_delay_alu instid0(VALU_DEP_2) | instskip(NEXT) | instid1(VALU_DEP_2)
	v_xor_b32_e32 v11, v10, v14
	v_sub_co_u32 v10, vcc_lo, v3, v14
	s_delay_alu instid0(VALU_DEP_2)
	v_sub_co_ci_u32_e32 v11, vcc_lo, v11, v14, vcc_lo
.LBB42_37:                              ;   in Loop: Header=BB42_35 Depth=1
	s_and_not1_saveexec_b32 s0, s15
; %bb.38:                               ;   in Loop: Header=BB42_35 Depth=1
	v_mul_hi_u32 v3, v4, v16
	s_delay_alu instid0(VALU_DEP_1) | instskip(NEXT) | instid1(VALU_DEP_1)
	v_mul_lo_u32 v10, v3, s4
	v_sub_nc_u32_e32 v10, v4, v10
	s_delay_alu instid0(VALU_DEP_1) | instskip(SKIP_1) | instid1(VALU_DEP_2)
	v_subrev_nc_u32_e32 v12, s4, v10
	v_cmp_le_u32_e32 vcc_lo, s4, v10
	v_dual_cndmask_b32 v10, v10, v12 :: v_dual_add_nc_u32 v11, 1, v3
	s_delay_alu instid0(VALU_DEP_1) | instskip(NEXT) | instid1(VALU_DEP_2)
	v_cndmask_b32_e32 v3, v3, v11, vcc_lo
	v_cmp_le_u32_e32 vcc_lo, s4, v10
	s_delay_alu instid0(VALU_DEP_2) | instskip(NEXT) | instid1(VALU_DEP_1)
	v_add_nc_u32_e32 v11, 1, v3
	v_dual_cndmask_b32 v10, v3, v11 :: v_dual_mov_b32 v11, v2
; %bb.39:                               ;   in Loop: Header=BB42_35 Depth=1
	s_or_b32 exec_lo, exec_lo, s0
	v_mov_b32_e32 v12, 0
	v_mov_b32_e32 v13, 0
	s_and_not1_b32 vcc_lo, exec_lo, s1
	s_cbranch_vccnz .LBB42_34
; %bb.40:                               ;   in Loop: Header=BB42_35 Depth=1
	v_add_co_u32 v14, vcc_lo, s20, v4
	v_add_co_ci_u32_e32 v15, vcc_lo, s21, v5, vcc_lo
	v_mul_lo_u32 v3, v0, v11
	v_mul_lo_u32 v17, v1, v10
	s_mov_b32 s0, exec_lo
	s_delay_alu instid0(VALU_DEP_3) | instskip(NEXT) | instid1(VALU_DEP_1)
	v_mad_u64_u32 v[12:13], null, v0, v10, v[14:15]
                                        ; implicit-def: $vgpr14_vgpr15
	v_add3_u32 v13, v17, v13, v3
	s_delay_alu instid0(VALU_DEP_1) | instskip(NEXT) | instid1(VALU_DEP_1)
	v_or_b32_e32 v3, s3, v13
	v_cmpx_ne_u64_e32 0, v[2:3]
	s_xor_b32 s11, exec_lo, s0
	s_cbranch_execz .LBB42_42
; %bb.41:                               ;   in Loop: Header=BB42_35 Depth=1
	s_add_u32 s18, s2, s14
	s_mov_b32 s15, s14
	s_addc_u32 s19, s3, s14
	s_delay_alu instid0(SALU_CYCLE_1) | instskip(NEXT) | instid1(SALU_CYCLE_1)
	s_xor_b64 s[18:19], s[18:19], s[14:15]
	v_cvt_f32_u32_e32 v3, s18
	v_cvt_f32_u32_e32 v14, s19
	s_sub_u32 s0, 0, s18
	s_subb_u32 s15, 0, s19
	s_delay_alu instid0(VALU_DEP_1) | instskip(NEXT) | instid1(VALU_DEP_1)
	v_fmac_f32_e32 v3, 0x4f800000, v14
	v_rcp_f32_e32 v3, v3
	s_waitcnt_depctr 0xfff
	v_mul_f32_e32 v3, 0x5f7ffffc, v3
	s_delay_alu instid0(VALU_DEP_1) | instskip(NEXT) | instid1(VALU_DEP_1)
	v_mul_f32_e32 v14, 0x2f800000, v3
	v_trunc_f32_e32 v14, v14
	s_delay_alu instid0(VALU_DEP_1) | instskip(SKIP_1) | instid1(VALU_DEP_2)
	v_fmac_f32_e32 v3, 0xcf800000, v14
	v_cvt_u32_f32_e32 v14, v14
	v_cvt_u32_f32_e32 v3, v3
	s_delay_alu instid0(VALU_DEP_2) | instskip(NEXT) | instid1(VALU_DEP_2)
	v_mul_lo_u32 v15, s0, v14
	v_mul_hi_u32 v17, s0, v3
	v_mul_lo_u32 v18, s15, v3
	s_delay_alu instid0(VALU_DEP_2) | instskip(SKIP_1) | instid1(VALU_DEP_2)
	v_add_nc_u32_e32 v15, v17, v15
	v_mul_lo_u32 v17, s0, v3
	v_add_nc_u32_e32 v15, v15, v18
	s_delay_alu instid0(VALU_DEP_2) | instskip(NEXT) | instid1(VALU_DEP_2)
	v_mul_hi_u32 v18, v3, v17
	v_mul_lo_u32 v19, v3, v15
	v_mul_hi_u32 v20, v3, v15
	v_mul_hi_u32 v21, v14, v17
	v_mul_lo_u32 v17, v14, v17
	v_mul_hi_u32 v22, v14, v15
	v_mul_lo_u32 v15, v14, v15
	v_add_co_u32 v18, vcc_lo, v18, v19
	v_add_co_ci_u32_e32 v19, vcc_lo, 0, v20, vcc_lo
	s_delay_alu instid0(VALU_DEP_2) | instskip(NEXT) | instid1(VALU_DEP_2)
	v_add_co_u32 v17, vcc_lo, v18, v17
	v_add_co_ci_u32_e32 v17, vcc_lo, v19, v21, vcc_lo
	v_add_co_ci_u32_e32 v18, vcc_lo, 0, v22, vcc_lo
	v_ashrrev_i32_e32 v21, 31, v13
	s_delay_alu instid0(VALU_DEP_3) | instskip(NEXT) | instid1(VALU_DEP_3)
	v_add_co_u32 v15, vcc_lo, v17, v15
	v_add_co_ci_u32_e32 v17, vcc_lo, 0, v18, vcc_lo
	s_delay_alu instid0(VALU_DEP_2) | instskip(NEXT) | instid1(VALU_DEP_2)
	v_add_co_u32 v3, vcc_lo, v3, v15
	v_add_co_ci_u32_e32 v14, vcc_lo, v14, v17, vcc_lo
	s_delay_alu instid0(VALU_DEP_2) | instskip(SKIP_1) | instid1(VALU_DEP_3)
	v_mul_hi_u32 v15, s0, v3
	v_mul_lo_u32 v18, s15, v3
	v_mul_lo_u32 v17, s0, v14
	s_delay_alu instid0(VALU_DEP_1) | instskip(SKIP_1) | instid1(VALU_DEP_2)
	v_add_nc_u32_e32 v15, v15, v17
	v_mul_lo_u32 v17, s0, v3
	v_add_nc_u32_e32 v15, v15, v18
	s_delay_alu instid0(VALU_DEP_2) | instskip(NEXT) | instid1(VALU_DEP_2)
	v_mul_hi_u32 v18, v3, v17
	v_mul_lo_u32 v19, v3, v15
	v_mul_hi_u32 v20, v3, v15
	v_mul_hi_u32 v22, v14, v17
	v_mul_lo_u32 v17, v14, v17
	v_mul_hi_u32 v23, v14, v15
	v_mul_lo_u32 v15, v14, v15
	v_add_co_u32 v18, vcc_lo, v18, v19
	v_add_co_ci_u32_e32 v19, vcc_lo, 0, v20, vcc_lo
	s_delay_alu instid0(VALU_DEP_2) | instskip(NEXT) | instid1(VALU_DEP_2)
	v_add_co_u32 v17, vcc_lo, v18, v17
	v_add_co_ci_u32_e32 v17, vcc_lo, v19, v22, vcc_lo
	v_add_co_ci_u32_e32 v18, vcc_lo, 0, v23, vcc_lo
	v_add_co_u32 v12, vcc_lo, v12, v21
	v_add_co_ci_u32_e32 v13, vcc_lo, v13, v21, vcc_lo
	s_delay_alu instid0(VALU_DEP_4) | instskip(NEXT) | instid1(VALU_DEP_4)
	v_add_co_u32 v15, vcc_lo, v17, v15
	v_add_co_ci_u32_e32 v17, vcc_lo, 0, v18, vcc_lo
	s_delay_alu instid0(VALU_DEP_4) | instskip(NEXT) | instid1(VALU_DEP_3)
	v_xor_b32_e32 v19, v12, v21
	v_add_co_u32 v3, vcc_lo, v3, v15
	s_delay_alu instid0(VALU_DEP_3) | instskip(SKIP_1) | instid1(VALU_DEP_3)
	v_add_co_ci_u32_e32 v20, vcc_lo, v14, v17, vcc_lo
	v_xor_b32_e32 v22, v13, v21
	v_mul_hi_u32 v23, v19, v3
	s_delay_alu instid0(VALU_DEP_3) | instskip(NEXT) | instid1(VALU_DEP_3)
	v_mad_u64_u32 v[12:13], null, v19, v20, 0
	v_mad_u64_u32 v[14:15], null, v22, v3, 0
	;; [unrolled: 1-line block ×3, first 2 shown]
	s_delay_alu instid0(VALU_DEP_3) | instskip(NEXT) | instid1(VALU_DEP_4)
	v_add_co_u32 v3, vcc_lo, v23, v12
	v_add_co_ci_u32_e32 v12, vcc_lo, 0, v13, vcc_lo
	s_delay_alu instid0(VALU_DEP_2) | instskip(NEXT) | instid1(VALU_DEP_2)
	v_add_co_u32 v3, vcc_lo, v3, v14
	v_add_co_ci_u32_e32 v3, vcc_lo, v12, v15, vcc_lo
	v_add_co_ci_u32_e32 v12, vcc_lo, 0, v18, vcc_lo
	s_delay_alu instid0(VALU_DEP_2) | instskip(NEXT) | instid1(VALU_DEP_2)
	v_add_co_u32 v3, vcc_lo, v3, v17
	v_add_co_ci_u32_e32 v14, vcc_lo, 0, v12, vcc_lo
	s_delay_alu instid0(VALU_DEP_2) | instskip(SKIP_1) | instid1(VALU_DEP_3)
	v_mul_lo_u32 v15, s19, v3
	v_mad_u64_u32 v[12:13], null, s18, v3, 0
	v_mul_lo_u32 v3, s18, v14
	s_delay_alu instid0(VALU_DEP_2) | instskip(NEXT) | instid1(VALU_DEP_2)
	v_sub_co_u32 v12, vcc_lo, v19, v12
	v_add3_u32 v3, v13, v3, v15
	s_delay_alu instid0(VALU_DEP_1) | instskip(NEXT) | instid1(VALU_DEP_1)
	v_sub_nc_u32_e32 v13, v22, v3
	v_subrev_co_ci_u32_e64 v13, s0, s19, v13, vcc_lo
	v_sub_co_ci_u32_e32 v3, vcc_lo, v22, v3, vcc_lo
	v_sub_co_u32 v14, vcc_lo, v12, s18
	s_delay_alu instid0(VALU_DEP_1) | instskip(SKIP_3) | instid1(VALU_DEP_3)
	v_subrev_co_ci_u32_e64 v15, s0, 0, v13, vcc_lo
	v_cmp_le_u32_e64 s0, s18, v12
	v_subrev_co_ci_u32_e32 v13, vcc_lo, s19, v13, vcc_lo
	v_cmp_le_u32_e32 vcc_lo, s19, v3
	v_cndmask_b32_e64 v17, 0, -1, s0
	v_cmp_le_u32_e64 s0, s18, v14
	v_cndmask_b32_e64 v20, 0, -1, vcc_lo
	v_cmp_eq_u32_e32 vcc_lo, s19, v15
	s_delay_alu instid0(VALU_DEP_3) | instskip(SKIP_1) | instid1(VALU_DEP_1)
	v_cndmask_b32_e64 v18, 0, -1, s0
	v_cmp_le_u32_e64 s0, s19, v15
	v_cndmask_b32_e64 v19, 0, -1, s0
	v_cmp_eq_u32_e64 s0, s19, v3
	s_delay_alu instid0(VALU_DEP_2) | instskip(SKIP_2) | instid1(VALU_DEP_3)
	v_cndmask_b32_e32 v18, v19, v18, vcc_lo
	v_sub_co_u32 v19, vcc_lo, v14, s18
	v_subrev_co_ci_u32_e32 v13, vcc_lo, 0, v13, vcc_lo
	v_cmp_ne_u32_e32 vcc_lo, 0, v18
	v_cndmask_b32_e64 v17, v20, v17, s0
	s_delay_alu instid0(VALU_DEP_3) | instskip(NEXT) | instid1(VALU_DEP_2)
	v_dual_cndmask_b32 v13, v15, v13 :: v_dual_cndmask_b32 v14, v14, v19
	v_cmp_ne_u32_e32 vcc_lo, 0, v17
	s_delay_alu instid0(VALU_DEP_2) | instskip(NEXT) | instid1(VALU_DEP_1)
	v_dual_cndmask_b32 v12, v12, v14 :: v_dual_cndmask_b32 v3, v3, v13
	v_xor_b32_e32 v12, v12, v21
	s_delay_alu instid0(VALU_DEP_2) | instskip(NEXT) | instid1(VALU_DEP_2)
	v_xor_b32_e32 v3, v3, v21
	v_sub_co_u32 v14, vcc_lo, v12, v21
	s_delay_alu instid0(VALU_DEP_2)
	v_sub_co_ci_u32_e32 v15, vcc_lo, v3, v21, vcc_lo
                                        ; implicit-def: $vgpr12_vgpr13
.LBB42_42:                              ;   in Loop: Header=BB42_35 Depth=1
	s_and_not1_saveexec_b32 s0, s11
	s_cbranch_execz .LBB42_33
; %bb.43:                               ;   in Loop: Header=BB42_35 Depth=1
	v_cvt_f32_u32_e32 v3, s2
	v_mov_b32_e32 v15, v2
	s_delay_alu instid0(VALU_DEP_2) | instskip(SKIP_2) | instid1(VALU_DEP_1)
	v_rcp_iflag_f32_e32 v3, v3
	s_waitcnt_depctr 0xfff
	v_mul_f32_e32 v3, 0x4f7ffffe, v3
	v_cvt_u32_f32_e32 v3, v3
	s_delay_alu instid0(VALU_DEP_1) | instskip(NEXT) | instid1(VALU_DEP_1)
	v_mul_lo_u32 v13, s23, v3
	v_mul_hi_u32 v13, v3, v13
	s_delay_alu instid0(VALU_DEP_1) | instskip(NEXT) | instid1(VALU_DEP_1)
	v_add_nc_u32_e32 v3, v3, v13
	v_mul_hi_u32 v3, v12, v3
	s_delay_alu instid0(VALU_DEP_1) | instskip(NEXT) | instid1(VALU_DEP_1)
	v_mul_lo_u32 v3, v3, s2
	v_sub_nc_u32_e32 v3, v12, v3
	s_delay_alu instid0(VALU_DEP_1) | instskip(SKIP_1) | instid1(VALU_DEP_2)
	v_subrev_nc_u32_e32 v12, s2, v3
	v_cmp_le_u32_e32 vcc_lo, s2, v3
	v_cndmask_b32_e32 v3, v3, v12, vcc_lo
	s_delay_alu instid0(VALU_DEP_1) | instskip(SKIP_1) | instid1(VALU_DEP_2)
	v_subrev_nc_u32_e32 v12, s2, v3
	v_cmp_le_u32_e32 vcc_lo, s2, v3
	v_cndmask_b32_e32 v14, v3, v12, vcc_lo
	s_branch .LBB42_33
.LBB42_44:
	s_nop 0
	s_sendmsg sendmsg(MSG_DEALLOC_VGPRS)
	s_endpgm
	.section	.rodata,"a",@progbits
	.p2align	6, 0x0
	.amdhsa_kernel _ZN2at6native12_GLOBAL__N_121reflection_pad1d_flatIN3c104HalfEEEvPKT_PS5_lllll
		.amdhsa_group_segment_fixed_size 0
		.amdhsa_private_segment_fixed_size 0
		.amdhsa_kernarg_size 312
		.amdhsa_user_sgpr_count 15
		.amdhsa_user_sgpr_dispatch_ptr 0
		.amdhsa_user_sgpr_queue_ptr 0
		.amdhsa_user_sgpr_kernarg_segment_ptr 1
		.amdhsa_user_sgpr_dispatch_id 0
		.amdhsa_user_sgpr_private_segment_size 0
		.amdhsa_wavefront_size32 1
		.amdhsa_uses_dynamic_stack 0
		.amdhsa_enable_private_segment 0
		.amdhsa_system_sgpr_workgroup_id_x 1
		.amdhsa_system_sgpr_workgroup_id_y 0
		.amdhsa_system_sgpr_workgroup_id_z 0
		.amdhsa_system_sgpr_workgroup_info 0
		.amdhsa_system_vgpr_workitem_id 0
		.amdhsa_next_free_vgpr 37
		.amdhsa_next_free_sgpr 44
		.amdhsa_reserve_vcc 1
		.amdhsa_float_round_mode_32 0
		.amdhsa_float_round_mode_16_64 0
		.amdhsa_float_denorm_mode_32 3
		.amdhsa_float_denorm_mode_16_64 3
		.amdhsa_dx10_clamp 1
		.amdhsa_ieee_mode 1
		.amdhsa_fp16_overflow 0
		.amdhsa_workgroup_processor_mode 1
		.amdhsa_memory_ordered 1
		.amdhsa_forward_progress 0
		.amdhsa_shared_vgpr_count 0
		.amdhsa_exception_fp_ieee_invalid_op 0
		.amdhsa_exception_fp_denorm_src 0
		.amdhsa_exception_fp_ieee_div_zero 0
		.amdhsa_exception_fp_ieee_overflow 0
		.amdhsa_exception_fp_ieee_underflow 0
		.amdhsa_exception_fp_ieee_inexact 0
		.amdhsa_exception_int_div_zero 0
	.end_amdhsa_kernel
	.section	.text._ZN2at6native12_GLOBAL__N_121reflection_pad1d_flatIN3c104HalfEEEvPKT_PS5_lllll,"axG",@progbits,_ZN2at6native12_GLOBAL__N_121reflection_pad1d_flatIN3c104HalfEEEvPKT_PS5_lllll,comdat
.Lfunc_end42:
	.size	_ZN2at6native12_GLOBAL__N_121reflection_pad1d_flatIN3c104HalfEEEvPKT_PS5_lllll, .Lfunc_end42-_ZN2at6native12_GLOBAL__N_121reflection_pad1d_flatIN3c104HalfEEEvPKT_PS5_lllll
                                        ; -- End function
	.section	.AMDGPU.csdata,"",@progbits
; Kernel info:
; codeLenInByte = 8364
; NumSgprs: 46
; NumVgprs: 37
; ScratchSize: 0
; MemoryBound: 0
; FloatMode: 240
; IeeeMode: 1
; LDSByteSize: 0 bytes/workgroup (compile time only)
; SGPRBlocks: 5
; VGPRBlocks: 4
; NumSGPRsForWavesPerEU: 46
; NumVGPRsForWavesPerEU: 37
; Occupancy: 16
; WaveLimiterHint : 0
; COMPUTE_PGM_RSRC2:SCRATCH_EN: 0
; COMPUTE_PGM_RSRC2:USER_SGPR: 15
; COMPUTE_PGM_RSRC2:TRAP_HANDLER: 0
; COMPUTE_PGM_RSRC2:TGID_X_EN: 1
; COMPUTE_PGM_RSRC2:TGID_Y_EN: 0
; COMPUTE_PGM_RSRC2:TGID_Z_EN: 0
; COMPUTE_PGM_RSRC2:TIDIG_COMP_CNT: 0
	.section	.text._ZN2at6native12_GLOBAL__N_127reflection_pad1d_out_kernelIN3c108BFloat16EEEvPKT_PS5_lll,"axG",@progbits,_ZN2at6native12_GLOBAL__N_127reflection_pad1d_out_kernelIN3c108BFloat16EEEvPKT_PS5_lll,comdat
	.globl	_ZN2at6native12_GLOBAL__N_127reflection_pad1d_out_kernelIN3c108BFloat16EEEvPKT_PS5_lll ; -- Begin function _ZN2at6native12_GLOBAL__N_127reflection_pad1d_out_kernelIN3c108BFloat16EEEvPKT_PS5_lll
	.p2align	8
	.type	_ZN2at6native12_GLOBAL__N_127reflection_pad1d_out_kernelIN3c108BFloat16EEEvPKT_PS5_lll,@function
_ZN2at6native12_GLOBAL__N_127reflection_pad1d_out_kernelIN3c108BFloat16EEEvPKT_PS5_lll: ; @_ZN2at6native12_GLOBAL__N_127reflection_pad1d_out_kernelIN3c108BFloat16EEEvPKT_PS5_lll
; %bb.0:
	s_clause 0x2
	s_load_b32 s12, s[0:1], 0x34
	s_load_b256 s[4:11], s[0:1], 0x0
	s_load_b64 s[16:17], s[0:1], 0x20
	v_mov_b32_e32 v1, 0
	s_add_u32 s2, s0, 40
	s_addc_u32 s3, s1, 0
	s_waitcnt lgkmcnt(0)
	s_and_b32 s0, s12, 0xffff
	s_add_u32 s12, s10, s8
	v_mad_u64_u32 v[2:3], null, s0, s13, v[0:1]
	s_addc_u32 s13, s11, s9
	s_add_u32 s0, s12, s16
	s_addc_u32 s1, s13, s17
	s_mov_b32 s16, exec_lo
	s_delay_alu instid0(VALU_DEP_1)
	v_cmpx_gt_i64_e64 s[0:1], v[2:3]
	s_cbranch_execz .LBB43_2
; %bb.1:
	s_load_b32 s16, s[2:3], 0x4
	v_sub_co_u32 v0, vcc_lo, v2, s12
	v_subrev_co_ci_u32_e32 v1, vcc_lo, s13, v3, vcc_lo
	v_sub_co_u32 v4, vcc_lo, v2, s10
	v_subrev_co_ci_u32_e32 v5, vcc_lo, s11, v3, vcc_lo
	s_delay_alu instid0(VALU_DEP_4) | instskip(NEXT) | instid1(VALU_DEP_4)
	v_add_co_u32 v0, vcc_lo, v0, 1
	v_add_co_ci_u32_e32 v1, vcc_lo, 0, v1, vcc_lo
	s_sub_u32 s2, 0, s10
	s_subb_u32 s3, 0, s11
	v_cmp_gt_i64_e64 s17, s[10:11], 0
	s_delay_alu instid0(VALU_DEP_2)
	v_ashrrev_i32_e32 v6, 31, v1
	v_ashrrev_i32_e32 v7, 31, v5
	s_waitcnt lgkmcnt(0)
	s_mul_i32 s15, s16, s15
	v_cmp_gt_i64_e64 s16, s[2:3], 0
	s_add_i32 s14, s15, s14
	v_xor_b32_e32 v0, v0, v6
	s_mul_i32 s9, s14, s9
	s_mul_hi_u32 s15, s14, s8
	s_mul_i32 s1, s1, s14
	s_mul_hi_u32 s18, s0, s14
	v_xor_b32_e32 v1, v1, v6
	s_add_i32 s9, s15, s9
	s_add_i32 s1, s18, s1
	s_and_b32 s15, s16, exec_lo
	s_cselect_b32 s15, s3, 0
	s_cselect_b32 s16, s2, 0
	s_and_b32 s2, s17, exec_lo
	v_sub_co_u32 v0, vcc_lo, v0, v6
	s_cselect_b32 s3, s11, 0
	s_cselect_b32 s2, s10, 0
	v_sub_co_ci_u32_e32 v1, vcc_lo, v1, v6, vcc_lo
	s_not_b64 s[2:3], s[2:3]
	s_add_u32 s10, s12, s10
	s_addc_u32 s11, s13, s11
	v_add_co_u32 v0, vcc_lo, v2, v0
	s_add_u32 s2, s10, s2
	s_addc_u32 s3, s11, s3
	v_add_co_ci_u32_e32 v1, vcc_lo, v3, v1, vcc_lo
	s_add_u32 s2, s2, s16
	v_xor_b32_e32 v4, v4, v7
	s_addc_u32 s3, s3, s15
	v_sub_co_u32 v0, vcc_lo, s2, v0
	v_xor_b32_e32 v5, v5, v7
	v_sub_co_ci_u32_e32 v1, vcc_lo, s3, v1, vcc_lo
	v_sub_co_u32 v4, vcc_lo, v4, v7
	s_delay_alu instid0(VALU_DEP_3) | instskip(NEXT) | instid1(VALU_DEP_3)
	v_sub_co_ci_u32_e32 v5, vcc_lo, v5, v7, vcc_lo
	v_lshlrev_b64 v[0:1], 1, v[0:1]
	s_mul_i32 s8, s14, s8
	s_mul_i32 s0, s0, s14
	s_delay_alu instid0(VALU_DEP_2)
	v_lshlrev_b64 v[4:5], 1, v[4:5]
	s_lshl_b64 s[2:3], s[8:9], 1
	s_lshl_b64 s[0:1], s[0:1], 1
	v_add_co_u32 v0, vcc_lo, s4, v0
	v_add_co_ci_u32_e32 v1, vcc_lo, s5, v1, vcc_lo
	s_add_u32 s0, s6, s0
	s_delay_alu instid0(VALU_DEP_2) | instskip(NEXT) | instid1(VALU_DEP_2)
	v_add_co_u32 v0, vcc_lo, v0, v4
	v_add_co_ci_u32_e32 v1, vcc_lo, v1, v5, vcc_lo
	s_addc_u32 s1, s7, s1
	s_delay_alu instid0(VALU_DEP_2) | instskip(NEXT) | instid1(VALU_DEP_2)
	v_add_co_u32 v0, vcc_lo, v0, s2
	v_add_co_ci_u32_e32 v1, vcc_lo, s3, v1, vcc_lo
	global_load_u16 v4, v[0:1], off
	v_lshlrev_b64 v[0:1], 1, v[2:3]
	s_delay_alu instid0(VALU_DEP_1) | instskip(NEXT) | instid1(VALU_DEP_2)
	v_add_co_u32 v0, vcc_lo, s0, v0
	v_add_co_ci_u32_e32 v1, vcc_lo, s1, v1, vcc_lo
	s_waitcnt vmcnt(0)
	global_store_b16 v[0:1], v4, off
.LBB43_2:
	s_nop 0
	s_sendmsg sendmsg(MSG_DEALLOC_VGPRS)
	s_endpgm
	.section	.rodata,"a",@progbits
	.p2align	6, 0x0
	.amdhsa_kernel _ZN2at6native12_GLOBAL__N_127reflection_pad1d_out_kernelIN3c108BFloat16EEEvPKT_PS5_lll
		.amdhsa_group_segment_fixed_size 0
		.amdhsa_private_segment_fixed_size 0
		.amdhsa_kernarg_size 296
		.amdhsa_user_sgpr_count 13
		.amdhsa_user_sgpr_dispatch_ptr 0
		.amdhsa_user_sgpr_queue_ptr 0
		.amdhsa_user_sgpr_kernarg_segment_ptr 1
		.amdhsa_user_sgpr_dispatch_id 0
		.amdhsa_user_sgpr_private_segment_size 0
		.amdhsa_wavefront_size32 1
		.amdhsa_uses_dynamic_stack 0
		.amdhsa_enable_private_segment 0
		.amdhsa_system_sgpr_workgroup_id_x 1
		.amdhsa_system_sgpr_workgroup_id_y 1
		.amdhsa_system_sgpr_workgroup_id_z 1
		.amdhsa_system_sgpr_workgroup_info 0
		.amdhsa_system_vgpr_workitem_id 0
		.amdhsa_next_free_vgpr 8
		.amdhsa_next_free_sgpr 19
		.amdhsa_reserve_vcc 1
		.amdhsa_float_round_mode_32 0
		.amdhsa_float_round_mode_16_64 0
		.amdhsa_float_denorm_mode_32 3
		.amdhsa_float_denorm_mode_16_64 3
		.amdhsa_dx10_clamp 1
		.amdhsa_ieee_mode 1
		.amdhsa_fp16_overflow 0
		.amdhsa_workgroup_processor_mode 1
		.amdhsa_memory_ordered 1
		.amdhsa_forward_progress 0
		.amdhsa_shared_vgpr_count 0
		.amdhsa_exception_fp_ieee_invalid_op 0
		.amdhsa_exception_fp_denorm_src 0
		.amdhsa_exception_fp_ieee_div_zero 0
		.amdhsa_exception_fp_ieee_overflow 0
		.amdhsa_exception_fp_ieee_underflow 0
		.amdhsa_exception_fp_ieee_inexact 0
		.amdhsa_exception_int_div_zero 0
	.end_amdhsa_kernel
	.section	.text._ZN2at6native12_GLOBAL__N_127reflection_pad1d_out_kernelIN3c108BFloat16EEEvPKT_PS5_lll,"axG",@progbits,_ZN2at6native12_GLOBAL__N_127reflection_pad1d_out_kernelIN3c108BFloat16EEEvPKT_PS5_lll,comdat
.Lfunc_end43:
	.size	_ZN2at6native12_GLOBAL__N_127reflection_pad1d_out_kernelIN3c108BFloat16EEEvPKT_PS5_lll, .Lfunc_end43-_ZN2at6native12_GLOBAL__N_127reflection_pad1d_out_kernelIN3c108BFloat16EEEvPKT_PS5_lll
                                        ; -- End function
	.section	.AMDGPU.csdata,"",@progbits
; Kernel info:
; codeLenInByte = 480
; NumSgprs: 21
; NumVgprs: 8
; ScratchSize: 0
; MemoryBound: 0
; FloatMode: 240
; IeeeMode: 1
; LDSByteSize: 0 bytes/workgroup (compile time only)
; SGPRBlocks: 2
; VGPRBlocks: 0
; NumSGPRsForWavesPerEU: 21
; NumVGPRsForWavesPerEU: 8
; Occupancy: 16
; WaveLimiterHint : 0
; COMPUTE_PGM_RSRC2:SCRATCH_EN: 0
; COMPUTE_PGM_RSRC2:USER_SGPR: 13
; COMPUTE_PGM_RSRC2:TRAP_HANDLER: 0
; COMPUTE_PGM_RSRC2:TGID_X_EN: 1
; COMPUTE_PGM_RSRC2:TGID_Y_EN: 1
; COMPUTE_PGM_RSRC2:TGID_Z_EN: 1
; COMPUTE_PGM_RSRC2:TIDIG_COMP_CNT: 0
	.section	.text._ZN2at6native12_GLOBAL__N_121reflection_pad1d_flatIN3c108BFloat16EEEvPKT_PS5_lllll,"axG",@progbits,_ZN2at6native12_GLOBAL__N_121reflection_pad1d_flatIN3c108BFloat16EEEvPKT_PS5_lllll,comdat
	.globl	_ZN2at6native12_GLOBAL__N_121reflection_pad1d_flatIN3c108BFloat16EEEvPKT_PS5_lllll ; -- Begin function _ZN2at6native12_GLOBAL__N_121reflection_pad1d_flatIN3c108BFloat16EEEvPKT_PS5_lllll
	.p2align	8
	.type	_ZN2at6native12_GLOBAL__N_121reflection_pad1d_flatIN3c108BFloat16EEEvPKT_PS5_lllll,@function
_ZN2at6native12_GLOBAL__N_121reflection_pad1d_flatIN3c108BFloat16EEEvPKT_PS5_lllll: ; @_ZN2at6native12_GLOBAL__N_121reflection_pad1d_flatIN3c108BFloat16EEEvPKT_PS5_lllll
; %bb.0:
	s_clause 0x1
	s_load_b32 s8, s[0:1], 0x44
	s_load_b128 s[4:7], s[0:1], 0x28
	v_mov_b32_e32 v1, 0
	s_add_u32 s2, s0, 56
	s_addc_u32 s3, s1, 0
	s_waitcnt lgkmcnt(0)
	s_and_b32 s8, s8, 0xffff
	s_mul_i32 s9, s6, s5
	v_mad_u64_u32 v[2:3], null, s8, s15, v[0:1]
	s_mul_hi_u32 s10, s6, s4
	s_mul_i32 s7, s7, s4
	s_add_i32 s9, s10, s9
	s_mul_i32 s6, s6, s4
	s_add_i32 s7, s9, s7
	s_mov_b32 s9, exec_lo
	s_delay_alu instid0(VALU_DEP_1)
	v_cmpx_gt_i64_e64 s[6:7], v[2:3]
	s_cbranch_execz .LBB44_44
; %bb.1:
	s_load_b32 s2, s[2:3], 0x0
	s_waitcnt lgkmcnt(0)
	s_add_u32 s3, s15, s2
	s_mul_hi_u32 s17, s8, s2
	v_mad_u64_u32 v[6:7], null, s3, s8, v[0:1]
	s_addc_u32 s3, 0, 0
	s_mul_i32 s16, s8, s2
	s_mov_b32 s2, exec_lo
	s_delay_alu instid0(VALU_DEP_1) | instskip(NEXT) | instid1(VALU_DEP_1)
	v_mov_b32_e32 v0, v7
	v_mad_u64_u32 v[4:5], null, s3, s8, v[0:1]
	s_delay_alu instid0(VALU_DEP_1) | instskip(NEXT) | instid1(VALU_DEP_1)
	v_mov_b32_e32 v7, v4
	v_cmp_gt_i64_e32 vcc_lo, s[6:7], v[6:7]
	v_cndmask_b32_e64 v0, v4, s7, vcc_lo
	v_cndmask_b32_e64 v4, 0, 1, vcc_lo
	;; [unrolled: 1-line block ×3, first 2 shown]
	s_delay_alu instid0(VALU_DEP_2) | instskip(SKIP_1) | instid1(VALU_DEP_2)
	v_add_co_u32 v8, vcc_lo, v6, v4
	v_add_co_ci_u32_e32 v9, vcc_lo, 0, v7, vcc_lo
	v_sub_co_u32 v5, vcc_lo, v5, v8
	s_delay_alu instid0(VALU_DEP_2) | instskip(SKIP_1) | instid1(VALU_DEP_2)
	v_sub_co_ci_u32_e32 v8, vcc_lo, v0, v9, vcc_lo
	v_mov_b32_e32 v9, v1
                                        ; implicit-def: $vgpr0_vgpr1
	v_or_b32_e32 v10, s17, v8
	s_delay_alu instid0(VALU_DEP_1)
	v_cmpx_ne_u64_e32 0, v[9:10]
	s_xor_b32 s3, exec_lo, s2
	s_cbranch_execz .LBB44_3
; %bb.2:
	v_cvt_f32_u32_e32 v0, s16
	v_cvt_f32_u32_e32 v1, s17
	s_sub_u32 s2, 0, s16
	s_subb_u32 s8, 0, s17
	s_delay_alu instid0(VALU_DEP_1) | instskip(NEXT) | instid1(VALU_DEP_1)
	v_fmamk_f32 v0, v1, 0x4f800000, v0
	v_rcp_f32_e32 v0, v0
	s_waitcnt_depctr 0xfff
	v_mul_f32_e32 v0, 0x5f7ffffc, v0
	s_delay_alu instid0(VALU_DEP_1) | instskip(NEXT) | instid1(VALU_DEP_1)
	v_mul_f32_e32 v1, 0x2f800000, v0
	v_trunc_f32_e32 v1, v1
	s_delay_alu instid0(VALU_DEP_1) | instskip(SKIP_1) | instid1(VALU_DEP_2)
	v_fmamk_f32 v0, v1, 0xcf800000, v0
	v_cvt_u32_f32_e32 v1, v1
	v_cvt_u32_f32_e32 v0, v0
	s_delay_alu instid0(VALU_DEP_2) | instskip(NEXT) | instid1(VALU_DEP_2)
	v_mul_lo_u32 v9, s2, v1
	v_mul_hi_u32 v10, s2, v0
	v_mul_lo_u32 v11, s8, v0
	s_delay_alu instid0(VALU_DEP_2) | instskip(SKIP_1) | instid1(VALU_DEP_2)
	v_add_nc_u32_e32 v9, v10, v9
	v_mul_lo_u32 v10, s2, v0
	v_add_nc_u32_e32 v9, v9, v11
	s_delay_alu instid0(VALU_DEP_2) | instskip(NEXT) | instid1(VALU_DEP_2)
	v_mul_hi_u32 v11, v0, v10
	v_mul_lo_u32 v12, v0, v9
	v_mul_hi_u32 v13, v0, v9
	v_mul_hi_u32 v14, v1, v10
	v_mul_lo_u32 v10, v1, v10
	v_mul_hi_u32 v15, v1, v9
	v_mul_lo_u32 v9, v1, v9
	v_add_co_u32 v11, vcc_lo, v11, v12
	v_add_co_ci_u32_e32 v12, vcc_lo, 0, v13, vcc_lo
	s_delay_alu instid0(VALU_DEP_2) | instskip(NEXT) | instid1(VALU_DEP_2)
	v_add_co_u32 v10, vcc_lo, v11, v10
	v_add_co_ci_u32_e32 v10, vcc_lo, v12, v14, vcc_lo
	v_add_co_ci_u32_e32 v11, vcc_lo, 0, v15, vcc_lo
	s_delay_alu instid0(VALU_DEP_2) | instskip(NEXT) | instid1(VALU_DEP_2)
	v_add_co_u32 v9, vcc_lo, v10, v9
	v_add_co_ci_u32_e32 v10, vcc_lo, 0, v11, vcc_lo
	s_delay_alu instid0(VALU_DEP_2) | instskip(NEXT) | instid1(VALU_DEP_2)
	v_add_co_u32 v0, vcc_lo, v0, v9
	v_add_co_ci_u32_e32 v1, vcc_lo, v1, v10, vcc_lo
	s_delay_alu instid0(VALU_DEP_2) | instskip(SKIP_1) | instid1(VALU_DEP_3)
	v_mul_hi_u32 v9, s2, v0
	v_mul_lo_u32 v11, s8, v0
	v_mul_lo_u32 v10, s2, v1
	s_delay_alu instid0(VALU_DEP_1) | instskip(SKIP_1) | instid1(VALU_DEP_2)
	v_add_nc_u32_e32 v9, v9, v10
	v_mul_lo_u32 v10, s2, v0
	v_add_nc_u32_e32 v9, v9, v11
	s_delay_alu instid0(VALU_DEP_2) | instskip(NEXT) | instid1(VALU_DEP_2)
	v_mul_hi_u32 v11, v0, v10
	v_mul_lo_u32 v12, v0, v9
	v_mul_hi_u32 v13, v0, v9
	v_mul_hi_u32 v14, v1, v10
	v_mul_lo_u32 v10, v1, v10
	v_mul_hi_u32 v15, v1, v9
	v_mul_lo_u32 v9, v1, v9
	v_add_co_u32 v11, vcc_lo, v11, v12
	v_add_co_ci_u32_e32 v12, vcc_lo, 0, v13, vcc_lo
	s_delay_alu instid0(VALU_DEP_2) | instskip(NEXT) | instid1(VALU_DEP_2)
	v_add_co_u32 v10, vcc_lo, v11, v10
	v_add_co_ci_u32_e32 v10, vcc_lo, v12, v14, vcc_lo
	v_add_co_ci_u32_e32 v11, vcc_lo, 0, v15, vcc_lo
	s_delay_alu instid0(VALU_DEP_2) | instskip(NEXT) | instid1(VALU_DEP_2)
	v_add_co_u32 v9, vcc_lo, v10, v9
	v_add_co_ci_u32_e32 v10, vcc_lo, 0, v11, vcc_lo
	s_delay_alu instid0(VALU_DEP_2) | instskip(NEXT) | instid1(VALU_DEP_2)
	v_add_co_u32 v11, vcc_lo, v0, v9
	v_add_co_ci_u32_e32 v13, vcc_lo, v1, v10, vcc_lo
	s_delay_alu instid0(VALU_DEP_2) | instskip(SKIP_1) | instid1(VALU_DEP_3)
	v_mul_hi_u32 v14, v5, v11
	v_mad_u64_u32 v[9:10], null, v8, v11, 0
	v_mad_u64_u32 v[0:1], null, v5, v13, 0
	;; [unrolled: 1-line block ×3, first 2 shown]
	s_delay_alu instid0(VALU_DEP_2) | instskip(NEXT) | instid1(VALU_DEP_3)
	v_add_co_u32 v0, vcc_lo, v14, v0
	v_add_co_ci_u32_e32 v1, vcc_lo, 0, v1, vcc_lo
	s_delay_alu instid0(VALU_DEP_2) | instskip(NEXT) | instid1(VALU_DEP_2)
	v_add_co_u32 v0, vcc_lo, v0, v9
	v_add_co_ci_u32_e32 v0, vcc_lo, v1, v10, vcc_lo
	v_add_co_ci_u32_e32 v1, vcc_lo, 0, v12, vcc_lo
	s_delay_alu instid0(VALU_DEP_2) | instskip(NEXT) | instid1(VALU_DEP_2)
	v_add_co_u32 v9, vcc_lo, v0, v11
	v_add_co_ci_u32_e32 v10, vcc_lo, 0, v1, vcc_lo
	s_delay_alu instid0(VALU_DEP_2) | instskip(SKIP_1) | instid1(VALU_DEP_3)
	v_mul_lo_u32 v11, s17, v9
	v_mad_u64_u32 v[0:1], null, s16, v9, 0
	v_mul_lo_u32 v12, s16, v10
	s_delay_alu instid0(VALU_DEP_2) | instskip(NEXT) | instid1(VALU_DEP_2)
	v_sub_co_u32 v0, vcc_lo, v5, v0
	v_add3_u32 v1, v1, v12, v11
	s_delay_alu instid0(VALU_DEP_1) | instskip(NEXT) | instid1(VALU_DEP_1)
	v_sub_nc_u32_e32 v11, v8, v1
	v_subrev_co_ci_u32_e64 v5, s2, s17, v11, vcc_lo
	v_add_co_u32 v11, s2, v9, 2
	s_delay_alu instid0(VALU_DEP_1) | instskip(SKIP_3) | instid1(VALU_DEP_3)
	v_add_co_ci_u32_e64 v12, s2, 0, v10, s2
	v_sub_co_u32 v13, s2, v0, s16
	v_sub_co_ci_u32_e32 v1, vcc_lo, v8, v1, vcc_lo
	v_subrev_co_ci_u32_e64 v5, s2, 0, v5, s2
	v_cmp_le_u32_e32 vcc_lo, s16, v13
	s_delay_alu instid0(VALU_DEP_3) | instskip(SKIP_1) | instid1(VALU_DEP_4)
	v_cmp_eq_u32_e64 s2, s17, v1
	v_cndmask_b32_e64 v8, 0, -1, vcc_lo
	v_cmp_le_u32_e32 vcc_lo, s17, v5
	v_cndmask_b32_e64 v13, 0, -1, vcc_lo
	v_cmp_le_u32_e32 vcc_lo, s16, v0
	;; [unrolled: 2-line block ×3, first 2 shown]
	v_cndmask_b32_e64 v14, 0, -1, vcc_lo
	v_cmp_eq_u32_e32 vcc_lo, s17, v5
	s_delay_alu instid0(VALU_DEP_2) | instskip(SKIP_3) | instid1(VALU_DEP_3)
	v_cndmask_b32_e64 v0, v14, v0, s2
	v_cndmask_b32_e32 v5, v13, v8, vcc_lo
	v_add_co_u32 v8, vcc_lo, v9, 1
	v_add_co_ci_u32_e32 v13, vcc_lo, 0, v10, vcc_lo
	v_cmp_ne_u32_e32 vcc_lo, 0, v5
	s_delay_alu instid0(VALU_DEP_3) | instskip(NEXT) | instid1(VALU_DEP_3)
	v_cndmask_b32_e32 v5, v8, v11, vcc_lo
	v_cndmask_b32_e32 v1, v13, v12, vcc_lo
	v_cmp_ne_u32_e32 vcc_lo, 0, v0
	s_delay_alu instid0(VALU_DEP_2) | instskip(NEXT) | instid1(VALU_DEP_4)
	v_cndmask_b32_e32 v1, v10, v1, vcc_lo
	v_cndmask_b32_e32 v0, v9, v5, vcc_lo
                                        ; implicit-def: $vgpr5
.LBB44_3:
	s_or_saveexec_b32 s2, s3
	s_load_b128 s[8:11], s[0:1], 0x0
	s_xor_b32 exec_lo, exec_lo, s2
	s_cbranch_execz .LBB44_5
; %bb.4:
	v_cvt_f32_u32_e32 v0, s16
	s_sub_i32 s3, 0, s16
	s_delay_alu instid0(VALU_DEP_1) | instskip(SKIP_2) | instid1(VALU_DEP_1)
	v_rcp_iflag_f32_e32 v0, v0
	s_waitcnt_depctr 0xfff
	v_mul_f32_e32 v0, 0x4f7ffffe, v0
	v_cvt_u32_f32_e32 v0, v0
	s_delay_alu instid0(VALU_DEP_1) | instskip(NEXT) | instid1(VALU_DEP_1)
	v_mul_lo_u32 v1, s3, v0
	v_mul_hi_u32 v1, v0, v1
	s_delay_alu instid0(VALU_DEP_1) | instskip(NEXT) | instid1(VALU_DEP_1)
	v_add_nc_u32_e32 v0, v0, v1
	v_mul_hi_u32 v0, v5, v0
	s_delay_alu instid0(VALU_DEP_1) | instskip(NEXT) | instid1(VALU_DEP_1)
	v_mul_lo_u32 v1, v0, s16
	v_sub_nc_u32_e32 v1, v5, v1
	v_add_nc_u32_e32 v5, 1, v0
	s_delay_alu instid0(VALU_DEP_2) | instskip(SKIP_1) | instid1(VALU_DEP_2)
	v_subrev_nc_u32_e32 v8, s16, v1
	v_cmp_le_u32_e32 vcc_lo, s16, v1
	v_dual_cndmask_b32 v1, v1, v8 :: v_dual_cndmask_b32 v0, v0, v5
	s_delay_alu instid0(VALU_DEP_1) | instskip(NEXT) | instid1(VALU_DEP_2)
	v_cmp_le_u32_e32 vcc_lo, s16, v1
	v_add_nc_u32_e32 v5, 1, v0
	s_delay_alu instid0(VALU_DEP_1)
	v_dual_mov_b32 v1, 0 :: v_dual_cndmask_b32 v0, v0, v5
.LBB44_5:
	s_or_b32 exec_lo, exec_lo, s2
	s_load_b128 s[12:15], s[0:1], 0x10
	s_delay_alu instid0(VALU_DEP_1) | instskip(NEXT) | instid1(VALU_DEP_2)
	v_add_co_u32 v0, vcc_lo, v0, v4
	v_add_co_ci_u32_e32 v1, vcc_lo, 0, v1, vcc_lo
                                        ; implicit-def: $vgpr4_vgpr5
                                        ; implicit-def: $sgpr20_sgpr21
                                        ; implicit-def: $sgpr18_sgpr19
	s_mov_b32 s22, exec_lo
	s_delay_alu instid0(VALU_DEP_2) | instskip(NEXT) | instid1(VALU_DEP_2)
	v_add_co_u32 v0, vcc_lo, v0, 1
	v_add_co_ci_u32_e32 v1, vcc_lo, 0, v1, vcc_lo
	s_waitcnt lgkmcnt(0)
	s_lshl_b64 s[0:1], s[12:13], 1
	s_delay_alu instid0(SALU_CYCLE_1)
	s_add_u32 s2, s0, -2
	s_addc_u32 s3, s1, -1
	s_mov_b32 s0, 0
	v_cmp_lt_i64_e64 s34, s[2:3], 1
	v_cmp_gt_i64_e64 s1, s[2:3], 0
	v_cmpx_lt_u64_e32 1, v[0:1]
	s_xor_b32 s33, exec_lo, s22
	s_cbranch_execz .LBB44_29
; %bb.6:
	v_add_co_u32 v4, vcc_lo, v2, s16
	v_lshlrev_b64 v[8:9], 1, v[2:3]
	v_add_co_ci_u32_e32 v5, vcc_lo, s17, v3, vcc_lo
	v_sub_co_u32 v14, vcc_lo, v2, s14
	v_dual_mov_b32 v13, v1 :: v_dual_and_b32 v12, -2, v0
	v_subrev_co_ci_u32_e32 v15, vcc_lo, s15, v3, vcc_lo
	v_add_co_u32 v16, vcc_lo, s10, v8
	v_add_co_ci_u32_e32 v17, vcc_lo, s11, v9, vcc_lo
	v_sub_co_u32 v18, vcc_lo, v6, s14
	v_dual_mov_b32 v20, 0 :: v_dual_mov_b32 v23, v13
	v_subrev_co_ci_u32_e32 v19, vcc_lo, s15, v7, vcc_lo
	v_dual_mov_b32 v22, v12 :: v_dual_mov_b32 v7, v5
	v_dual_mov_b32 v6, v4 :: v_dual_mov_b32 v5, v3
	v_mov_b32_e32 v4, v2
	s_lshl_b64 s[18:19], s[16:17], 1
	s_xor_b32 s39, s34, -1
	s_sub_u32 s20, 0, s4
	s_mov_b32 s35, s18
	s_mov_b32 s36, s19
	;; [unrolled: 1-line block ×8, first 2 shown]
	s_subb_u32 s21, 0, s5
	s_lshl_b64 s[26:27], s[16:17], 2
	s_mov_b32 s40, 0
	s_ashr_i32 s28, s5, 31
	s_sub_i32 s41, 0, s4
	s_branch .LBB44_9
.LBB44_7:                               ;   in Loop: Header=BB44_9 Depth=1
	s_or_b32 exec_lo, exec_lo, s0
.LBB44_8:                               ;   in Loop: Header=BB44_9 Depth=1
	s_delay_alu instid0(VALU_DEP_1) | instskip(SKIP_3) | instid1(VALU_DEP_4)
	v_ashrrev_i32_e32 v21, 31, v11
	v_ashrrev_i32_e32 v28, 31, v9
	v_mul_lo_u32 v25, v25, s22
	v_mul_lo_u32 v33, v24, s23
	v_and_b32_e32 v29, s37, v21
	v_and_b32_e32 v21, s38, v21
	;; [unrolled: 1-line block ×4, first 2 shown]
	s_delay_alu instid0(VALU_DEP_4) | instskip(NEXT) | instid1(VALU_DEP_4)
	v_add_co_u32 v10, vcc_lo, v29, v10
	v_add_co_ci_u32_e32 v11, vcc_lo, v21, v11, vcc_lo
	s_delay_alu instid0(VALU_DEP_3) | instskip(SKIP_1) | instid1(VALU_DEP_4)
	v_add_co_u32 v8, vcc_lo, v28, v8
	v_add_co_ci_u32_e32 v9, vcc_lo, v30, v9, vcc_lo
	v_sub_co_u32 v21, vcc_lo, s37, v10
	s_delay_alu instid0(VALU_DEP_4) | instskip(NEXT) | instid1(VALU_DEP_4)
	v_sub_co_ci_u32_e32 v30, vcc_lo, s38, v11, vcc_lo
	v_sub_co_u32 v31, vcc_lo, s2, v8
	v_mad_u64_u32 v[28:29], null, v24, s22, 0
	v_sub_co_ci_u32_e32 v32, vcc_lo, s3, v9, vcc_lo
	v_cmp_gt_i64_e32 vcc_lo, s[22:23], v[8:9]
	v_cmp_gt_i64_e64 s0, s[24:25], v[10:11]
	s_delay_alu instid0(VALU_DEP_4) | instskip(SKIP_2) | instid1(VALU_DEP_4)
	v_add3_u32 v29, v29, v33, v25
	v_mad_u64_u32 v[24:25], null, v26, s24, 0
	v_dual_cndmask_b32 v9, v32, v9 :: v_dual_cndmask_b32 v8, v31, v8
	v_cndmask_b32_e64 v21, v21, v10, s0
	v_cndmask_b32_e64 v30, v30, v11, s0
	v_mul_lo_u32 v31, v27, s24
	s_delay_alu instid0(VALU_DEP_4)
	v_cndmask_b32_e64 v9, v9, 0, s34
	v_cndmask_b32_e64 v8, v8, 0, s34
	v_mul_lo_u32 v32, v26, s25
	v_lshlrev_b64 v[10:11], 1, v[28:29]
	v_cndmask_b32_e64 v27, v30, 0, s34
	v_cndmask_b32_e64 v26, v21, 0, s34
	v_lshlrev_b64 v[8:9], 1, v[8:9]
	s_delay_alu instid0(VALU_DEP_4) | instskip(SKIP_2) | instid1(VALU_DEP_3)
	v_add_co_u32 v10, vcc_lo, s8, v10
	v_add_co_ci_u32_e32 v11, vcc_lo, s9, v11, vcc_lo
	v_add3_u32 v25, v25, v32, v31
	v_add_co_u32 v8, vcc_lo, v10, v8
	s_delay_alu instid0(VALU_DEP_3) | instskip(NEXT) | instid1(VALU_DEP_3)
	v_add_co_ci_u32_e32 v9, vcc_lo, v11, v9, vcc_lo
	v_lshlrev_b64 v[10:11], 1, v[24:25]
	v_lshlrev_b64 v[24:25], 1, v[26:27]
	global_load_u16 v21, v[8:9], off
	v_add_co_u32 v8, vcc_lo, s8, v10
	v_add_co_ci_u32_e32 v9, vcc_lo, s9, v11, vcc_lo
	s_delay_alu instid0(VALU_DEP_2) | instskip(NEXT) | instid1(VALU_DEP_2)
	v_add_co_u32 v8, vcc_lo, v8, v24
	v_add_co_ci_u32_e32 v9, vcc_lo, v9, v25, vcc_lo
	global_load_u16 v10, v[8:9], off
	v_add_co_u32 v8, vcc_lo, v16, s18
	v_add_co_ci_u32_e32 v9, vcc_lo, s19, v17, vcc_lo
	v_add_co_u32 v6, vcc_lo, v6, s35
	v_add_co_ci_u32_e32 v7, vcc_lo, s36, v7, vcc_lo
	;; [unrolled: 2-line block ×3, first 2 shown]
	v_add_co_u32 v22, vcc_lo, v22, -2
	v_add_co_ci_u32_e32 v23, vcc_lo, -1, v23, vcc_lo
	v_add_co_u32 v14, vcc_lo, v14, s18
	v_add_co_ci_u32_e32 v15, vcc_lo, s19, v15, vcc_lo
	s_delay_alu instid0(VALU_DEP_3) | instskip(SKIP_4) | instid1(VALU_DEP_1)
	v_cmp_eq_u64_e32 vcc_lo, 0, v[22:23]
	s_or_b32 s40, vcc_lo, s40
	s_waitcnt vmcnt(1)
	global_store_b16 v[16:17], v21, off
	v_add_co_u32 v16, s0, v16, s26
	v_add_co_ci_u32_e64 v17, s0, s27, v17, s0
	v_add_co_u32 v18, s0, v18, s18
	s_delay_alu instid0(VALU_DEP_1)
	v_add_co_ci_u32_e64 v19, s0, s19, v19, s0
	s_waitcnt vmcnt(0)
	global_store_b16 v[8:9], v10, off
	s_and_not1_b32 exec_lo, exec_lo, s40
	s_cbranch_execz .LBB44_28
.LBB44_9:                               ; =>This Inner Loop Header: Depth=1
	v_or_b32_e32 v21, s5, v5
                                        ; implicit-def: $vgpr24_vgpr25
	s_mov_b32 s0, exec_lo
	s_delay_alu instid0(VALU_DEP_1)
	v_cmpx_ne_u64_e32 0, v[20:21]
	s_xor_b32 s42, exec_lo, s0
	s_cbranch_execz .LBB44_11
; %bb.10:                               ;   in Loop: Header=BB44_9 Depth=1
	s_add_u32 s30, s4, s28
	s_mov_b32 s29, s28
	s_addc_u32 s31, s5, s28
	s_delay_alu instid0(SALU_CYCLE_1) | instskip(NEXT) | instid1(SALU_CYCLE_1)
	s_xor_b64 s[30:31], s[30:31], s[28:29]
	v_cvt_f32_u32_e32 v8, s30
	v_cvt_f32_u32_e32 v9, s31
	s_sub_u32 s0, 0, s30
	s_subb_u32 s29, 0, s31
	s_delay_alu instid0(VALU_DEP_1) | instskip(NEXT) | instid1(VALU_DEP_1)
	v_fmac_f32_e32 v8, 0x4f800000, v9
	v_rcp_f32_e32 v8, v8
	s_waitcnt_depctr 0xfff
	v_mul_f32_e32 v8, 0x5f7ffffc, v8
	s_delay_alu instid0(VALU_DEP_1) | instskip(NEXT) | instid1(VALU_DEP_1)
	v_mul_f32_e32 v9, 0x2f800000, v8
	v_trunc_f32_e32 v9, v9
	s_delay_alu instid0(VALU_DEP_1) | instskip(SKIP_1) | instid1(VALU_DEP_2)
	v_fmac_f32_e32 v8, 0xcf800000, v9
	v_cvt_u32_f32_e32 v9, v9
	v_cvt_u32_f32_e32 v8, v8
	s_delay_alu instid0(VALU_DEP_2) | instskip(NEXT) | instid1(VALU_DEP_2)
	v_mul_lo_u32 v10, s0, v9
	v_mul_hi_u32 v11, s0, v8
	v_mul_lo_u32 v21, s29, v8
	s_delay_alu instid0(VALU_DEP_2) | instskip(SKIP_1) | instid1(VALU_DEP_2)
	v_add_nc_u32_e32 v10, v11, v10
	v_mul_lo_u32 v11, s0, v8
	v_add_nc_u32_e32 v10, v10, v21
	s_delay_alu instid0(VALU_DEP_2) | instskip(NEXT) | instid1(VALU_DEP_2)
	v_mul_hi_u32 v21, v8, v11
	v_mul_lo_u32 v24, v8, v10
	v_mul_hi_u32 v25, v8, v10
	v_mul_hi_u32 v26, v9, v11
	v_mul_lo_u32 v11, v9, v11
	v_mul_hi_u32 v27, v9, v10
	v_mul_lo_u32 v10, v9, v10
	v_add_co_u32 v21, vcc_lo, v21, v24
	v_add_co_ci_u32_e32 v24, vcc_lo, 0, v25, vcc_lo
	s_delay_alu instid0(VALU_DEP_2) | instskip(NEXT) | instid1(VALU_DEP_2)
	v_add_co_u32 v11, vcc_lo, v21, v11
	v_add_co_ci_u32_e32 v11, vcc_lo, v24, v26, vcc_lo
	v_add_co_ci_u32_e32 v21, vcc_lo, 0, v27, vcc_lo
	v_ashrrev_i32_e32 v26, 31, v5
	s_delay_alu instid0(VALU_DEP_3) | instskip(NEXT) | instid1(VALU_DEP_3)
	v_add_co_u32 v10, vcc_lo, v11, v10
	v_add_co_ci_u32_e32 v11, vcc_lo, 0, v21, vcc_lo
	s_delay_alu instid0(VALU_DEP_2) | instskip(NEXT) | instid1(VALU_DEP_2)
	v_add_co_u32 v8, vcc_lo, v8, v10
	v_add_co_ci_u32_e32 v9, vcc_lo, v9, v11, vcc_lo
	s_delay_alu instid0(VALU_DEP_2) | instskip(SKIP_1) | instid1(VALU_DEP_3)
	v_mul_hi_u32 v10, s0, v8
	v_mul_lo_u32 v21, s29, v8
	v_mul_lo_u32 v11, s0, v9
	s_delay_alu instid0(VALU_DEP_1) | instskip(SKIP_1) | instid1(VALU_DEP_2)
	v_add_nc_u32_e32 v10, v10, v11
	v_mul_lo_u32 v11, s0, v8
	v_add_nc_u32_e32 v10, v10, v21
	s_delay_alu instid0(VALU_DEP_2) | instskip(NEXT) | instid1(VALU_DEP_2)
	v_mul_hi_u32 v21, v8, v11
	v_mul_lo_u32 v24, v8, v10
	v_mul_hi_u32 v25, v8, v10
	v_mul_hi_u32 v27, v9, v11
	v_mul_lo_u32 v11, v9, v11
	v_mul_hi_u32 v28, v9, v10
	v_mul_lo_u32 v10, v9, v10
	v_add_co_u32 v21, vcc_lo, v21, v24
	v_add_co_ci_u32_e32 v24, vcc_lo, 0, v25, vcc_lo
	s_delay_alu instid0(VALU_DEP_2) | instskip(NEXT) | instid1(VALU_DEP_2)
	v_add_co_u32 v11, vcc_lo, v21, v11
	v_add_co_ci_u32_e32 v11, vcc_lo, v24, v27, vcc_lo
	v_add_co_ci_u32_e32 v21, vcc_lo, 0, v28, vcc_lo
	v_add_co_u32 v24, vcc_lo, v4, v26
	v_add_co_ci_u32_e32 v25, vcc_lo, v5, v26, vcc_lo
	s_delay_alu instid0(VALU_DEP_4) | instskip(NEXT) | instid1(VALU_DEP_4)
	v_add_co_u32 v10, vcc_lo, v11, v10
	v_add_co_ci_u32_e32 v11, vcc_lo, 0, v21, vcc_lo
	s_delay_alu instid0(VALU_DEP_4) | instskip(NEXT) | instid1(VALU_DEP_3)
	v_xor_b32_e32 v21, v24, v26
	v_add_co_u32 v24, vcc_lo, v8, v10
	s_delay_alu instid0(VALU_DEP_3) | instskip(SKIP_1) | instid1(VALU_DEP_3)
	v_add_co_ci_u32_e32 v27, vcc_lo, v9, v11, vcc_lo
	v_xor_b32_e32 v28, v25, v26
	v_mul_hi_u32 v29, v21, v24
	s_delay_alu instid0(VALU_DEP_3) | instskip(NEXT) | instid1(VALU_DEP_3)
	v_mad_u64_u32 v[8:9], null, v21, v27, 0
	v_mad_u64_u32 v[10:11], null, v28, v24, 0
	;; [unrolled: 1-line block ×3, first 2 shown]
	s_delay_alu instid0(VALU_DEP_3) | instskip(NEXT) | instid1(VALU_DEP_4)
	v_add_co_u32 v8, vcc_lo, v29, v8
	v_add_co_ci_u32_e32 v9, vcc_lo, 0, v9, vcc_lo
	s_delay_alu instid0(VALU_DEP_2) | instskip(NEXT) | instid1(VALU_DEP_2)
	v_add_co_u32 v8, vcc_lo, v8, v10
	v_add_co_ci_u32_e32 v8, vcc_lo, v9, v11, vcc_lo
	v_add_co_ci_u32_e32 v9, vcc_lo, 0, v25, vcc_lo
	s_delay_alu instid0(VALU_DEP_2) | instskip(NEXT) | instid1(VALU_DEP_2)
	v_add_co_u32 v10, vcc_lo, v8, v24
	v_add_co_ci_u32_e32 v11, vcc_lo, 0, v9, vcc_lo
	s_delay_alu instid0(VALU_DEP_2) | instskip(SKIP_1) | instid1(VALU_DEP_3)
	v_mul_lo_u32 v24, s31, v10
	v_mad_u64_u32 v[8:9], null, s30, v10, 0
	v_mul_lo_u32 v25, s30, v11
	s_delay_alu instid0(VALU_DEP_2) | instskip(NEXT) | instid1(VALU_DEP_2)
	v_sub_co_u32 v8, vcc_lo, v21, v8
	v_add3_u32 v9, v9, v25, v24
	s_delay_alu instid0(VALU_DEP_1) | instskip(NEXT) | instid1(VALU_DEP_1)
	v_sub_nc_u32_e32 v24, v28, v9
	v_subrev_co_ci_u32_e64 v21, s0, s31, v24, vcc_lo
	v_add_co_u32 v24, s0, v10, 2
	s_delay_alu instid0(VALU_DEP_1) | instskip(SKIP_3) | instid1(VALU_DEP_3)
	v_add_co_ci_u32_e64 v25, s0, 0, v11, s0
	v_sub_co_u32 v27, s0, v8, s30
	v_sub_co_ci_u32_e32 v9, vcc_lo, v28, v9, vcc_lo
	v_subrev_co_ci_u32_e64 v21, s0, 0, v21, s0
	v_cmp_le_u32_e32 vcc_lo, s30, v27
	s_delay_alu instid0(VALU_DEP_3) | instskip(SKIP_1) | instid1(VALU_DEP_4)
	v_cmp_eq_u32_e64 s0, s31, v9
	v_cndmask_b32_e64 v27, 0, -1, vcc_lo
	v_cmp_le_u32_e32 vcc_lo, s31, v21
	v_cndmask_b32_e64 v28, 0, -1, vcc_lo
	v_cmp_le_u32_e32 vcc_lo, s30, v8
	;; [unrolled: 2-line block ×3, first 2 shown]
	v_cndmask_b32_e64 v29, 0, -1, vcc_lo
	v_cmp_eq_u32_e32 vcc_lo, s31, v21
	s_delay_alu instid0(VALU_DEP_2) | instskip(SKIP_3) | instid1(VALU_DEP_3)
	v_cndmask_b32_e64 v8, v29, v8, s0
	v_cndmask_b32_e32 v21, v28, v27, vcc_lo
	v_add_co_u32 v27, vcc_lo, v10, 1
	v_add_co_ci_u32_e32 v28, vcc_lo, 0, v11, vcc_lo
	v_cmp_ne_u32_e32 vcc_lo, 0, v21
	s_delay_alu instid0(VALU_DEP_2) | instskip(NEXT) | instid1(VALU_DEP_4)
	v_cndmask_b32_e32 v9, v28, v25, vcc_lo
	v_cndmask_b32_e32 v21, v27, v24, vcc_lo
	v_cmp_ne_u32_e32 vcc_lo, 0, v8
	v_xor_b32_e32 v8, s28, v26
	s_delay_alu instid0(VALU_DEP_4) | instskip(NEXT) | instid1(VALU_DEP_4)
	v_cndmask_b32_e32 v9, v11, v9, vcc_lo
	v_cndmask_b32_e32 v10, v10, v21, vcc_lo
	s_delay_alu instid0(VALU_DEP_2) | instskip(NEXT) | instid1(VALU_DEP_2)
	v_xor_b32_e32 v9, v9, v8
	v_xor_b32_e32 v10, v10, v8
	s_delay_alu instid0(VALU_DEP_1) | instskip(NEXT) | instid1(VALU_DEP_3)
	v_sub_co_u32 v24, vcc_lo, v10, v8
	v_sub_co_ci_u32_e32 v25, vcc_lo, v9, v8, vcc_lo
.LBB44_11:                              ;   in Loop: Header=BB44_9 Depth=1
	s_or_saveexec_b32 s0, s42
	v_cvt_f32_u32_e32 v8, s4
	s_delay_alu instid0(VALU_DEP_1)
	v_rcp_iflag_f32_e32 v8, v8
	s_xor_b32 exec_lo, exec_lo, s0
	s_cbranch_execz .LBB44_13
; %bb.12:                               ;   in Loop: Header=BB44_9 Depth=1
	s_waitcnt_depctr 0xfff
	v_mul_f32_e32 v9, 0x4f7ffffe, v8
	v_mov_b32_e32 v25, v20
	s_delay_alu instid0(VALU_DEP_2) | instskip(NEXT) | instid1(VALU_DEP_1)
	v_cvt_u32_f32_e32 v9, v9
	v_mul_lo_u32 v10, s41, v9
	s_delay_alu instid0(VALU_DEP_1) | instskip(NEXT) | instid1(VALU_DEP_1)
	v_mul_hi_u32 v10, v9, v10
	v_add_nc_u32_e32 v9, v9, v10
	s_delay_alu instid0(VALU_DEP_1) | instskip(NEXT) | instid1(VALU_DEP_1)
	v_mul_hi_u32 v9, v4, v9
	v_mul_lo_u32 v10, v9, s4
	v_add_nc_u32_e32 v11, 1, v9
	s_delay_alu instid0(VALU_DEP_2) | instskip(NEXT) | instid1(VALU_DEP_1)
	v_sub_nc_u32_e32 v10, v4, v10
	v_subrev_nc_u32_e32 v21, s4, v10
	v_cmp_le_u32_e32 vcc_lo, s4, v10
	s_delay_alu instid0(VALU_DEP_2) | instskip(NEXT) | instid1(VALU_DEP_1)
	v_dual_cndmask_b32 v10, v10, v21 :: v_dual_cndmask_b32 v9, v9, v11
	v_cmp_le_u32_e32 vcc_lo, s4, v10
	s_delay_alu instid0(VALU_DEP_2) | instskip(NEXT) | instid1(VALU_DEP_1)
	v_add_nc_u32_e32 v11, 1, v9
	v_cndmask_b32_e32 v24, v9, v11, vcc_lo
.LBB44_13:                              ;   in Loop: Header=BB44_9 Depth=1
	s_or_b32 exec_lo, exec_lo, s0
	v_or_b32_e32 v21, s5, v7
                                        ; implicit-def: $vgpr26_vgpr27
	s_mov_b32 s0, exec_lo
	s_delay_alu instid0(VALU_DEP_1)
	v_cmpx_ne_u64_e32 0, v[20:21]
	s_xor_b32 s42, exec_lo, s0
	s_cbranch_execnz .LBB44_17
; %bb.14:                               ;   in Loop: Header=BB44_9 Depth=1
	s_and_not1_saveexec_b32 s0, s42
	s_cbranch_execnz .LBB44_18
.LBB44_15:                              ;   in Loop: Header=BB44_9 Depth=1
	s_or_b32 exec_lo, exec_lo, s0
	s_delay_alu instid0(SALU_CYCLE_1)
	s_and_not1_b32 vcc_lo, exec_lo, s39
                                        ; implicit-def: $vgpr8_vgpr9_vgpr10_vgpr11
	s_cbranch_vccz .LBB44_19
.LBB44_16:                              ;   in Loop: Header=BB44_9 Depth=1
	s_and_not1_b32 vcc_lo, exec_lo, s39
	s_cbranch_vccnz .LBB44_8
	s_branch .LBB44_24
.LBB44_17:                              ;   in Loop: Header=BB44_9 Depth=1
	s_add_u32 s30, s4, s28
	s_mov_b32 s29, s28
	s_addc_u32 s31, s5, s28
	s_delay_alu instid0(SALU_CYCLE_1) | instskip(NEXT) | instid1(SALU_CYCLE_1)
	s_xor_b64 s[30:31], s[30:31], s[28:29]
	v_cvt_f32_u32_e32 v8, s30
	v_cvt_f32_u32_e32 v9, s31
	s_sub_u32 s0, 0, s30
	s_subb_u32 s29, 0, s31
	s_waitcnt_depctr 0xfff
	v_fmac_f32_e32 v8, 0x4f800000, v9
	s_delay_alu instid0(VALU_DEP_1) | instskip(SKIP_2) | instid1(VALU_DEP_1)
	v_rcp_f32_e32 v8, v8
	s_waitcnt_depctr 0xfff
	v_mul_f32_e32 v8, 0x5f7ffffc, v8
	v_mul_f32_e32 v9, 0x2f800000, v8
	s_delay_alu instid0(VALU_DEP_1) | instskip(NEXT) | instid1(VALU_DEP_1)
	v_trunc_f32_e32 v9, v9
	v_fmac_f32_e32 v8, 0xcf800000, v9
	v_cvt_u32_f32_e32 v9, v9
	s_delay_alu instid0(VALU_DEP_2) | instskip(NEXT) | instid1(VALU_DEP_2)
	v_cvt_u32_f32_e32 v8, v8
	v_mul_lo_u32 v10, s0, v9
	s_delay_alu instid0(VALU_DEP_2) | instskip(SKIP_1) | instid1(VALU_DEP_2)
	v_mul_hi_u32 v11, s0, v8
	v_mul_lo_u32 v21, s29, v8
	v_add_nc_u32_e32 v10, v11, v10
	v_mul_lo_u32 v11, s0, v8
	s_delay_alu instid0(VALU_DEP_2) | instskip(NEXT) | instid1(VALU_DEP_2)
	v_add_nc_u32_e32 v10, v10, v21
	v_mul_hi_u32 v21, v8, v11
	s_delay_alu instid0(VALU_DEP_2)
	v_mul_lo_u32 v26, v8, v10
	v_mul_hi_u32 v27, v8, v10
	v_mul_hi_u32 v28, v9, v11
	v_mul_lo_u32 v11, v9, v11
	v_mul_hi_u32 v29, v9, v10
	v_mul_lo_u32 v10, v9, v10
	v_add_co_u32 v21, vcc_lo, v21, v26
	v_add_co_ci_u32_e32 v26, vcc_lo, 0, v27, vcc_lo
	s_delay_alu instid0(VALU_DEP_2) | instskip(NEXT) | instid1(VALU_DEP_2)
	v_add_co_u32 v11, vcc_lo, v21, v11
	v_add_co_ci_u32_e32 v11, vcc_lo, v26, v28, vcc_lo
	v_add_co_ci_u32_e32 v21, vcc_lo, 0, v29, vcc_lo
	v_ashrrev_i32_e32 v28, 31, v7
	s_delay_alu instid0(VALU_DEP_3) | instskip(NEXT) | instid1(VALU_DEP_3)
	v_add_co_u32 v10, vcc_lo, v11, v10
	v_add_co_ci_u32_e32 v11, vcc_lo, 0, v21, vcc_lo
	s_delay_alu instid0(VALU_DEP_2) | instskip(NEXT) | instid1(VALU_DEP_2)
	v_add_co_u32 v8, vcc_lo, v8, v10
	v_add_co_ci_u32_e32 v9, vcc_lo, v9, v11, vcc_lo
	s_delay_alu instid0(VALU_DEP_2) | instskip(SKIP_1) | instid1(VALU_DEP_3)
	v_mul_hi_u32 v10, s0, v8
	v_mul_lo_u32 v21, s29, v8
	v_mul_lo_u32 v11, s0, v9
	s_delay_alu instid0(VALU_DEP_1) | instskip(SKIP_1) | instid1(VALU_DEP_2)
	v_add_nc_u32_e32 v10, v10, v11
	v_mul_lo_u32 v11, s0, v8
	v_add_nc_u32_e32 v10, v10, v21
	s_delay_alu instid0(VALU_DEP_2) | instskip(NEXT) | instid1(VALU_DEP_2)
	v_mul_hi_u32 v21, v8, v11
	v_mul_lo_u32 v26, v8, v10
	v_mul_hi_u32 v27, v8, v10
	v_mul_hi_u32 v29, v9, v11
	v_mul_lo_u32 v11, v9, v11
	v_mul_hi_u32 v30, v9, v10
	v_mul_lo_u32 v10, v9, v10
	v_add_co_u32 v21, vcc_lo, v21, v26
	v_add_co_ci_u32_e32 v26, vcc_lo, 0, v27, vcc_lo
	s_delay_alu instid0(VALU_DEP_2) | instskip(NEXT) | instid1(VALU_DEP_2)
	v_add_co_u32 v11, vcc_lo, v21, v11
	v_add_co_ci_u32_e32 v11, vcc_lo, v26, v29, vcc_lo
	v_add_co_ci_u32_e32 v21, vcc_lo, 0, v30, vcc_lo
	v_add_co_u32 v26, vcc_lo, v6, v28
	v_add_co_ci_u32_e32 v27, vcc_lo, v7, v28, vcc_lo
	s_delay_alu instid0(VALU_DEP_4) | instskip(NEXT) | instid1(VALU_DEP_4)
	v_add_co_u32 v10, vcc_lo, v11, v10
	v_add_co_ci_u32_e32 v11, vcc_lo, 0, v21, vcc_lo
	s_delay_alu instid0(VALU_DEP_4) | instskip(NEXT) | instid1(VALU_DEP_3)
	v_xor_b32_e32 v21, v26, v28
	v_add_co_u32 v26, vcc_lo, v8, v10
	s_delay_alu instid0(VALU_DEP_3) | instskip(SKIP_1) | instid1(VALU_DEP_3)
	v_add_co_ci_u32_e32 v29, vcc_lo, v9, v11, vcc_lo
	v_xor_b32_e32 v30, v27, v28
	v_mul_hi_u32 v31, v21, v26
	s_delay_alu instid0(VALU_DEP_3) | instskip(NEXT) | instid1(VALU_DEP_3)
	v_mad_u64_u32 v[8:9], null, v21, v29, 0
	v_mad_u64_u32 v[10:11], null, v30, v26, 0
	;; [unrolled: 1-line block ×3, first 2 shown]
	s_delay_alu instid0(VALU_DEP_3) | instskip(NEXT) | instid1(VALU_DEP_4)
	v_add_co_u32 v8, vcc_lo, v31, v8
	v_add_co_ci_u32_e32 v9, vcc_lo, 0, v9, vcc_lo
	s_delay_alu instid0(VALU_DEP_2) | instskip(NEXT) | instid1(VALU_DEP_2)
	v_add_co_u32 v8, vcc_lo, v8, v10
	v_add_co_ci_u32_e32 v8, vcc_lo, v9, v11, vcc_lo
	v_add_co_ci_u32_e32 v9, vcc_lo, 0, v27, vcc_lo
	s_delay_alu instid0(VALU_DEP_2) | instskip(NEXT) | instid1(VALU_DEP_2)
	v_add_co_u32 v10, vcc_lo, v8, v26
	v_add_co_ci_u32_e32 v11, vcc_lo, 0, v9, vcc_lo
	s_delay_alu instid0(VALU_DEP_2) | instskip(SKIP_1) | instid1(VALU_DEP_3)
	v_mul_lo_u32 v26, s31, v10
	v_mad_u64_u32 v[8:9], null, s30, v10, 0
	v_mul_lo_u32 v27, s30, v11
	s_delay_alu instid0(VALU_DEP_2) | instskip(NEXT) | instid1(VALU_DEP_2)
	v_sub_co_u32 v8, vcc_lo, v21, v8
	v_add3_u32 v9, v9, v27, v26
	s_delay_alu instid0(VALU_DEP_1) | instskip(NEXT) | instid1(VALU_DEP_1)
	v_sub_nc_u32_e32 v26, v30, v9
	v_subrev_co_ci_u32_e64 v21, s0, s31, v26, vcc_lo
	v_add_co_u32 v26, s0, v10, 2
	s_delay_alu instid0(VALU_DEP_1) | instskip(SKIP_3) | instid1(VALU_DEP_3)
	v_add_co_ci_u32_e64 v27, s0, 0, v11, s0
	v_sub_co_u32 v29, s0, v8, s30
	v_sub_co_ci_u32_e32 v9, vcc_lo, v30, v9, vcc_lo
	v_subrev_co_ci_u32_e64 v21, s0, 0, v21, s0
	v_cmp_le_u32_e32 vcc_lo, s30, v29
	s_delay_alu instid0(VALU_DEP_3) | instskip(SKIP_1) | instid1(VALU_DEP_4)
	v_cmp_eq_u32_e64 s0, s31, v9
	v_cndmask_b32_e64 v29, 0, -1, vcc_lo
	v_cmp_le_u32_e32 vcc_lo, s31, v21
	v_cndmask_b32_e64 v30, 0, -1, vcc_lo
	v_cmp_le_u32_e32 vcc_lo, s30, v8
	;; [unrolled: 2-line block ×3, first 2 shown]
	v_cndmask_b32_e64 v31, 0, -1, vcc_lo
	v_cmp_eq_u32_e32 vcc_lo, s31, v21
	s_delay_alu instid0(VALU_DEP_2) | instskip(SKIP_3) | instid1(VALU_DEP_3)
	v_cndmask_b32_e64 v8, v31, v8, s0
	v_cndmask_b32_e32 v21, v30, v29, vcc_lo
	v_add_co_u32 v29, vcc_lo, v10, 1
	v_add_co_ci_u32_e32 v30, vcc_lo, 0, v11, vcc_lo
	v_cmp_ne_u32_e32 vcc_lo, 0, v21
	s_delay_alu instid0(VALU_DEP_2) | instskip(NEXT) | instid1(VALU_DEP_4)
	v_cndmask_b32_e32 v9, v30, v27, vcc_lo
	v_cndmask_b32_e32 v21, v29, v26, vcc_lo
	v_cmp_ne_u32_e32 vcc_lo, 0, v8
	v_xor_b32_e32 v8, s28, v28
	s_delay_alu instid0(VALU_DEP_4) | instskip(NEXT) | instid1(VALU_DEP_4)
	v_cndmask_b32_e32 v9, v11, v9, vcc_lo
	v_cndmask_b32_e32 v10, v10, v21, vcc_lo
	s_delay_alu instid0(VALU_DEP_2) | instskip(NEXT) | instid1(VALU_DEP_2)
	v_xor_b32_e32 v9, v9, v8
	v_xor_b32_e32 v10, v10, v8
	s_delay_alu instid0(VALU_DEP_1) | instskip(NEXT) | instid1(VALU_DEP_3)
	v_sub_co_u32 v26, vcc_lo, v10, v8
	v_sub_co_ci_u32_e32 v27, vcc_lo, v9, v8, vcc_lo
                                        ; implicit-def: $vgpr8
	s_and_not1_saveexec_b32 s0, s42
	s_cbranch_execz .LBB44_15
.LBB44_18:                              ;   in Loop: Header=BB44_9 Depth=1
	s_waitcnt_depctr 0xfff
	v_dual_mul_f32 v8, 0x4f7ffffe, v8 :: v_dual_mov_b32 v27, v20
	s_delay_alu instid0(VALU_DEP_1) | instskip(NEXT) | instid1(VALU_DEP_1)
	v_cvt_u32_f32_e32 v8, v8
	v_mul_lo_u32 v9, s41, v8
	s_delay_alu instid0(VALU_DEP_1) | instskip(NEXT) | instid1(VALU_DEP_1)
	v_mul_hi_u32 v9, v8, v9
	v_add_nc_u32_e32 v8, v8, v9
	s_delay_alu instid0(VALU_DEP_1) | instskip(NEXT) | instid1(VALU_DEP_1)
	v_mul_hi_u32 v8, v6, v8
	v_mul_lo_u32 v9, v8, s4
	v_add_nc_u32_e32 v10, 1, v8
	s_delay_alu instid0(VALU_DEP_2) | instskip(NEXT) | instid1(VALU_DEP_1)
	v_sub_nc_u32_e32 v9, v6, v9
	v_subrev_nc_u32_e32 v11, s4, v9
	v_cmp_le_u32_e32 vcc_lo, s4, v9
	s_delay_alu instid0(VALU_DEP_2) | instskip(NEXT) | instid1(VALU_DEP_1)
	v_dual_cndmask_b32 v9, v9, v11 :: v_dual_cndmask_b32 v8, v8, v10
	v_cmp_le_u32_e32 vcc_lo, s4, v9
	s_delay_alu instid0(VALU_DEP_2) | instskip(NEXT) | instid1(VALU_DEP_1)
	v_add_nc_u32_e32 v10, 1, v8
	v_cndmask_b32_e32 v26, v8, v10, vcc_lo
	s_or_b32 exec_lo, exec_lo, s0
	s_delay_alu instid0(SALU_CYCLE_1)
	s_and_not1_b32 vcc_lo, exec_lo, s39
                                        ; implicit-def: $vgpr8_vgpr9_vgpr10_vgpr11
	s_cbranch_vccnz .LBB44_16
.LBB44_19:                              ;   in Loop: Header=BB44_9 Depth=1
	v_mad_u64_u32 v[10:11], null, s20, v24, v[14:15]
	v_mul_lo_u32 v8, s20, v25
	v_mul_lo_u32 v9, s21, v24
	s_mov_b32 s0, exec_lo
	s_waitcnt_depctr 0xfff
	v_add3_u32 v11, v9, v11, v8
                                        ; implicit-def: $vgpr8_vgpr9
	s_delay_alu instid0(VALU_DEP_1) | instskip(NEXT) | instid1(VALU_DEP_1)
	v_or_b32_e32 v21, s3, v11
	v_cmpx_ne_u64_e32 0, v[20:21]
	s_xor_b32 s29, exec_lo, s0
	s_cbranch_execz .LBB44_21
; %bb.20:                               ;   in Loop: Header=BB44_9 Depth=1
	s_ashr_i32 s30, s3, 31
	s_delay_alu instid0(SALU_CYCLE_1) | instskip(SKIP_2) | instid1(SALU_CYCLE_1)
	s_add_u32 s42, s2, s30
	s_mov_b32 s31, s30
	s_addc_u32 s43, s3, s30
	s_xor_b64 s[30:31], s[42:43], s[30:31]
	s_delay_alu instid0(SALU_CYCLE_1) | instskip(SKIP_3) | instid1(VALU_DEP_1)
	v_cvt_f32_u32_e32 v8, s30
	v_cvt_f32_u32_e32 v9, s31
	s_sub_u32 s0, 0, s30
	s_subb_u32 s42, 0, s31
	v_fmac_f32_e32 v8, 0x4f800000, v9
	s_delay_alu instid0(VALU_DEP_1) | instskip(SKIP_2) | instid1(VALU_DEP_1)
	v_rcp_f32_e32 v8, v8
	s_waitcnt_depctr 0xfff
	v_mul_f32_e32 v8, 0x5f7ffffc, v8
	v_mul_f32_e32 v9, 0x2f800000, v8
	s_delay_alu instid0(VALU_DEP_1) | instskip(NEXT) | instid1(VALU_DEP_1)
	v_trunc_f32_e32 v9, v9
	v_fmac_f32_e32 v8, 0xcf800000, v9
	v_cvt_u32_f32_e32 v9, v9
	s_delay_alu instid0(VALU_DEP_2) | instskip(NEXT) | instid1(VALU_DEP_2)
	v_cvt_u32_f32_e32 v8, v8
	v_mul_lo_u32 v21, s0, v9
	s_delay_alu instid0(VALU_DEP_2) | instskip(SKIP_1) | instid1(VALU_DEP_2)
	v_mul_hi_u32 v28, s0, v8
	v_mul_lo_u32 v29, s42, v8
	v_add_nc_u32_e32 v21, v28, v21
	v_mul_lo_u32 v28, s0, v8
	s_delay_alu instid0(VALU_DEP_2) | instskip(NEXT) | instid1(VALU_DEP_2)
	v_add_nc_u32_e32 v21, v21, v29
	v_mul_hi_u32 v29, v8, v28
	s_delay_alu instid0(VALU_DEP_2)
	v_mul_lo_u32 v30, v8, v21
	v_mul_hi_u32 v31, v8, v21
	v_mul_hi_u32 v32, v9, v28
	v_mul_lo_u32 v28, v9, v28
	v_mul_hi_u32 v33, v9, v21
	v_mul_lo_u32 v21, v9, v21
	v_add_co_u32 v29, vcc_lo, v29, v30
	v_add_co_ci_u32_e32 v30, vcc_lo, 0, v31, vcc_lo
	s_delay_alu instid0(VALU_DEP_2) | instskip(NEXT) | instid1(VALU_DEP_2)
	v_add_co_u32 v28, vcc_lo, v29, v28
	v_add_co_ci_u32_e32 v28, vcc_lo, v30, v32, vcc_lo
	v_add_co_ci_u32_e32 v29, vcc_lo, 0, v33, vcc_lo
	v_ashrrev_i32_e32 v32, 31, v11
	s_delay_alu instid0(VALU_DEP_3) | instskip(NEXT) | instid1(VALU_DEP_3)
	v_add_co_u32 v21, vcc_lo, v28, v21
	v_add_co_ci_u32_e32 v28, vcc_lo, 0, v29, vcc_lo
	s_delay_alu instid0(VALU_DEP_2) | instskip(NEXT) | instid1(VALU_DEP_2)
	v_add_co_u32 v8, vcc_lo, v8, v21
	v_add_co_ci_u32_e32 v9, vcc_lo, v9, v28, vcc_lo
	s_delay_alu instid0(VALU_DEP_2) | instskip(SKIP_1) | instid1(VALU_DEP_3)
	v_mul_hi_u32 v21, s0, v8
	v_mul_lo_u32 v29, s42, v8
	v_mul_lo_u32 v28, s0, v9
	s_delay_alu instid0(VALU_DEP_1) | instskip(SKIP_1) | instid1(VALU_DEP_2)
	v_add_nc_u32_e32 v21, v21, v28
	v_mul_lo_u32 v28, s0, v8
	v_add_nc_u32_e32 v21, v21, v29
	s_delay_alu instid0(VALU_DEP_2) | instskip(NEXT) | instid1(VALU_DEP_2)
	v_mul_hi_u32 v29, v8, v28
	v_mul_lo_u32 v30, v8, v21
	v_mul_hi_u32 v31, v8, v21
	v_mul_hi_u32 v33, v9, v28
	v_mul_lo_u32 v28, v9, v28
	v_mul_hi_u32 v34, v9, v21
	v_mul_lo_u32 v21, v9, v21
	v_add_co_u32 v29, vcc_lo, v29, v30
	v_add_co_ci_u32_e32 v30, vcc_lo, 0, v31, vcc_lo
	s_delay_alu instid0(VALU_DEP_2) | instskip(NEXT) | instid1(VALU_DEP_2)
	v_add_co_u32 v28, vcc_lo, v29, v28
	v_add_co_ci_u32_e32 v28, vcc_lo, v30, v33, vcc_lo
	v_add_co_ci_u32_e32 v29, vcc_lo, 0, v34, vcc_lo
	v_add_co_u32 v10, vcc_lo, v10, v32
	v_add_co_ci_u32_e32 v11, vcc_lo, v11, v32, vcc_lo
	s_delay_alu instid0(VALU_DEP_4) | instskip(NEXT) | instid1(VALU_DEP_4)
	v_add_co_u32 v21, vcc_lo, v28, v21
	v_add_co_ci_u32_e32 v28, vcc_lo, 0, v29, vcc_lo
	s_delay_alu instid0(VALU_DEP_4) | instskip(NEXT) | instid1(VALU_DEP_3)
	v_xor_b32_e32 v30, v10, v32
	v_add_co_u32 v21, vcc_lo, v8, v21
	s_delay_alu instid0(VALU_DEP_3) | instskip(SKIP_1) | instid1(VALU_DEP_3)
	v_add_co_ci_u32_e32 v31, vcc_lo, v9, v28, vcc_lo
	v_xor_b32_e32 v33, v11, v32
	v_mul_hi_u32 v34, v30, v21
	s_delay_alu instid0(VALU_DEP_3) | instskip(NEXT) | instid1(VALU_DEP_3)
	v_mad_u64_u32 v[8:9], null, v30, v31, 0
	v_mad_u64_u32 v[10:11], null, v33, v21, 0
	;; [unrolled: 1-line block ×3, first 2 shown]
	s_delay_alu instid0(VALU_DEP_3) | instskip(NEXT) | instid1(VALU_DEP_4)
	v_add_co_u32 v8, vcc_lo, v34, v8
	v_add_co_ci_u32_e32 v9, vcc_lo, 0, v9, vcc_lo
	s_delay_alu instid0(VALU_DEP_2) | instskip(NEXT) | instid1(VALU_DEP_2)
	v_add_co_u32 v8, vcc_lo, v8, v10
	v_add_co_ci_u32_e32 v8, vcc_lo, v9, v11, vcc_lo
	v_add_co_ci_u32_e32 v9, vcc_lo, 0, v29, vcc_lo
	s_delay_alu instid0(VALU_DEP_2) | instskip(NEXT) | instid1(VALU_DEP_2)
	v_add_co_u32 v10, vcc_lo, v8, v28
	v_add_co_ci_u32_e32 v11, vcc_lo, 0, v9, vcc_lo
	s_delay_alu instid0(VALU_DEP_2) | instskip(SKIP_1) | instid1(VALU_DEP_3)
	v_mul_lo_u32 v21, s31, v10
	v_mad_u64_u32 v[8:9], null, s30, v10, 0
	v_mul_lo_u32 v10, s30, v11
	s_delay_alu instid0(VALU_DEP_2) | instskip(NEXT) | instid1(VALU_DEP_2)
	v_sub_co_u32 v8, vcc_lo, v30, v8
	v_add3_u32 v9, v9, v10, v21
	s_delay_alu instid0(VALU_DEP_1) | instskip(NEXT) | instid1(VALU_DEP_1)
	v_sub_nc_u32_e32 v10, v33, v9
	v_subrev_co_ci_u32_e64 v10, s0, s31, v10, vcc_lo
	v_sub_co_ci_u32_e32 v9, vcc_lo, v33, v9, vcc_lo
	v_sub_co_u32 v11, vcc_lo, v8, s30
	s_delay_alu instid0(VALU_DEP_1) | instskip(SKIP_3) | instid1(VALU_DEP_3)
	v_subrev_co_ci_u32_e64 v21, s0, 0, v10, vcc_lo
	v_cmp_le_u32_e64 s0, s30, v8
	v_subrev_co_ci_u32_e32 v10, vcc_lo, s31, v10, vcc_lo
	v_cmp_le_u32_e32 vcc_lo, s31, v9
	v_cndmask_b32_e64 v28, 0, -1, s0
	v_cmp_le_u32_e64 s0, s30, v11
	v_cndmask_b32_e64 v31, 0, -1, vcc_lo
	v_cmp_eq_u32_e32 vcc_lo, s31, v21
	s_delay_alu instid0(VALU_DEP_3) | instskip(SKIP_1) | instid1(VALU_DEP_1)
	v_cndmask_b32_e64 v29, 0, -1, s0
	v_cmp_le_u32_e64 s0, s31, v21
	v_cndmask_b32_e64 v30, 0, -1, s0
	v_cmp_eq_u32_e64 s0, s31, v9
	s_delay_alu instid0(VALU_DEP_2) | instskip(SKIP_2) | instid1(VALU_DEP_3)
	v_cndmask_b32_e32 v29, v30, v29, vcc_lo
	v_sub_co_u32 v30, vcc_lo, v11, s30
	v_subrev_co_ci_u32_e32 v10, vcc_lo, 0, v10, vcc_lo
	v_cmp_ne_u32_e32 vcc_lo, 0, v29
	v_cndmask_b32_e64 v28, v31, v28, s0
	s_delay_alu instid0(VALU_DEP_3) | instskip(SKIP_1) | instid1(VALU_DEP_3)
	v_cndmask_b32_e32 v10, v21, v10, vcc_lo
	v_cndmask_b32_e32 v11, v11, v30, vcc_lo
	v_cmp_ne_u32_e32 vcc_lo, 0, v28
	s_delay_alu instid0(VALU_DEP_2) | instskip(NEXT) | instid1(VALU_DEP_1)
	v_dual_cndmask_b32 v8, v8, v11 :: v_dual_cndmask_b32 v9, v9, v10
                                        ; implicit-def: $vgpr10_vgpr11
	v_xor_b32_e32 v8, v8, v32
	s_delay_alu instid0(VALU_DEP_2) | instskip(NEXT) | instid1(VALU_DEP_2)
	v_xor_b32_e32 v9, v9, v32
	v_sub_co_u32 v8, vcc_lo, v8, v32
	s_delay_alu instid0(VALU_DEP_2)
	v_sub_co_ci_u32_e32 v9, vcc_lo, v9, v32, vcc_lo
.LBB44_21:                              ;   in Loop: Header=BB44_9 Depth=1
	s_and_not1_saveexec_b32 s0, s29
	s_cbranch_execz .LBB44_23
; %bb.22:                               ;   in Loop: Header=BB44_9 Depth=1
	v_cvt_f32_u32_e32 v8, s2
	s_sub_i32 s29, 0, s2
	s_delay_alu instid0(VALU_DEP_1) | instskip(SKIP_2) | instid1(VALU_DEP_1)
	v_rcp_iflag_f32_e32 v8, v8
	s_waitcnt_depctr 0xfff
	v_mul_f32_e32 v8, 0x4f7ffffe, v8
	v_cvt_u32_f32_e32 v8, v8
	s_delay_alu instid0(VALU_DEP_1) | instskip(NEXT) | instid1(VALU_DEP_1)
	v_mul_lo_u32 v9, s29, v8
	v_mul_hi_u32 v9, v8, v9
	s_delay_alu instid0(VALU_DEP_1) | instskip(NEXT) | instid1(VALU_DEP_1)
	v_add_nc_u32_e32 v8, v8, v9
	v_mul_hi_u32 v8, v10, v8
	s_delay_alu instid0(VALU_DEP_1) | instskip(NEXT) | instid1(VALU_DEP_1)
	v_mul_lo_u32 v8, v8, s2
	v_sub_nc_u32_e32 v8, v10, v8
	s_delay_alu instid0(VALU_DEP_1) | instskip(SKIP_1) | instid1(VALU_DEP_2)
	v_subrev_nc_u32_e32 v9, s2, v8
	v_cmp_le_u32_e32 vcc_lo, s2, v8
	v_cndmask_b32_e32 v8, v8, v9, vcc_lo
	s_delay_alu instid0(VALU_DEP_1) | instskip(SKIP_1) | instid1(VALU_DEP_2)
	v_subrev_nc_u32_e32 v9, s2, v8
	v_cmp_le_u32_e32 vcc_lo, s2, v8
	v_cndmask_b32_e32 v8, v8, v9, vcc_lo
	v_mov_b32_e32 v9, v20
.LBB44_23:                              ;   in Loop: Header=BB44_9 Depth=1
	s_or_b32 exec_lo, exec_lo, s0
                                        ; kill: def $vgpr10 killed $sgpr0 killed $exec
	s_delay_alu instid0(SALU_CYCLE_1)
	s_and_not1_b32 vcc_lo, exec_lo, s39
	s_cbranch_vccnz .LBB44_8
.LBB44_24:                              ;   in Loop: Header=BB44_9 Depth=1
	v_mad_u64_u32 v[28:29], null, s20, v26, v[18:19]
	v_mul_lo_u32 v10, s20, v27
	v_mul_lo_u32 v11, s21, v26
	s_delay_alu instid0(VALU_DEP_1) | instskip(SKIP_1) | instid1(VALU_DEP_1)
	v_add3_u32 v29, v11, v29, v10
                                        ; kill: def $vgpr10_vgpr11 killed $sgpr0_sgpr1 killed $exec
	s_mov_b32 s0, exec_lo
	v_or_b32_e32 v21, s3, v29
	s_delay_alu instid0(VALU_DEP_1)
	v_cmpx_ne_u64_e32 0, v[20:21]
	s_xor_b32 s29, exec_lo, s0
	s_cbranch_execz .LBB44_26
; %bb.25:                               ;   in Loop: Header=BB44_9 Depth=1
	s_ashr_i32 s30, s3, 31
	s_delay_alu instid0(SALU_CYCLE_1) | instskip(SKIP_2) | instid1(SALU_CYCLE_1)
	s_add_u32 s42, s2, s30
	s_mov_b32 s31, s30
	s_addc_u32 s43, s3, s30
	s_xor_b64 s[30:31], s[42:43], s[30:31]
	s_delay_alu instid0(SALU_CYCLE_1) | instskip(SKIP_3) | instid1(VALU_DEP_1)
	v_cvt_f32_u32_e32 v10, s30
	v_cvt_f32_u32_e32 v11, s31
	s_sub_u32 s0, 0, s30
	s_subb_u32 s42, 0, s31
	v_fmac_f32_e32 v10, 0x4f800000, v11
	s_delay_alu instid0(VALU_DEP_1) | instskip(SKIP_2) | instid1(VALU_DEP_1)
	v_rcp_f32_e32 v10, v10
	s_waitcnt_depctr 0xfff
	v_mul_f32_e32 v10, 0x5f7ffffc, v10
	v_mul_f32_e32 v11, 0x2f800000, v10
	s_delay_alu instid0(VALU_DEP_1) | instskip(NEXT) | instid1(VALU_DEP_1)
	v_trunc_f32_e32 v11, v11
	v_fmac_f32_e32 v10, 0xcf800000, v11
	v_cvt_u32_f32_e32 v11, v11
	s_delay_alu instid0(VALU_DEP_2) | instskip(NEXT) | instid1(VALU_DEP_2)
	v_cvt_u32_f32_e32 v10, v10
	v_mul_lo_u32 v21, s0, v11
	s_delay_alu instid0(VALU_DEP_2) | instskip(SKIP_1) | instid1(VALU_DEP_2)
	v_mul_hi_u32 v30, s0, v10
	v_mul_lo_u32 v31, s42, v10
	v_add_nc_u32_e32 v21, v30, v21
	v_mul_lo_u32 v30, s0, v10
	s_delay_alu instid0(VALU_DEP_2) | instskip(NEXT) | instid1(VALU_DEP_2)
	v_add_nc_u32_e32 v21, v21, v31
	v_mul_hi_u32 v31, v10, v30
	s_delay_alu instid0(VALU_DEP_2)
	v_mul_lo_u32 v32, v10, v21
	v_mul_hi_u32 v33, v10, v21
	v_mul_hi_u32 v34, v11, v30
	v_mul_lo_u32 v30, v11, v30
	v_mul_hi_u32 v35, v11, v21
	v_mul_lo_u32 v21, v11, v21
	v_add_co_u32 v31, vcc_lo, v31, v32
	v_add_co_ci_u32_e32 v32, vcc_lo, 0, v33, vcc_lo
	s_delay_alu instid0(VALU_DEP_2) | instskip(NEXT) | instid1(VALU_DEP_2)
	v_add_co_u32 v30, vcc_lo, v31, v30
	v_add_co_ci_u32_e32 v30, vcc_lo, v32, v34, vcc_lo
	v_add_co_ci_u32_e32 v31, vcc_lo, 0, v35, vcc_lo
	v_ashrrev_i32_e32 v34, 31, v29
	s_delay_alu instid0(VALU_DEP_3) | instskip(NEXT) | instid1(VALU_DEP_3)
	v_add_co_u32 v21, vcc_lo, v30, v21
	v_add_co_ci_u32_e32 v30, vcc_lo, 0, v31, vcc_lo
	s_delay_alu instid0(VALU_DEP_2) | instskip(NEXT) | instid1(VALU_DEP_2)
	v_add_co_u32 v10, vcc_lo, v10, v21
	v_add_co_ci_u32_e32 v11, vcc_lo, v11, v30, vcc_lo
	s_delay_alu instid0(VALU_DEP_2) | instskip(SKIP_1) | instid1(VALU_DEP_3)
	v_mul_hi_u32 v21, s0, v10
	v_mul_lo_u32 v31, s42, v10
	v_mul_lo_u32 v30, s0, v11
	s_delay_alu instid0(VALU_DEP_1) | instskip(SKIP_1) | instid1(VALU_DEP_2)
	v_add_nc_u32_e32 v21, v21, v30
	v_mul_lo_u32 v30, s0, v10
	v_add_nc_u32_e32 v21, v21, v31
	s_delay_alu instid0(VALU_DEP_2) | instskip(NEXT) | instid1(VALU_DEP_2)
	v_mul_hi_u32 v31, v10, v30
	v_mul_lo_u32 v32, v10, v21
	v_mul_hi_u32 v33, v10, v21
	v_mul_hi_u32 v35, v11, v30
	v_mul_lo_u32 v30, v11, v30
	v_mul_hi_u32 v36, v11, v21
	v_mul_lo_u32 v21, v11, v21
	v_add_co_u32 v31, vcc_lo, v31, v32
	v_add_co_ci_u32_e32 v32, vcc_lo, 0, v33, vcc_lo
	s_delay_alu instid0(VALU_DEP_2) | instskip(NEXT) | instid1(VALU_DEP_2)
	v_add_co_u32 v30, vcc_lo, v31, v30
	v_add_co_ci_u32_e32 v30, vcc_lo, v32, v35, vcc_lo
	v_add_co_ci_u32_e32 v31, vcc_lo, 0, v36, vcc_lo
	v_add_co_u32 v28, vcc_lo, v28, v34
	v_add_co_ci_u32_e32 v29, vcc_lo, v29, v34, vcc_lo
	s_delay_alu instid0(VALU_DEP_4) | instskip(NEXT) | instid1(VALU_DEP_4)
	v_add_co_u32 v21, vcc_lo, v30, v21
	v_add_co_ci_u32_e32 v30, vcc_lo, 0, v31, vcc_lo
	s_delay_alu instid0(VALU_DEP_4) | instskip(NEXT) | instid1(VALU_DEP_3)
	v_xor_b32_e32 v32, v28, v34
	v_add_co_u32 v21, vcc_lo, v10, v21
	s_delay_alu instid0(VALU_DEP_3) | instskip(SKIP_1) | instid1(VALU_DEP_3)
	v_add_co_ci_u32_e32 v33, vcc_lo, v11, v30, vcc_lo
	v_xor_b32_e32 v35, v29, v34
	v_mul_hi_u32 v36, v32, v21
	s_delay_alu instid0(VALU_DEP_3) | instskip(NEXT) | instid1(VALU_DEP_3)
	v_mad_u64_u32 v[10:11], null, v32, v33, 0
	v_mad_u64_u32 v[28:29], null, v35, v21, 0
	v_mad_u64_u32 v[30:31], null, v35, v33, 0
	s_delay_alu instid0(VALU_DEP_3) | instskip(NEXT) | instid1(VALU_DEP_4)
	v_add_co_u32 v10, vcc_lo, v36, v10
	v_add_co_ci_u32_e32 v11, vcc_lo, 0, v11, vcc_lo
	s_delay_alu instid0(VALU_DEP_2) | instskip(NEXT) | instid1(VALU_DEP_2)
	v_add_co_u32 v10, vcc_lo, v10, v28
	v_add_co_ci_u32_e32 v10, vcc_lo, v11, v29, vcc_lo
	v_add_co_ci_u32_e32 v11, vcc_lo, 0, v31, vcc_lo
	s_delay_alu instid0(VALU_DEP_2) | instskip(NEXT) | instid1(VALU_DEP_2)
	v_add_co_u32 v21, vcc_lo, v10, v30
	v_add_co_ci_u32_e32 v28, vcc_lo, 0, v11, vcc_lo
	s_delay_alu instid0(VALU_DEP_2) | instskip(SKIP_1) | instid1(VALU_DEP_3)
	v_mul_lo_u32 v29, s31, v21
	v_mad_u64_u32 v[10:11], null, s30, v21, 0
	v_mul_lo_u32 v21, s30, v28
	s_delay_alu instid0(VALU_DEP_2) | instskip(NEXT) | instid1(VALU_DEP_2)
	v_sub_co_u32 v10, vcc_lo, v32, v10
	v_add3_u32 v11, v11, v21, v29
	s_delay_alu instid0(VALU_DEP_1) | instskip(NEXT) | instid1(VALU_DEP_1)
	v_sub_nc_u32_e32 v21, v35, v11
	v_subrev_co_ci_u32_e64 v21, s0, s31, v21, vcc_lo
	v_sub_co_ci_u32_e32 v11, vcc_lo, v35, v11, vcc_lo
	v_sub_co_u32 v28, vcc_lo, v10, s30
	s_delay_alu instid0(VALU_DEP_1) | instskip(SKIP_3) | instid1(VALU_DEP_3)
	v_subrev_co_ci_u32_e64 v29, s0, 0, v21, vcc_lo
	v_cmp_le_u32_e64 s0, s30, v10
	v_subrev_co_ci_u32_e32 v21, vcc_lo, s31, v21, vcc_lo
	v_cmp_le_u32_e32 vcc_lo, s31, v11
	v_cndmask_b32_e64 v30, 0, -1, s0
	v_cmp_le_u32_e64 s0, s30, v28
	v_cndmask_b32_e64 v33, 0, -1, vcc_lo
	v_cmp_eq_u32_e32 vcc_lo, s31, v29
	s_delay_alu instid0(VALU_DEP_3) | instskip(SKIP_1) | instid1(VALU_DEP_1)
	v_cndmask_b32_e64 v31, 0, -1, s0
	v_cmp_le_u32_e64 s0, s31, v29
	v_cndmask_b32_e64 v32, 0, -1, s0
	v_cmp_eq_u32_e64 s0, s31, v11
	s_delay_alu instid0(VALU_DEP_2) | instskip(SKIP_2) | instid1(VALU_DEP_3)
	v_cndmask_b32_e32 v31, v32, v31, vcc_lo
	v_sub_co_u32 v32, vcc_lo, v28, s30
	v_subrev_co_ci_u32_e32 v21, vcc_lo, 0, v21, vcc_lo
	v_cmp_ne_u32_e32 vcc_lo, 0, v31
	v_cndmask_b32_e64 v30, v33, v30, s0
	s_delay_alu instid0(VALU_DEP_3) | instskip(NEXT) | instid1(VALU_DEP_2)
	v_dual_cndmask_b32 v21, v29, v21 :: v_dual_cndmask_b32 v28, v28, v32
	v_cmp_ne_u32_e32 vcc_lo, 0, v30
	s_delay_alu instid0(VALU_DEP_2) | instskip(NEXT) | instid1(VALU_DEP_1)
	v_dual_cndmask_b32 v10, v10, v28 :: v_dual_cndmask_b32 v11, v11, v21
                                        ; implicit-def: $vgpr28_vgpr29
	v_xor_b32_e32 v10, v10, v34
	s_delay_alu instid0(VALU_DEP_2) | instskip(NEXT) | instid1(VALU_DEP_2)
	v_xor_b32_e32 v11, v11, v34
	v_sub_co_u32 v10, vcc_lo, v10, v34
	s_delay_alu instid0(VALU_DEP_2)
	v_sub_co_ci_u32_e32 v11, vcc_lo, v11, v34, vcc_lo
.LBB44_26:                              ;   in Loop: Header=BB44_9 Depth=1
	s_and_not1_saveexec_b32 s0, s29
	s_cbranch_execz .LBB44_7
; %bb.27:                               ;   in Loop: Header=BB44_9 Depth=1
	v_cvt_f32_u32_e32 v10, s2
	s_sub_i32 s29, 0, s2
	s_delay_alu instid0(VALU_DEP_1) | instskip(SKIP_2) | instid1(VALU_DEP_1)
	v_rcp_iflag_f32_e32 v10, v10
	s_waitcnt_depctr 0xfff
	v_mul_f32_e32 v10, 0x4f7ffffe, v10
	v_cvt_u32_f32_e32 v10, v10
	s_delay_alu instid0(VALU_DEP_1) | instskip(NEXT) | instid1(VALU_DEP_1)
	v_mul_lo_u32 v11, s29, v10
	v_mul_hi_u32 v11, v10, v11
	s_delay_alu instid0(VALU_DEP_1) | instskip(NEXT) | instid1(VALU_DEP_1)
	v_add_nc_u32_e32 v10, v10, v11
	v_mul_hi_u32 v10, v28, v10
	s_delay_alu instid0(VALU_DEP_1) | instskip(NEXT) | instid1(VALU_DEP_1)
	v_mul_lo_u32 v10, v10, s2
	v_sub_nc_u32_e32 v10, v28, v10
	s_delay_alu instid0(VALU_DEP_1) | instskip(SKIP_1) | instid1(VALU_DEP_2)
	v_subrev_nc_u32_e32 v11, s2, v10
	v_cmp_le_u32_e32 vcc_lo, s2, v10
	v_cndmask_b32_e32 v10, v10, v11, vcc_lo
	s_delay_alu instid0(VALU_DEP_1) | instskip(SKIP_1) | instid1(VALU_DEP_2)
	v_subrev_nc_u32_e32 v11, s2, v10
	v_cmp_le_u32_e32 vcc_lo, s2, v10
	v_dual_cndmask_b32 v10, v10, v11 :: v_dual_mov_b32 v11, v20
	s_branch .LBB44_7
.LBB44_28:
	s_or_b32 exec_lo, exec_lo, s40
	v_mad_u64_u32 v[4:5], null, v12, s16, v[2:3]
	v_mul_lo_u32 v2, v12, s17
	v_mul_lo_u32 v3, v13, s16
	v_cmp_ne_u64_e32 vcc_lo, v[0:1], v[12:13]
	s_and_b32 s0, vcc_lo, exec_lo
	s_delay_alu instid0(VALU_DEP_2)
	v_add3_u32 v5, v3, v5, v2
                                        ; implicit-def: $vgpr2_vgpr3
.LBB44_29:
	s_or_saveexec_b32 s22, s33
	v_dual_mov_b32 v0, s20 :: v_dual_mov_b32 v1, s21
	v_dual_mov_b32 v6, s18 :: v_dual_mov_b32 v7, s19
	s_xor_b32 exec_lo, exec_lo, s22
; %bb.30:
	s_sub_u32 s18, 0, s4
	s_subb_u32 s19, 0, s5
	s_lshl_b64 s[20:21], s[16:17], 1
	v_dual_mov_b32 v0, s18 :: v_dual_mov_b32 v1, s19
	v_dual_mov_b32 v6, s20 :: v_dual_mov_b32 v7, s21
	;; [unrolled: 1-line block ×3, first 2 shown]
	s_or_b32 s0, s0, exec_lo
; %bb.31:
	s_or_b32 exec_lo, exec_lo, s22
	s_delay_alu instid0(SALU_CYCLE_1)
	s_and_b32 exec_lo, exec_lo, s0
	s_cbranch_execz .LBB44_44
; %bb.32:
	v_cvt_f32_u32_e32 v2, s4
	s_sub_u32 s20, 0, s14
	s_subb_u32 s21, 0, s15
	s_sub_i32 s0, 0, s4
	v_lshlrev_b64 v[8:9], 1, v[4:5]
	v_rcp_iflag_f32_e32 v2, v2
	s_mov_b32 s22, 0
	s_ashr_i32 s14, s3, 31
	s_sub_i32 s23, 0, s2
	s_delay_alu instid0(VALU_DEP_1) | instskip(SKIP_4) | instid1(VALU_DEP_1)
	v_add_co_u32 v8, vcc_lo, s10, v8
	v_add_co_ci_u32_e32 v9, vcc_lo, s11, v9, vcc_lo
	s_ashr_i32 s10, s5, 31
	s_waitcnt_depctr 0xfff
	v_mul_f32_e32 v2, 0x4f7ffffe, v2
	v_cvt_u32_f32_e32 v3, v2
	s_delay_alu instid0(VALU_DEP_1) | instskip(NEXT) | instid1(VALU_DEP_1)
	v_mul_lo_u32 v2, s0, v3
	v_mul_hi_u32 v10, v3, v2
	v_mov_b32_e32 v2, 0
	s_delay_alu instid0(VALU_DEP_2)
	v_add_nc_u32_e32 v16, v3, v10
	s_branch .LBB44_35
.LBB44_33:                              ;   in Loop: Header=BB44_35 Depth=1
	s_or_b32 exec_lo, exec_lo, s0
	s_delay_alu instid0(VALU_DEP_1) | instskip(NEXT) | instid1(VALU_DEP_1)
	v_ashrrev_i32_e32 v3, 31, v15
	v_and_b32_e32 v12, s2, v3
	v_and_b32_e32 v3, s3, v3
	s_delay_alu instid0(VALU_DEP_2) | instskip(NEXT) | instid1(VALU_DEP_2)
	v_add_co_u32 v12, vcc_lo, v12, v14
	v_add_co_ci_u32_e32 v13, vcc_lo, v3, v15, vcc_lo
	s_delay_alu instid0(VALU_DEP_2) | instskip(NEXT) | instid1(VALU_DEP_2)
	v_sub_co_u32 v3, vcc_lo, s2, v12
	v_sub_co_ci_u32_e32 v14, vcc_lo, s3, v13, vcc_lo
	v_cmp_gt_i64_e32 vcc_lo, s[12:13], v[12:13]
	s_delay_alu instid0(VALU_DEP_2)
	v_dual_cndmask_b32 v13, v14, v13 :: v_dual_cndmask_b32 v12, v3, v12
.LBB44_34:                              ;   in Loop: Header=BB44_35 Depth=1
	v_mul_lo_u32 v3, v11, s12
	v_mul_lo_u32 v11, v10, s13
	v_mad_u64_u32 v[14:15], null, v10, s12, 0
	s_delay_alu instid0(VALU_DEP_4) | instskip(NEXT) | instid1(VALU_DEP_2)
	v_lshlrev_b64 v[12:13], 1, v[12:13]
	v_add3_u32 v15, v15, v11, v3
	s_delay_alu instid0(VALU_DEP_1) | instskip(NEXT) | instid1(VALU_DEP_1)
	v_lshlrev_b64 v[10:11], 1, v[14:15]
	v_add_co_u32 v3, vcc_lo, s8, v10
	s_delay_alu instid0(VALU_DEP_2) | instskip(NEXT) | instid1(VALU_DEP_2)
	v_add_co_ci_u32_e32 v11, vcc_lo, s9, v11, vcc_lo
	v_add_co_u32 v10, vcc_lo, v3, v12
	s_delay_alu instid0(VALU_DEP_2)
	v_add_co_ci_u32_e32 v11, vcc_lo, v11, v13, vcc_lo
	v_add_co_u32 v4, vcc_lo, v4, s16
	v_add_co_ci_u32_e32 v5, vcc_lo, s17, v5, vcc_lo
	global_load_u16 v3, v[10:11], off
	v_cmp_le_i64_e32 vcc_lo, s[6:7], v[4:5]
	s_or_b32 s22, vcc_lo, s22
	s_waitcnt vmcnt(0)
	global_store_b16 v[8:9], v3, off
	v_add_co_u32 v8, s0, v8, v6
	s_delay_alu instid0(VALU_DEP_1)
	v_add_co_ci_u32_e64 v9, s0, v9, v7, s0
	s_and_not1_b32 exec_lo, exec_lo, s22
	s_cbranch_execz .LBB44_44
.LBB44_35:                              ; =>This Inner Loop Header: Depth=1
	v_or_b32_e32 v3, s5, v5
                                        ; implicit-def: $vgpr10_vgpr11
	s_mov_b32 s0, exec_lo
	s_delay_alu instid0(VALU_DEP_1)
	v_cmpx_ne_u64_e32 0, v[2:3]
	s_xor_b32 s15, exec_lo, s0
	s_cbranch_execz .LBB44_37
; %bb.36:                               ;   in Loop: Header=BB44_35 Depth=1
	s_add_u32 s18, s4, s10
	s_mov_b32 s11, s10
	s_addc_u32 s19, s5, s10
	s_delay_alu instid0(SALU_CYCLE_1) | instskip(NEXT) | instid1(SALU_CYCLE_1)
	s_xor_b64 s[18:19], s[18:19], s[10:11]
	v_cvt_f32_u32_e32 v3, s18
	v_cvt_f32_u32_e32 v10, s19
	s_sub_u32 s0, 0, s18
	s_subb_u32 s11, 0, s19
	s_delay_alu instid0(VALU_DEP_1) | instskip(NEXT) | instid1(VALU_DEP_1)
	v_fmac_f32_e32 v3, 0x4f800000, v10
	v_rcp_f32_e32 v3, v3
	s_waitcnt_depctr 0xfff
	v_mul_f32_e32 v3, 0x5f7ffffc, v3
	s_delay_alu instid0(VALU_DEP_1) | instskip(NEXT) | instid1(VALU_DEP_1)
	v_mul_f32_e32 v10, 0x2f800000, v3
	v_trunc_f32_e32 v10, v10
	s_delay_alu instid0(VALU_DEP_1) | instskip(SKIP_1) | instid1(VALU_DEP_2)
	v_fmac_f32_e32 v3, 0xcf800000, v10
	v_cvt_u32_f32_e32 v10, v10
	v_cvt_u32_f32_e32 v3, v3
	s_delay_alu instid0(VALU_DEP_2) | instskip(NEXT) | instid1(VALU_DEP_2)
	v_mul_lo_u32 v11, s0, v10
	v_mul_hi_u32 v12, s0, v3
	v_mul_lo_u32 v13, s11, v3
	s_delay_alu instid0(VALU_DEP_2) | instskip(SKIP_1) | instid1(VALU_DEP_2)
	v_add_nc_u32_e32 v11, v12, v11
	v_mul_lo_u32 v12, s0, v3
	v_add_nc_u32_e32 v11, v11, v13
	s_delay_alu instid0(VALU_DEP_2) | instskip(NEXT) | instid1(VALU_DEP_2)
	v_mul_hi_u32 v13, v3, v12
	v_mul_lo_u32 v14, v3, v11
	v_mul_hi_u32 v15, v3, v11
	v_mul_hi_u32 v17, v10, v12
	v_mul_lo_u32 v12, v10, v12
	v_mul_hi_u32 v18, v10, v11
	v_mul_lo_u32 v11, v10, v11
	v_add_co_u32 v13, vcc_lo, v13, v14
	v_add_co_ci_u32_e32 v14, vcc_lo, 0, v15, vcc_lo
	s_delay_alu instid0(VALU_DEP_2) | instskip(NEXT) | instid1(VALU_DEP_2)
	v_add_co_u32 v12, vcc_lo, v13, v12
	v_add_co_ci_u32_e32 v12, vcc_lo, v14, v17, vcc_lo
	v_add_co_ci_u32_e32 v13, vcc_lo, 0, v18, vcc_lo
	v_ashrrev_i32_e32 v17, 31, v5
	s_delay_alu instid0(VALU_DEP_3) | instskip(NEXT) | instid1(VALU_DEP_3)
	v_add_co_u32 v11, vcc_lo, v12, v11
	v_add_co_ci_u32_e32 v12, vcc_lo, 0, v13, vcc_lo
	s_delay_alu instid0(VALU_DEP_2) | instskip(NEXT) | instid1(VALU_DEP_2)
	v_add_co_u32 v3, vcc_lo, v3, v11
	v_add_co_ci_u32_e32 v10, vcc_lo, v10, v12, vcc_lo
	s_delay_alu instid0(VALU_DEP_2) | instskip(SKIP_1) | instid1(VALU_DEP_3)
	v_mul_hi_u32 v11, s0, v3
	v_mul_lo_u32 v13, s11, v3
	v_mul_lo_u32 v12, s0, v10
	s_delay_alu instid0(VALU_DEP_1) | instskip(SKIP_1) | instid1(VALU_DEP_2)
	v_add_nc_u32_e32 v11, v11, v12
	v_mul_lo_u32 v12, s0, v3
	v_add_nc_u32_e32 v11, v11, v13
	s_delay_alu instid0(VALU_DEP_2) | instskip(NEXT) | instid1(VALU_DEP_2)
	v_mul_hi_u32 v13, v3, v12
	v_mul_lo_u32 v14, v3, v11
	v_mul_hi_u32 v15, v3, v11
	v_mul_hi_u32 v18, v10, v12
	v_mul_lo_u32 v12, v10, v12
	v_mul_hi_u32 v19, v10, v11
	v_mul_lo_u32 v11, v10, v11
	v_add_co_u32 v13, vcc_lo, v13, v14
	v_add_co_ci_u32_e32 v14, vcc_lo, 0, v15, vcc_lo
	s_delay_alu instid0(VALU_DEP_2) | instskip(NEXT) | instid1(VALU_DEP_2)
	v_add_co_u32 v12, vcc_lo, v13, v12
	v_add_co_ci_u32_e32 v12, vcc_lo, v14, v18, vcc_lo
	v_add_co_ci_u32_e32 v13, vcc_lo, 0, v19, vcc_lo
	v_add_co_u32 v14, vcc_lo, v4, v17
	v_add_co_ci_u32_e32 v15, vcc_lo, v5, v17, vcc_lo
	s_delay_alu instid0(VALU_DEP_4) | instskip(NEXT) | instid1(VALU_DEP_4)
	v_add_co_u32 v11, vcc_lo, v12, v11
	v_add_co_ci_u32_e32 v12, vcc_lo, 0, v13, vcc_lo
	s_delay_alu instid0(VALU_DEP_4) | instskip(NEXT) | instid1(VALU_DEP_3)
	v_xor_b32_e32 v18, v14, v17
	v_add_co_u32 v3, vcc_lo, v3, v11
	s_delay_alu instid0(VALU_DEP_3) | instskip(SKIP_1) | instid1(VALU_DEP_3)
	v_add_co_ci_u32_e32 v19, vcc_lo, v10, v12, vcc_lo
	v_xor_b32_e32 v20, v15, v17
	v_mul_hi_u32 v21, v18, v3
	s_delay_alu instid0(VALU_DEP_3) | instskip(NEXT) | instid1(VALU_DEP_3)
	v_mad_u64_u32 v[10:11], null, v18, v19, 0
	v_mad_u64_u32 v[12:13], null, v20, v3, 0
	;; [unrolled: 1-line block ×3, first 2 shown]
	s_delay_alu instid0(VALU_DEP_3) | instskip(NEXT) | instid1(VALU_DEP_4)
	v_add_co_u32 v3, vcc_lo, v21, v10
	v_add_co_ci_u32_e32 v10, vcc_lo, 0, v11, vcc_lo
	s_delay_alu instid0(VALU_DEP_2) | instskip(NEXT) | instid1(VALU_DEP_2)
	v_add_co_u32 v3, vcc_lo, v3, v12
	v_add_co_ci_u32_e32 v3, vcc_lo, v10, v13, vcc_lo
	v_add_co_ci_u32_e32 v10, vcc_lo, 0, v15, vcc_lo
	s_delay_alu instid0(VALU_DEP_2) | instskip(NEXT) | instid1(VALU_DEP_2)
	v_add_co_u32 v3, vcc_lo, v3, v14
	v_add_co_ci_u32_e32 v12, vcc_lo, 0, v10, vcc_lo
	s_delay_alu instid0(VALU_DEP_2) | instskip(SKIP_1) | instid1(VALU_DEP_3)
	v_mul_lo_u32 v13, s19, v3
	v_mad_u64_u32 v[10:11], null, s18, v3, 0
	v_mul_lo_u32 v14, s18, v12
	s_delay_alu instid0(VALU_DEP_2) | instskip(NEXT) | instid1(VALU_DEP_2)
	v_sub_co_u32 v10, vcc_lo, v18, v10
	v_add3_u32 v11, v11, v14, v13
	s_delay_alu instid0(VALU_DEP_1) | instskip(NEXT) | instid1(VALU_DEP_1)
	v_sub_nc_u32_e32 v13, v20, v11
	v_subrev_co_ci_u32_e64 v13, s0, s19, v13, vcc_lo
	v_add_co_u32 v14, s0, v3, 2
	s_delay_alu instid0(VALU_DEP_1) | instskip(SKIP_3) | instid1(VALU_DEP_3)
	v_add_co_ci_u32_e64 v15, s0, 0, v12, s0
	v_sub_co_u32 v18, s0, v10, s18
	v_sub_co_ci_u32_e32 v11, vcc_lo, v20, v11, vcc_lo
	v_subrev_co_ci_u32_e64 v13, s0, 0, v13, s0
	v_cmp_le_u32_e32 vcc_lo, s18, v18
	s_delay_alu instid0(VALU_DEP_3) | instskip(SKIP_1) | instid1(VALU_DEP_4)
	v_cmp_eq_u32_e64 s0, s19, v11
	v_cndmask_b32_e64 v18, 0, -1, vcc_lo
	v_cmp_le_u32_e32 vcc_lo, s19, v13
	v_cndmask_b32_e64 v19, 0, -1, vcc_lo
	v_cmp_le_u32_e32 vcc_lo, s18, v10
	;; [unrolled: 2-line block ×3, first 2 shown]
	v_cndmask_b32_e64 v20, 0, -1, vcc_lo
	v_cmp_eq_u32_e32 vcc_lo, s19, v13
	s_delay_alu instid0(VALU_DEP_2) | instskip(SKIP_3) | instid1(VALU_DEP_3)
	v_cndmask_b32_e64 v10, v20, v10, s0
	v_cndmask_b32_e32 v13, v19, v18, vcc_lo
	v_add_co_u32 v18, vcc_lo, v3, 1
	v_add_co_ci_u32_e32 v19, vcc_lo, 0, v12, vcc_lo
	v_cmp_ne_u32_e32 vcc_lo, 0, v13
	s_delay_alu instid0(VALU_DEP_2) | instskip(NEXT) | instid1(VALU_DEP_4)
	v_cndmask_b32_e32 v11, v19, v15, vcc_lo
	v_cndmask_b32_e32 v13, v18, v14, vcc_lo
	v_cmp_ne_u32_e32 vcc_lo, 0, v10
	v_xor_b32_e32 v14, s10, v17
	s_delay_alu instid0(VALU_DEP_3) | instskip(NEXT) | instid1(VALU_DEP_1)
	v_dual_cndmask_b32 v3, v3, v13 :: v_dual_cndmask_b32 v10, v12, v11
	v_xor_b32_e32 v3, v3, v14
	s_delay_alu instid0(VALU_DEP_2) | instskip(NEXT) | instid1(VALU_DEP_2)
	v_xor_b32_e32 v11, v10, v14
	v_sub_co_u32 v10, vcc_lo, v3, v14
	s_delay_alu instid0(VALU_DEP_2)
	v_sub_co_ci_u32_e32 v11, vcc_lo, v11, v14, vcc_lo
.LBB44_37:                              ;   in Loop: Header=BB44_35 Depth=1
	s_and_not1_saveexec_b32 s0, s15
; %bb.38:                               ;   in Loop: Header=BB44_35 Depth=1
	v_mul_hi_u32 v3, v4, v16
	s_delay_alu instid0(VALU_DEP_1) | instskip(NEXT) | instid1(VALU_DEP_1)
	v_mul_lo_u32 v10, v3, s4
	v_sub_nc_u32_e32 v10, v4, v10
	s_delay_alu instid0(VALU_DEP_1) | instskip(SKIP_1) | instid1(VALU_DEP_2)
	v_subrev_nc_u32_e32 v12, s4, v10
	v_cmp_le_u32_e32 vcc_lo, s4, v10
	v_dual_cndmask_b32 v10, v10, v12 :: v_dual_add_nc_u32 v11, 1, v3
	s_delay_alu instid0(VALU_DEP_1) | instskip(NEXT) | instid1(VALU_DEP_2)
	v_cndmask_b32_e32 v3, v3, v11, vcc_lo
	v_cmp_le_u32_e32 vcc_lo, s4, v10
	s_delay_alu instid0(VALU_DEP_2) | instskip(NEXT) | instid1(VALU_DEP_1)
	v_add_nc_u32_e32 v11, 1, v3
	v_dual_cndmask_b32 v10, v3, v11 :: v_dual_mov_b32 v11, v2
; %bb.39:                               ;   in Loop: Header=BB44_35 Depth=1
	s_or_b32 exec_lo, exec_lo, s0
	v_mov_b32_e32 v12, 0
	v_mov_b32_e32 v13, 0
	s_and_not1_b32 vcc_lo, exec_lo, s1
	s_cbranch_vccnz .LBB44_34
; %bb.40:                               ;   in Loop: Header=BB44_35 Depth=1
	v_add_co_u32 v14, vcc_lo, s20, v4
	v_add_co_ci_u32_e32 v15, vcc_lo, s21, v5, vcc_lo
	v_mul_lo_u32 v3, v0, v11
	v_mul_lo_u32 v17, v1, v10
	s_mov_b32 s0, exec_lo
	s_delay_alu instid0(VALU_DEP_3) | instskip(NEXT) | instid1(VALU_DEP_1)
	v_mad_u64_u32 v[12:13], null, v0, v10, v[14:15]
                                        ; implicit-def: $vgpr14_vgpr15
	v_add3_u32 v13, v17, v13, v3
	s_delay_alu instid0(VALU_DEP_1) | instskip(NEXT) | instid1(VALU_DEP_1)
	v_or_b32_e32 v3, s3, v13
	v_cmpx_ne_u64_e32 0, v[2:3]
	s_xor_b32 s11, exec_lo, s0
	s_cbranch_execz .LBB44_42
; %bb.41:                               ;   in Loop: Header=BB44_35 Depth=1
	s_add_u32 s18, s2, s14
	s_mov_b32 s15, s14
	s_addc_u32 s19, s3, s14
	s_delay_alu instid0(SALU_CYCLE_1) | instskip(NEXT) | instid1(SALU_CYCLE_1)
	s_xor_b64 s[18:19], s[18:19], s[14:15]
	v_cvt_f32_u32_e32 v3, s18
	v_cvt_f32_u32_e32 v14, s19
	s_sub_u32 s0, 0, s18
	s_subb_u32 s15, 0, s19
	s_delay_alu instid0(VALU_DEP_1) | instskip(NEXT) | instid1(VALU_DEP_1)
	v_fmac_f32_e32 v3, 0x4f800000, v14
	v_rcp_f32_e32 v3, v3
	s_waitcnt_depctr 0xfff
	v_mul_f32_e32 v3, 0x5f7ffffc, v3
	s_delay_alu instid0(VALU_DEP_1) | instskip(NEXT) | instid1(VALU_DEP_1)
	v_mul_f32_e32 v14, 0x2f800000, v3
	v_trunc_f32_e32 v14, v14
	s_delay_alu instid0(VALU_DEP_1) | instskip(SKIP_1) | instid1(VALU_DEP_2)
	v_fmac_f32_e32 v3, 0xcf800000, v14
	v_cvt_u32_f32_e32 v14, v14
	v_cvt_u32_f32_e32 v3, v3
	s_delay_alu instid0(VALU_DEP_2) | instskip(NEXT) | instid1(VALU_DEP_2)
	v_mul_lo_u32 v15, s0, v14
	v_mul_hi_u32 v17, s0, v3
	v_mul_lo_u32 v18, s15, v3
	s_delay_alu instid0(VALU_DEP_2) | instskip(SKIP_1) | instid1(VALU_DEP_2)
	v_add_nc_u32_e32 v15, v17, v15
	v_mul_lo_u32 v17, s0, v3
	v_add_nc_u32_e32 v15, v15, v18
	s_delay_alu instid0(VALU_DEP_2) | instskip(NEXT) | instid1(VALU_DEP_2)
	v_mul_hi_u32 v18, v3, v17
	v_mul_lo_u32 v19, v3, v15
	v_mul_hi_u32 v20, v3, v15
	v_mul_hi_u32 v21, v14, v17
	v_mul_lo_u32 v17, v14, v17
	v_mul_hi_u32 v22, v14, v15
	v_mul_lo_u32 v15, v14, v15
	v_add_co_u32 v18, vcc_lo, v18, v19
	v_add_co_ci_u32_e32 v19, vcc_lo, 0, v20, vcc_lo
	s_delay_alu instid0(VALU_DEP_2) | instskip(NEXT) | instid1(VALU_DEP_2)
	v_add_co_u32 v17, vcc_lo, v18, v17
	v_add_co_ci_u32_e32 v17, vcc_lo, v19, v21, vcc_lo
	v_add_co_ci_u32_e32 v18, vcc_lo, 0, v22, vcc_lo
	v_ashrrev_i32_e32 v21, 31, v13
	s_delay_alu instid0(VALU_DEP_3) | instskip(NEXT) | instid1(VALU_DEP_3)
	v_add_co_u32 v15, vcc_lo, v17, v15
	v_add_co_ci_u32_e32 v17, vcc_lo, 0, v18, vcc_lo
	s_delay_alu instid0(VALU_DEP_2) | instskip(NEXT) | instid1(VALU_DEP_2)
	v_add_co_u32 v3, vcc_lo, v3, v15
	v_add_co_ci_u32_e32 v14, vcc_lo, v14, v17, vcc_lo
	s_delay_alu instid0(VALU_DEP_2) | instskip(SKIP_1) | instid1(VALU_DEP_3)
	v_mul_hi_u32 v15, s0, v3
	v_mul_lo_u32 v18, s15, v3
	v_mul_lo_u32 v17, s0, v14
	s_delay_alu instid0(VALU_DEP_1) | instskip(SKIP_1) | instid1(VALU_DEP_2)
	v_add_nc_u32_e32 v15, v15, v17
	v_mul_lo_u32 v17, s0, v3
	v_add_nc_u32_e32 v15, v15, v18
	s_delay_alu instid0(VALU_DEP_2) | instskip(NEXT) | instid1(VALU_DEP_2)
	v_mul_hi_u32 v18, v3, v17
	v_mul_lo_u32 v19, v3, v15
	v_mul_hi_u32 v20, v3, v15
	v_mul_hi_u32 v22, v14, v17
	v_mul_lo_u32 v17, v14, v17
	v_mul_hi_u32 v23, v14, v15
	v_mul_lo_u32 v15, v14, v15
	v_add_co_u32 v18, vcc_lo, v18, v19
	v_add_co_ci_u32_e32 v19, vcc_lo, 0, v20, vcc_lo
	s_delay_alu instid0(VALU_DEP_2) | instskip(NEXT) | instid1(VALU_DEP_2)
	v_add_co_u32 v17, vcc_lo, v18, v17
	v_add_co_ci_u32_e32 v17, vcc_lo, v19, v22, vcc_lo
	v_add_co_ci_u32_e32 v18, vcc_lo, 0, v23, vcc_lo
	v_add_co_u32 v12, vcc_lo, v12, v21
	v_add_co_ci_u32_e32 v13, vcc_lo, v13, v21, vcc_lo
	s_delay_alu instid0(VALU_DEP_4) | instskip(NEXT) | instid1(VALU_DEP_4)
	v_add_co_u32 v15, vcc_lo, v17, v15
	v_add_co_ci_u32_e32 v17, vcc_lo, 0, v18, vcc_lo
	s_delay_alu instid0(VALU_DEP_4) | instskip(NEXT) | instid1(VALU_DEP_3)
	v_xor_b32_e32 v19, v12, v21
	v_add_co_u32 v3, vcc_lo, v3, v15
	s_delay_alu instid0(VALU_DEP_3) | instskip(SKIP_1) | instid1(VALU_DEP_3)
	v_add_co_ci_u32_e32 v20, vcc_lo, v14, v17, vcc_lo
	v_xor_b32_e32 v22, v13, v21
	v_mul_hi_u32 v23, v19, v3
	s_delay_alu instid0(VALU_DEP_3) | instskip(NEXT) | instid1(VALU_DEP_3)
	v_mad_u64_u32 v[12:13], null, v19, v20, 0
	v_mad_u64_u32 v[14:15], null, v22, v3, 0
	;; [unrolled: 1-line block ×3, first 2 shown]
	s_delay_alu instid0(VALU_DEP_3) | instskip(NEXT) | instid1(VALU_DEP_4)
	v_add_co_u32 v3, vcc_lo, v23, v12
	v_add_co_ci_u32_e32 v12, vcc_lo, 0, v13, vcc_lo
	s_delay_alu instid0(VALU_DEP_2) | instskip(NEXT) | instid1(VALU_DEP_2)
	v_add_co_u32 v3, vcc_lo, v3, v14
	v_add_co_ci_u32_e32 v3, vcc_lo, v12, v15, vcc_lo
	v_add_co_ci_u32_e32 v12, vcc_lo, 0, v18, vcc_lo
	s_delay_alu instid0(VALU_DEP_2) | instskip(NEXT) | instid1(VALU_DEP_2)
	v_add_co_u32 v3, vcc_lo, v3, v17
	v_add_co_ci_u32_e32 v14, vcc_lo, 0, v12, vcc_lo
	s_delay_alu instid0(VALU_DEP_2) | instskip(SKIP_1) | instid1(VALU_DEP_3)
	v_mul_lo_u32 v15, s19, v3
	v_mad_u64_u32 v[12:13], null, s18, v3, 0
	v_mul_lo_u32 v3, s18, v14
	s_delay_alu instid0(VALU_DEP_2) | instskip(NEXT) | instid1(VALU_DEP_2)
	v_sub_co_u32 v12, vcc_lo, v19, v12
	v_add3_u32 v3, v13, v3, v15
	s_delay_alu instid0(VALU_DEP_1) | instskip(NEXT) | instid1(VALU_DEP_1)
	v_sub_nc_u32_e32 v13, v22, v3
	v_subrev_co_ci_u32_e64 v13, s0, s19, v13, vcc_lo
	v_sub_co_ci_u32_e32 v3, vcc_lo, v22, v3, vcc_lo
	v_sub_co_u32 v14, vcc_lo, v12, s18
	s_delay_alu instid0(VALU_DEP_1) | instskip(SKIP_3) | instid1(VALU_DEP_3)
	v_subrev_co_ci_u32_e64 v15, s0, 0, v13, vcc_lo
	v_cmp_le_u32_e64 s0, s18, v12
	v_subrev_co_ci_u32_e32 v13, vcc_lo, s19, v13, vcc_lo
	v_cmp_le_u32_e32 vcc_lo, s19, v3
	v_cndmask_b32_e64 v17, 0, -1, s0
	v_cmp_le_u32_e64 s0, s18, v14
	v_cndmask_b32_e64 v20, 0, -1, vcc_lo
	v_cmp_eq_u32_e32 vcc_lo, s19, v15
	s_delay_alu instid0(VALU_DEP_3) | instskip(SKIP_1) | instid1(VALU_DEP_1)
	v_cndmask_b32_e64 v18, 0, -1, s0
	v_cmp_le_u32_e64 s0, s19, v15
	v_cndmask_b32_e64 v19, 0, -1, s0
	v_cmp_eq_u32_e64 s0, s19, v3
	s_delay_alu instid0(VALU_DEP_2) | instskip(SKIP_2) | instid1(VALU_DEP_3)
	v_cndmask_b32_e32 v18, v19, v18, vcc_lo
	v_sub_co_u32 v19, vcc_lo, v14, s18
	v_subrev_co_ci_u32_e32 v13, vcc_lo, 0, v13, vcc_lo
	v_cmp_ne_u32_e32 vcc_lo, 0, v18
	v_cndmask_b32_e64 v17, v20, v17, s0
	s_delay_alu instid0(VALU_DEP_3) | instskip(NEXT) | instid1(VALU_DEP_2)
	v_dual_cndmask_b32 v13, v15, v13 :: v_dual_cndmask_b32 v14, v14, v19
	v_cmp_ne_u32_e32 vcc_lo, 0, v17
	s_delay_alu instid0(VALU_DEP_2) | instskip(NEXT) | instid1(VALU_DEP_1)
	v_dual_cndmask_b32 v12, v12, v14 :: v_dual_cndmask_b32 v3, v3, v13
	v_xor_b32_e32 v12, v12, v21
	s_delay_alu instid0(VALU_DEP_2) | instskip(NEXT) | instid1(VALU_DEP_2)
	v_xor_b32_e32 v3, v3, v21
	v_sub_co_u32 v14, vcc_lo, v12, v21
	s_delay_alu instid0(VALU_DEP_2)
	v_sub_co_ci_u32_e32 v15, vcc_lo, v3, v21, vcc_lo
                                        ; implicit-def: $vgpr12_vgpr13
.LBB44_42:                              ;   in Loop: Header=BB44_35 Depth=1
	s_and_not1_saveexec_b32 s0, s11
	s_cbranch_execz .LBB44_33
; %bb.43:                               ;   in Loop: Header=BB44_35 Depth=1
	v_cvt_f32_u32_e32 v3, s2
	v_mov_b32_e32 v15, v2
	s_delay_alu instid0(VALU_DEP_2) | instskip(SKIP_2) | instid1(VALU_DEP_1)
	v_rcp_iflag_f32_e32 v3, v3
	s_waitcnt_depctr 0xfff
	v_mul_f32_e32 v3, 0x4f7ffffe, v3
	v_cvt_u32_f32_e32 v3, v3
	s_delay_alu instid0(VALU_DEP_1) | instskip(NEXT) | instid1(VALU_DEP_1)
	v_mul_lo_u32 v13, s23, v3
	v_mul_hi_u32 v13, v3, v13
	s_delay_alu instid0(VALU_DEP_1) | instskip(NEXT) | instid1(VALU_DEP_1)
	v_add_nc_u32_e32 v3, v3, v13
	v_mul_hi_u32 v3, v12, v3
	s_delay_alu instid0(VALU_DEP_1) | instskip(NEXT) | instid1(VALU_DEP_1)
	v_mul_lo_u32 v3, v3, s2
	v_sub_nc_u32_e32 v3, v12, v3
	s_delay_alu instid0(VALU_DEP_1) | instskip(SKIP_1) | instid1(VALU_DEP_2)
	v_subrev_nc_u32_e32 v12, s2, v3
	v_cmp_le_u32_e32 vcc_lo, s2, v3
	v_cndmask_b32_e32 v3, v3, v12, vcc_lo
	s_delay_alu instid0(VALU_DEP_1) | instskip(SKIP_1) | instid1(VALU_DEP_2)
	v_subrev_nc_u32_e32 v12, s2, v3
	v_cmp_le_u32_e32 vcc_lo, s2, v3
	v_cndmask_b32_e32 v14, v3, v12, vcc_lo
	s_branch .LBB44_33
.LBB44_44:
	s_nop 0
	s_sendmsg sendmsg(MSG_DEALLOC_VGPRS)
	s_endpgm
	.section	.rodata,"a",@progbits
	.p2align	6, 0x0
	.amdhsa_kernel _ZN2at6native12_GLOBAL__N_121reflection_pad1d_flatIN3c108BFloat16EEEvPKT_PS5_lllll
		.amdhsa_group_segment_fixed_size 0
		.amdhsa_private_segment_fixed_size 0
		.amdhsa_kernarg_size 312
		.amdhsa_user_sgpr_count 15
		.amdhsa_user_sgpr_dispatch_ptr 0
		.amdhsa_user_sgpr_queue_ptr 0
		.amdhsa_user_sgpr_kernarg_segment_ptr 1
		.amdhsa_user_sgpr_dispatch_id 0
		.amdhsa_user_sgpr_private_segment_size 0
		.amdhsa_wavefront_size32 1
		.amdhsa_uses_dynamic_stack 0
		.amdhsa_enable_private_segment 0
		.amdhsa_system_sgpr_workgroup_id_x 1
		.amdhsa_system_sgpr_workgroup_id_y 0
		.amdhsa_system_sgpr_workgroup_id_z 0
		.amdhsa_system_sgpr_workgroup_info 0
		.amdhsa_system_vgpr_workitem_id 0
		.amdhsa_next_free_vgpr 37
		.amdhsa_next_free_sgpr 44
		.amdhsa_reserve_vcc 1
		.amdhsa_float_round_mode_32 0
		.amdhsa_float_round_mode_16_64 0
		.amdhsa_float_denorm_mode_32 3
		.amdhsa_float_denorm_mode_16_64 3
		.amdhsa_dx10_clamp 1
		.amdhsa_ieee_mode 1
		.amdhsa_fp16_overflow 0
		.amdhsa_workgroup_processor_mode 1
		.amdhsa_memory_ordered 1
		.amdhsa_forward_progress 0
		.amdhsa_shared_vgpr_count 0
		.amdhsa_exception_fp_ieee_invalid_op 0
		.amdhsa_exception_fp_denorm_src 0
		.amdhsa_exception_fp_ieee_div_zero 0
		.amdhsa_exception_fp_ieee_overflow 0
		.amdhsa_exception_fp_ieee_underflow 0
		.amdhsa_exception_fp_ieee_inexact 0
		.amdhsa_exception_int_div_zero 0
	.end_amdhsa_kernel
	.section	.text._ZN2at6native12_GLOBAL__N_121reflection_pad1d_flatIN3c108BFloat16EEEvPKT_PS5_lllll,"axG",@progbits,_ZN2at6native12_GLOBAL__N_121reflection_pad1d_flatIN3c108BFloat16EEEvPKT_PS5_lllll,comdat
.Lfunc_end44:
	.size	_ZN2at6native12_GLOBAL__N_121reflection_pad1d_flatIN3c108BFloat16EEEvPKT_PS5_lllll, .Lfunc_end44-_ZN2at6native12_GLOBAL__N_121reflection_pad1d_flatIN3c108BFloat16EEEvPKT_PS5_lllll
                                        ; -- End function
	.section	.AMDGPU.csdata,"",@progbits
; Kernel info:
; codeLenInByte = 8364
; NumSgprs: 46
; NumVgprs: 37
; ScratchSize: 0
; MemoryBound: 0
; FloatMode: 240
; IeeeMode: 1
; LDSByteSize: 0 bytes/workgroup (compile time only)
; SGPRBlocks: 5
; VGPRBlocks: 4
; NumSGPRsForWavesPerEU: 46
; NumVGPRsForWavesPerEU: 37
; Occupancy: 16
; WaveLimiterHint : 0
; COMPUTE_PGM_RSRC2:SCRATCH_EN: 0
; COMPUTE_PGM_RSRC2:USER_SGPR: 15
; COMPUTE_PGM_RSRC2:TRAP_HANDLER: 0
; COMPUTE_PGM_RSRC2:TGID_X_EN: 1
; COMPUTE_PGM_RSRC2:TGID_Y_EN: 0
; COMPUTE_PGM_RSRC2:TGID_Z_EN: 0
; COMPUTE_PGM_RSRC2:TIDIG_COMP_CNT: 0
	.section	.text._ZN2at6native12_GLOBAL__N_136reflection_pad1d_backward_out_kernelIdEEvPT_PKS3_lll,"axG",@progbits,_ZN2at6native12_GLOBAL__N_136reflection_pad1d_backward_out_kernelIdEEvPT_PKS3_lll,comdat
	.globl	_ZN2at6native12_GLOBAL__N_136reflection_pad1d_backward_out_kernelIdEEvPT_PKS3_lll ; -- Begin function _ZN2at6native12_GLOBAL__N_136reflection_pad1d_backward_out_kernelIdEEvPT_PKS3_lll
	.p2align	8
	.type	_ZN2at6native12_GLOBAL__N_136reflection_pad1d_backward_out_kernelIdEEvPT_PKS3_lll,@function
_ZN2at6native12_GLOBAL__N_136reflection_pad1d_backward_out_kernelIdEEvPT_PKS3_lll: ; @_ZN2at6native12_GLOBAL__N_136reflection_pad1d_backward_out_kernelIdEEvPT_PKS3_lll
; %bb.0:
	s_clause 0x2
	s_load_b32 s12, s[0:1], 0x34
	s_load_b256 s[4:11], s[0:1], 0x0
	s_load_b64 s[16:17], s[0:1], 0x20
	v_mov_b32_e32 v1, 0
	s_add_u32 s2, s0, 40
	s_addc_u32 s3, s1, 0
	s_waitcnt lgkmcnt(0)
	s_and_b32 s0, s12, 0xffff
	s_add_u32 s12, s10, s8
	v_mad_u64_u32 v[2:3], null, s0, s13, v[0:1]
	s_addc_u32 s13, s11, s9
	s_add_u32 s0, s12, s16
	s_addc_u32 s1, s13, s17
	s_mov_b32 s16, exec_lo
	s_delay_alu instid0(VALU_DEP_1)
	v_cmpx_gt_i64_e64 s[0:1], v[2:3]
	s_cbranch_execz .LBB45_3
; %bb.1:
	s_load_b32 s16, s[2:3], 0x4
	v_sub_co_u32 v0, vcc_lo, v2, s12
	v_subrev_co_ci_u32_e32 v1, vcc_lo, s13, v3, vcc_lo
	v_sub_co_u32 v4, vcc_lo, v2, s10
	v_subrev_co_ci_u32_e32 v5, vcc_lo, s11, v3, vcc_lo
	s_delay_alu instid0(VALU_DEP_4) | instskip(NEXT) | instid1(VALU_DEP_4)
	v_add_co_u32 v0, vcc_lo, v0, 1
	v_add_co_ci_u32_e32 v1, vcc_lo, 0, v1, vcc_lo
	s_sub_u32 s2, 0, s10
	s_subb_u32 s3, 0, s11
	v_cmp_gt_i64_e64 s17, s[10:11], 0
	s_delay_alu instid0(VALU_DEP_2)
	v_ashrrev_i32_e32 v6, 31, v1
	v_ashrrev_i32_e32 v7, 31, v5
	s_waitcnt lgkmcnt(0)
	s_mul_i32 s15, s16, s15
	v_cmp_gt_i64_e64 s16, s[2:3], 0
	s_add_i32 s14, s15, s14
	v_xor_b32_e32 v0, v0, v6
	s_mul_i32 s9, s14, s9
	s_mul_hi_u32 s15, s14, s8
	s_mul_i32 s1, s1, s14
	s_mul_hi_u32 s18, s0, s14
	v_xor_b32_e32 v1, v1, v6
	s_add_i32 s9, s15, s9
	s_add_i32 s1, s18, s1
	s_and_b32 s15, s16, exec_lo
	s_cselect_b32 s15, s3, 0
	s_cselect_b32 s16, s2, 0
	s_and_b32 s2, s17, exec_lo
	v_sub_co_u32 v0, vcc_lo, v0, v6
	s_cselect_b32 s3, s11, 0
	s_cselect_b32 s2, s10, 0
	v_sub_co_ci_u32_e32 v1, vcc_lo, v1, v6, vcc_lo
	s_not_b64 s[2:3], s[2:3]
	s_add_u32 s10, s12, s10
	s_addc_u32 s11, s13, s11
	v_add_co_u32 v0, vcc_lo, v2, v0
	s_add_u32 s2, s10, s2
	s_addc_u32 s3, s11, s3
	v_add_co_ci_u32_e32 v1, vcc_lo, v3, v1, vcc_lo
	s_add_u32 s2, s2, s16
	v_xor_b32_e32 v4, v4, v7
	s_addc_u32 s3, s3, s15
	v_sub_co_u32 v0, vcc_lo, s2, v0
	v_xor_b32_e32 v5, v5, v7
	v_sub_co_ci_u32_e32 v1, vcc_lo, s3, v1, vcc_lo
	v_sub_co_u32 v4, vcc_lo, v4, v7
	s_delay_alu instid0(VALU_DEP_3) | instskip(NEXT) | instid1(VALU_DEP_3)
	v_sub_co_ci_u32_e32 v5, vcc_lo, v5, v7, vcc_lo
	v_lshlrev_b64 v[0:1], 3, v[0:1]
	s_mul_i32 s0, s0, s14
	s_mul_i32 s8, s14, s8
	s_delay_alu instid0(VALU_DEP_2)
	v_lshlrev_b64 v[4:5], 3, v[4:5]
	s_lshl_b64 s[0:1], s[0:1], 3
	s_lshl_b64 s[2:3], s[8:9], 3
	v_add_co_u32 v0, vcc_lo, s4, v0
	v_add_co_ci_u32_e32 v1, vcc_lo, s5, v1, vcc_lo
	s_add_u32 s0, s6, s0
	s_delay_alu instid0(VALU_DEP_2) | instskip(NEXT) | instid1(VALU_DEP_2)
	v_add_co_u32 v4, vcc_lo, v0, v4
	v_add_co_ci_u32_e32 v5, vcc_lo, v1, v5, vcc_lo
	v_lshlrev_b64 v[0:1], 3, v[2:3]
	s_addc_u32 s1, s7, s1
	s_delay_alu instid0(VALU_DEP_1) | instskip(NEXT) | instid1(VALU_DEP_2)
	v_add_co_u32 v0, vcc_lo, s0, v0
	v_add_co_ci_u32_e32 v1, vcc_lo, s1, v1, vcc_lo
	v_add_co_u32 v4, vcc_lo, v4, s2
	v_add_co_ci_u32_e32 v5, vcc_lo, s3, v5, vcc_lo
	global_load_b64 v[6:7], v[0:1], off
	global_load_b64 v[2:3], v[4:5], off
	s_mov_b32 s0, 0
.LBB45_2:                               ; =>This Inner Loop Header: Depth=1
	s_waitcnt vmcnt(0)
	v_add_f64 v[0:1], v[2:3], v[6:7]
	global_atomic_cmpswap_b64 v[0:1], v[4:5], v[0:3], off glc
	s_waitcnt vmcnt(0)
	v_cmp_eq_u64_e32 vcc_lo, v[0:1], v[2:3]
	v_dual_mov_b32 v3, v1 :: v_dual_mov_b32 v2, v0
	s_or_b32 s0, vcc_lo, s0
	s_delay_alu instid0(SALU_CYCLE_1)
	s_and_not1_b32 exec_lo, exec_lo, s0
	s_cbranch_execnz .LBB45_2
.LBB45_3:
	s_endpgm
	.section	.rodata,"a",@progbits
	.p2align	6, 0x0
	.amdhsa_kernel _ZN2at6native12_GLOBAL__N_136reflection_pad1d_backward_out_kernelIdEEvPT_PKS3_lll
		.amdhsa_group_segment_fixed_size 0
		.amdhsa_private_segment_fixed_size 0
		.amdhsa_kernarg_size 296
		.amdhsa_user_sgpr_count 13
		.amdhsa_user_sgpr_dispatch_ptr 0
		.amdhsa_user_sgpr_queue_ptr 0
		.amdhsa_user_sgpr_kernarg_segment_ptr 1
		.amdhsa_user_sgpr_dispatch_id 0
		.amdhsa_user_sgpr_private_segment_size 0
		.amdhsa_wavefront_size32 1
		.amdhsa_uses_dynamic_stack 0
		.amdhsa_enable_private_segment 0
		.amdhsa_system_sgpr_workgroup_id_x 1
		.amdhsa_system_sgpr_workgroup_id_y 1
		.amdhsa_system_sgpr_workgroup_id_z 1
		.amdhsa_system_sgpr_workgroup_info 0
		.amdhsa_system_vgpr_workitem_id 0
		.amdhsa_next_free_vgpr 8
		.amdhsa_next_free_sgpr 19
		.amdhsa_reserve_vcc 1
		.amdhsa_float_round_mode_32 0
		.amdhsa_float_round_mode_16_64 0
		.amdhsa_float_denorm_mode_32 3
		.amdhsa_float_denorm_mode_16_64 3
		.amdhsa_dx10_clamp 1
		.amdhsa_ieee_mode 1
		.amdhsa_fp16_overflow 0
		.amdhsa_workgroup_processor_mode 1
		.amdhsa_memory_ordered 1
		.amdhsa_forward_progress 0
		.amdhsa_shared_vgpr_count 0
		.amdhsa_exception_fp_ieee_invalid_op 0
		.amdhsa_exception_fp_denorm_src 0
		.amdhsa_exception_fp_ieee_div_zero 0
		.amdhsa_exception_fp_ieee_overflow 0
		.amdhsa_exception_fp_ieee_underflow 0
		.amdhsa_exception_fp_ieee_inexact 0
		.amdhsa_exception_int_div_zero 0
	.end_amdhsa_kernel
	.section	.text._ZN2at6native12_GLOBAL__N_136reflection_pad1d_backward_out_kernelIdEEvPT_PKS3_lll,"axG",@progbits,_ZN2at6native12_GLOBAL__N_136reflection_pad1d_backward_out_kernelIdEEvPT_PKS3_lll,comdat
.Lfunc_end45:
	.size	_ZN2at6native12_GLOBAL__N_136reflection_pad1d_backward_out_kernelIdEEvPT_PKS3_lll, .Lfunc_end45-_ZN2at6native12_GLOBAL__N_136reflection_pad1d_backward_out_kernelIdEEvPT_PKS3_lll
                                        ; -- End function
	.section	.AMDGPU.csdata,"",@progbits
; Kernel info:
; codeLenInByte = 520
; NumSgprs: 21
; NumVgprs: 8
; ScratchSize: 0
; MemoryBound: 0
; FloatMode: 240
; IeeeMode: 1
; LDSByteSize: 0 bytes/workgroup (compile time only)
; SGPRBlocks: 2
; VGPRBlocks: 0
; NumSGPRsForWavesPerEU: 21
; NumVGPRsForWavesPerEU: 8
; Occupancy: 16
; WaveLimiterHint : 0
; COMPUTE_PGM_RSRC2:SCRATCH_EN: 0
; COMPUTE_PGM_RSRC2:USER_SGPR: 13
; COMPUTE_PGM_RSRC2:TRAP_HANDLER: 0
; COMPUTE_PGM_RSRC2:TGID_X_EN: 1
; COMPUTE_PGM_RSRC2:TGID_Y_EN: 1
; COMPUTE_PGM_RSRC2:TGID_Z_EN: 1
; COMPUTE_PGM_RSRC2:TIDIG_COMP_CNT: 0
	.section	.text._ZN2at6native12_GLOBAL__N_130reflection_pad1d_backward_flatIdEEvPT_PKS3_llll,"axG",@progbits,_ZN2at6native12_GLOBAL__N_130reflection_pad1d_backward_flatIdEEvPT_PKS3_llll,comdat
	.globl	_ZN2at6native12_GLOBAL__N_130reflection_pad1d_backward_flatIdEEvPT_PKS3_llll ; -- Begin function _ZN2at6native12_GLOBAL__N_130reflection_pad1d_backward_flatIdEEvPT_PKS3_llll
	.p2align	8
	.type	_ZN2at6native12_GLOBAL__N_130reflection_pad1d_backward_flatIdEEvPT_PKS3_llll,@function
_ZN2at6native12_GLOBAL__N_130reflection_pad1d_backward_flatIdEEvPT_PKS3_llll: ; @_ZN2at6native12_GLOBAL__N_130reflection_pad1d_backward_flatIdEEvPT_PKS3_llll
; %bb.0:
	s_clause 0x1
	s_load_b32 s2, s[0:1], 0x3c
	s_load_b256 s[4:11], s[0:1], 0x10
	v_mov_b32_e32 v4, 0
	s_add_u32 s12, s0, 48
	s_addc_u32 s13, s1, 0
	s_mov_b32 s22, 0
	s_delay_alu instid0(VALU_DEP_1) | instskip(SKIP_3) | instid1(VALU_DEP_1)
	v_mov_b32_e32 v1, v4
	s_waitcnt lgkmcnt(0)
	s_and_b32 s16, s2, 0xffff
	s_mul_i32 s2, s10, s9
	v_mad_u64_u32 v[6:7], null, s16, s15, v[0:1]
	s_mul_hi_u32 s3, s10, s8
	s_delay_alu instid0(SALU_CYCLE_1) | instskip(SKIP_1) | instid1(SALU_CYCLE_1)
	s_add_i32 s2, s3, s2
	s_mul_i32 s3, s11, s8
	s_add_i32 s3, s2, s3
	s_mul_i32 s2, s10, s8
	s_mov_b32 s10, exec_lo
	s_delay_alu instid0(VALU_DEP_1)
	v_cmpx_gt_i64_e64 s[2:3], v[6:7]
	s_cbranch_execz .LBB46_15
; %bb.1:
	v_cvt_f32_u32_e32 v0, s8
	s_lshl_b64 s[10:11], s[4:5], 1
	s_load_b32 s17, s[12:13], 0x0
	s_add_u32 s10, s10, -2
	s_addc_u32 s11, s11, -1
	v_rcp_iflag_f32_e32 v0, v0
	s_sub_i32 s12, 0, s8
	v_cmp_gt_i64_e64 s24, s[10:11], 0
	s_ashr_i32 s18, s11, 31
	s_sub_i32 s25, 0, s10
	s_waitcnt_depctr 0xfff
	v_mul_f32_e32 v0, 0x4f7ffffe, v0
	s_delay_alu instid0(VALU_DEP_1) | instskip(SKIP_2) | instid1(VALU_DEP_1)
	v_cvt_u32_f32_e32 v0, v0
	s_waitcnt lgkmcnt(0)
	s_mul_i32 s23, s16, s17
	v_mul_lo_u32 v1, s12, v0
	s_load_b128 s[12:15], s[0:1], 0x0
	s_mul_hi_u32 s1, s16, s17
	s_ashr_i32 s16, s9, 31
	s_delay_alu instid0(VALU_DEP_1) | instskip(NEXT) | instid1(VALU_DEP_1)
	v_mul_hi_u32 v1, v0, v1
	v_add_nc_u32_e32 v12, v0, v1
.LBB46_2:                               ; =>This Loop Header: Depth=1
                                        ;     Child Loop BB46_13 Depth 2
	v_or_b32_e32 v5, s9, v7
                                        ; implicit-def: $vgpr0_vgpr1
	s_mov_b32 s0, exec_lo
	s_delay_alu instid0(VALU_DEP_1)
	v_cmpx_ne_u64_e32 0, v[4:5]
	s_xor_b32 s19, exec_lo, s0
	s_cbranch_execz .LBB46_4
; %bb.3:                                ;   in Loop: Header=BB46_2 Depth=1
	s_add_u32 s20, s8, s16
	s_mov_b32 s17, s16
	s_addc_u32 s21, s9, s16
	s_delay_alu instid0(SALU_CYCLE_1) | instskip(NEXT) | instid1(SALU_CYCLE_1)
	s_xor_b64 s[20:21], s[20:21], s[16:17]
	v_cvt_f32_u32_e32 v0, s20
	v_cvt_f32_u32_e32 v1, s21
	s_sub_u32 s0, 0, s20
	s_subb_u32 s17, 0, s21
	s_delay_alu instid0(VALU_DEP_1) | instskip(NEXT) | instid1(VALU_DEP_1)
	v_fmac_f32_e32 v0, 0x4f800000, v1
	v_rcp_f32_e32 v0, v0
	s_waitcnt_depctr 0xfff
	v_mul_f32_e32 v0, 0x5f7ffffc, v0
	s_delay_alu instid0(VALU_DEP_1) | instskip(NEXT) | instid1(VALU_DEP_1)
	v_mul_f32_e32 v1, 0x2f800000, v0
	v_trunc_f32_e32 v1, v1
	s_delay_alu instid0(VALU_DEP_1) | instskip(SKIP_1) | instid1(VALU_DEP_2)
	v_fmac_f32_e32 v0, 0xcf800000, v1
	v_cvt_u32_f32_e32 v1, v1
	v_cvt_u32_f32_e32 v0, v0
	s_delay_alu instid0(VALU_DEP_2) | instskip(NEXT) | instid1(VALU_DEP_2)
	v_mul_lo_u32 v2, s0, v1
	v_mul_hi_u32 v3, s0, v0
	v_mul_lo_u32 v5, s17, v0
	s_delay_alu instid0(VALU_DEP_2) | instskip(SKIP_1) | instid1(VALU_DEP_2)
	v_add_nc_u32_e32 v2, v3, v2
	v_mul_lo_u32 v3, s0, v0
	v_add_nc_u32_e32 v2, v2, v5
	s_delay_alu instid0(VALU_DEP_2) | instskip(NEXT) | instid1(VALU_DEP_2)
	v_mul_hi_u32 v5, v0, v3
	v_mul_lo_u32 v8, v0, v2
	v_mul_hi_u32 v9, v0, v2
	v_mul_hi_u32 v10, v1, v3
	v_mul_lo_u32 v3, v1, v3
	v_mul_hi_u32 v11, v1, v2
	v_mul_lo_u32 v2, v1, v2
	v_add_co_u32 v5, vcc_lo, v5, v8
	v_add_co_ci_u32_e32 v8, vcc_lo, 0, v9, vcc_lo
	s_delay_alu instid0(VALU_DEP_2) | instskip(NEXT) | instid1(VALU_DEP_2)
	v_add_co_u32 v3, vcc_lo, v5, v3
	v_add_co_ci_u32_e32 v3, vcc_lo, v8, v10, vcc_lo
	v_add_co_ci_u32_e32 v5, vcc_lo, 0, v11, vcc_lo
	v_ashrrev_i32_e32 v10, 31, v7
	s_delay_alu instid0(VALU_DEP_3) | instskip(NEXT) | instid1(VALU_DEP_3)
	v_add_co_u32 v2, vcc_lo, v3, v2
	v_add_co_ci_u32_e32 v3, vcc_lo, 0, v5, vcc_lo
	s_delay_alu instid0(VALU_DEP_2) | instskip(NEXT) | instid1(VALU_DEP_2)
	v_add_co_u32 v0, vcc_lo, v0, v2
	v_add_co_ci_u32_e32 v1, vcc_lo, v1, v3, vcc_lo
	s_delay_alu instid0(VALU_DEP_2) | instskip(SKIP_1) | instid1(VALU_DEP_3)
	v_mul_hi_u32 v2, s0, v0
	v_mul_lo_u32 v5, s17, v0
	v_mul_lo_u32 v3, s0, v1
	s_delay_alu instid0(VALU_DEP_1) | instskip(SKIP_1) | instid1(VALU_DEP_2)
	v_add_nc_u32_e32 v2, v2, v3
	v_mul_lo_u32 v3, s0, v0
	v_add_nc_u32_e32 v2, v2, v5
	s_delay_alu instid0(VALU_DEP_2) | instskip(NEXT) | instid1(VALU_DEP_2)
	v_mul_hi_u32 v5, v0, v3
	v_mul_lo_u32 v8, v0, v2
	v_mul_hi_u32 v9, v0, v2
	v_mul_hi_u32 v11, v1, v3
	v_mul_lo_u32 v3, v1, v3
	v_mul_hi_u32 v13, v1, v2
	v_mul_lo_u32 v2, v1, v2
	v_add_co_u32 v5, vcc_lo, v5, v8
	v_add_co_ci_u32_e32 v8, vcc_lo, 0, v9, vcc_lo
	s_delay_alu instid0(VALU_DEP_2) | instskip(NEXT) | instid1(VALU_DEP_2)
	v_add_co_u32 v3, vcc_lo, v5, v3
	v_add_co_ci_u32_e32 v3, vcc_lo, v8, v11, vcc_lo
	v_add_co_ci_u32_e32 v5, vcc_lo, 0, v13, vcc_lo
	v_add_co_u32 v8, vcc_lo, v6, v10
	v_add_co_ci_u32_e32 v9, vcc_lo, v7, v10, vcc_lo
	s_delay_alu instid0(VALU_DEP_4) | instskip(NEXT) | instid1(VALU_DEP_4)
	v_add_co_u32 v2, vcc_lo, v3, v2
	v_add_co_ci_u32_e32 v3, vcc_lo, 0, v5, vcc_lo
	s_delay_alu instid0(VALU_DEP_4) | instskip(NEXT) | instid1(VALU_DEP_3)
	v_xor_b32_e32 v5, v8, v10
	v_add_co_u32 v8, vcc_lo, v0, v2
	s_delay_alu instid0(VALU_DEP_3) | instskip(SKIP_1) | instid1(VALU_DEP_3)
	v_add_co_ci_u32_e32 v11, vcc_lo, v1, v3, vcc_lo
	v_xor_b32_e32 v13, v9, v10
	v_mul_hi_u32 v14, v5, v8
	s_delay_alu instid0(VALU_DEP_3) | instskip(NEXT) | instid1(VALU_DEP_3)
	v_mad_u64_u32 v[0:1], null, v5, v11, 0
	v_mad_u64_u32 v[2:3], null, v13, v8, 0
	;; [unrolled: 1-line block ×3, first 2 shown]
	s_delay_alu instid0(VALU_DEP_3) | instskip(NEXT) | instid1(VALU_DEP_4)
	v_add_co_u32 v0, vcc_lo, v14, v0
	v_add_co_ci_u32_e32 v1, vcc_lo, 0, v1, vcc_lo
	s_delay_alu instid0(VALU_DEP_2) | instskip(NEXT) | instid1(VALU_DEP_2)
	v_add_co_u32 v0, vcc_lo, v0, v2
	v_add_co_ci_u32_e32 v0, vcc_lo, v1, v3, vcc_lo
	v_add_co_ci_u32_e32 v1, vcc_lo, 0, v9, vcc_lo
	s_delay_alu instid0(VALU_DEP_2) | instskip(NEXT) | instid1(VALU_DEP_2)
	v_add_co_u32 v2, vcc_lo, v0, v8
	v_add_co_ci_u32_e32 v3, vcc_lo, 0, v1, vcc_lo
	s_delay_alu instid0(VALU_DEP_2) | instskip(SKIP_1) | instid1(VALU_DEP_3)
	v_mul_lo_u32 v8, s21, v2
	v_mad_u64_u32 v[0:1], null, s20, v2, 0
	v_mul_lo_u32 v9, s20, v3
	s_delay_alu instid0(VALU_DEP_2) | instskip(NEXT) | instid1(VALU_DEP_2)
	v_sub_co_u32 v0, vcc_lo, v5, v0
	v_add3_u32 v1, v1, v9, v8
	s_delay_alu instid0(VALU_DEP_1) | instskip(NEXT) | instid1(VALU_DEP_1)
	v_sub_nc_u32_e32 v8, v13, v1
	v_subrev_co_ci_u32_e64 v5, s0, s21, v8, vcc_lo
	v_add_co_u32 v8, s0, v2, 2
	s_delay_alu instid0(VALU_DEP_1) | instskip(SKIP_3) | instid1(VALU_DEP_3)
	v_add_co_ci_u32_e64 v9, s0, 0, v3, s0
	v_sub_co_u32 v11, s0, v0, s20
	v_sub_co_ci_u32_e32 v1, vcc_lo, v13, v1, vcc_lo
	v_subrev_co_ci_u32_e64 v5, s0, 0, v5, s0
	v_cmp_le_u32_e32 vcc_lo, s20, v11
	s_delay_alu instid0(VALU_DEP_3) | instskip(SKIP_1) | instid1(VALU_DEP_4)
	v_cmp_eq_u32_e64 s0, s21, v1
	v_cndmask_b32_e64 v11, 0, -1, vcc_lo
	v_cmp_le_u32_e32 vcc_lo, s21, v5
	v_cndmask_b32_e64 v13, 0, -1, vcc_lo
	v_cmp_le_u32_e32 vcc_lo, s20, v0
	;; [unrolled: 2-line block ×3, first 2 shown]
	v_cndmask_b32_e64 v14, 0, -1, vcc_lo
	v_cmp_eq_u32_e32 vcc_lo, s21, v5
	s_delay_alu instid0(VALU_DEP_2) | instskip(SKIP_3) | instid1(VALU_DEP_3)
	v_cndmask_b32_e64 v0, v14, v0, s0
	v_cndmask_b32_e32 v5, v13, v11, vcc_lo
	v_add_co_u32 v11, vcc_lo, v2, 1
	v_add_co_ci_u32_e32 v13, vcc_lo, 0, v3, vcc_lo
	v_cmp_ne_u32_e32 vcc_lo, 0, v5
	s_delay_alu instid0(VALU_DEP_3) | instskip(NEXT) | instid1(VALU_DEP_3)
	v_cndmask_b32_e32 v5, v11, v8, vcc_lo
	v_cndmask_b32_e32 v1, v13, v9, vcc_lo
	v_cmp_ne_u32_e32 vcc_lo, 0, v0
	v_xor_b32_e32 v8, s16, v10
	s_delay_alu instid0(VALU_DEP_3) | instskip(SKIP_1) | instid1(VALU_DEP_2)
	v_cndmask_b32_e32 v0, v3, v1, vcc_lo
	v_cndmask_b32_e32 v1, v2, v5, vcc_lo
	v_xor_b32_e32 v2, v0, v8
	s_delay_alu instid0(VALU_DEP_2) | instskip(NEXT) | instid1(VALU_DEP_1)
	v_xor_b32_e32 v1, v1, v8
	v_sub_co_u32 v0, vcc_lo, v1, v8
	s_delay_alu instid0(VALU_DEP_3)
	v_sub_co_ci_u32_e32 v1, vcc_lo, v2, v8, vcc_lo
.LBB46_4:                               ;   in Loop: Header=BB46_2 Depth=1
	s_and_not1_saveexec_b32 s0, s19
; %bb.5:                                ;   in Loop: Header=BB46_2 Depth=1
	v_mul_hi_u32 v0, v6, v12
	s_delay_alu instid0(VALU_DEP_1) | instskip(NEXT) | instid1(VALU_DEP_1)
	v_mul_lo_u32 v1, v0, s8
	v_sub_nc_u32_e32 v1, v6, v1
	s_delay_alu instid0(VALU_DEP_1) | instskip(SKIP_1) | instid1(VALU_DEP_2)
	v_subrev_nc_u32_e32 v3, s8, v1
	v_cmp_le_u32_e32 vcc_lo, s8, v1
	v_dual_cndmask_b32 v1, v1, v3 :: v_dual_add_nc_u32 v2, 1, v0
	s_delay_alu instid0(VALU_DEP_1) | instskip(NEXT) | instid1(VALU_DEP_2)
	v_cndmask_b32_e32 v0, v0, v2, vcc_lo
	v_cmp_le_u32_e32 vcc_lo, s8, v1
	s_delay_alu instid0(VALU_DEP_2) | instskip(NEXT) | instid1(VALU_DEP_1)
	v_dual_mov_b32 v1, v4 :: v_dual_add_nc_u32 v2, 1, v0
	v_cndmask_b32_e32 v0, v0, v2, vcc_lo
; %bb.6:                                ;   in Loop: Header=BB46_2 Depth=1
	s_or_b32 exec_lo, exec_lo, s0
	v_mov_b32_e32 v2, 0
	v_mov_b32_e32 v3, 0
	s_and_not1_b32 vcc_lo, exec_lo, s24
	s_cbranch_vccnz .LBB46_12
; %bb.7:                                ;   in Loop: Header=BB46_2 Depth=1
	v_mad_u64_u32 v[2:3], null, v0, s8, s[6:7]
	v_mul_lo_u32 v5, v0, s9
	v_mul_lo_u32 v8, v1, s8
	s_mov_b32 s0, exec_lo
	s_delay_alu instid0(VALU_DEP_1) | instskip(NEXT) | instid1(VALU_DEP_4)
	v_add3_u32 v3, v8, v3, v5
	v_sub_co_u32 v8, vcc_lo, v6, v2
	s_delay_alu instid0(VALU_DEP_2) | instskip(NEXT) | instid1(VALU_DEP_1)
	v_sub_co_ci_u32_e32 v9, vcc_lo, v7, v3, vcc_lo
                                        ; implicit-def: $vgpr2_vgpr3
	v_or_b32_e32 v5, s11, v9
	s_delay_alu instid0(VALU_DEP_1)
	v_cmpx_ne_u64_e32 0, v[4:5]
	s_xor_b32 s17, exec_lo, s0
	s_cbranch_execz .LBB46_9
; %bb.8:                                ;   in Loop: Header=BB46_2 Depth=1
	s_add_u32 s20, s10, s18
	s_mov_b32 s19, s18
	s_addc_u32 s21, s11, s18
	s_delay_alu instid0(SALU_CYCLE_1) | instskip(NEXT) | instid1(SALU_CYCLE_1)
	s_xor_b64 s[20:21], s[20:21], s[18:19]
	v_cvt_f32_u32_e32 v2, s20
	v_cvt_f32_u32_e32 v3, s21
	s_sub_u32 s0, 0, s20
	s_subb_u32 s19, 0, s21
	s_delay_alu instid0(VALU_DEP_1) | instskip(NEXT) | instid1(VALU_DEP_1)
	v_fmac_f32_e32 v2, 0x4f800000, v3
	v_rcp_f32_e32 v2, v2
	s_waitcnt_depctr 0xfff
	v_mul_f32_e32 v2, 0x5f7ffffc, v2
	s_delay_alu instid0(VALU_DEP_1) | instskip(NEXT) | instid1(VALU_DEP_1)
	v_mul_f32_e32 v3, 0x2f800000, v2
	v_trunc_f32_e32 v3, v3
	s_delay_alu instid0(VALU_DEP_1) | instskip(SKIP_1) | instid1(VALU_DEP_2)
	v_fmac_f32_e32 v2, 0xcf800000, v3
	v_cvt_u32_f32_e32 v3, v3
	v_cvt_u32_f32_e32 v2, v2
	s_delay_alu instid0(VALU_DEP_2) | instskip(NEXT) | instid1(VALU_DEP_2)
	v_mul_lo_u32 v5, s0, v3
	v_mul_hi_u32 v10, s0, v2
	v_mul_lo_u32 v11, s19, v2
	s_delay_alu instid0(VALU_DEP_2) | instskip(SKIP_1) | instid1(VALU_DEP_2)
	v_add_nc_u32_e32 v5, v10, v5
	v_mul_lo_u32 v10, s0, v2
	v_add_nc_u32_e32 v5, v5, v11
	s_delay_alu instid0(VALU_DEP_2) | instskip(NEXT) | instid1(VALU_DEP_2)
	v_mul_hi_u32 v11, v2, v10
	v_mul_lo_u32 v13, v2, v5
	v_mul_hi_u32 v14, v2, v5
	v_mul_hi_u32 v15, v3, v10
	v_mul_lo_u32 v10, v3, v10
	v_mul_hi_u32 v16, v3, v5
	v_mul_lo_u32 v5, v3, v5
	v_add_co_u32 v11, vcc_lo, v11, v13
	v_add_co_ci_u32_e32 v13, vcc_lo, 0, v14, vcc_lo
	s_delay_alu instid0(VALU_DEP_2) | instskip(NEXT) | instid1(VALU_DEP_2)
	v_add_co_u32 v10, vcc_lo, v11, v10
	v_add_co_ci_u32_e32 v10, vcc_lo, v13, v15, vcc_lo
	v_add_co_ci_u32_e32 v11, vcc_lo, 0, v16, vcc_lo
	v_ashrrev_i32_e32 v15, 31, v9
	s_delay_alu instid0(VALU_DEP_3) | instskip(NEXT) | instid1(VALU_DEP_3)
	v_add_co_u32 v5, vcc_lo, v10, v5
	v_add_co_ci_u32_e32 v10, vcc_lo, 0, v11, vcc_lo
	s_delay_alu instid0(VALU_DEP_2) | instskip(NEXT) | instid1(VALU_DEP_2)
	v_add_co_u32 v2, vcc_lo, v2, v5
	v_add_co_ci_u32_e32 v3, vcc_lo, v3, v10, vcc_lo
	s_delay_alu instid0(VALU_DEP_2) | instskip(SKIP_1) | instid1(VALU_DEP_3)
	v_mul_hi_u32 v5, s0, v2
	v_mul_lo_u32 v11, s19, v2
	v_mul_lo_u32 v10, s0, v3
	s_delay_alu instid0(VALU_DEP_1) | instskip(SKIP_1) | instid1(VALU_DEP_2)
	v_add_nc_u32_e32 v5, v5, v10
	v_mul_lo_u32 v10, s0, v2
	v_add_nc_u32_e32 v5, v5, v11
	s_delay_alu instid0(VALU_DEP_2) | instskip(NEXT) | instid1(VALU_DEP_2)
	v_mul_hi_u32 v11, v2, v10
	v_mul_lo_u32 v13, v2, v5
	v_mul_hi_u32 v14, v2, v5
	v_mul_hi_u32 v16, v3, v10
	v_mul_lo_u32 v10, v3, v10
	v_mul_hi_u32 v17, v3, v5
	v_mul_lo_u32 v5, v3, v5
	v_add_co_u32 v11, vcc_lo, v11, v13
	v_add_co_ci_u32_e32 v13, vcc_lo, 0, v14, vcc_lo
	s_delay_alu instid0(VALU_DEP_2) | instskip(NEXT) | instid1(VALU_DEP_2)
	v_add_co_u32 v10, vcc_lo, v11, v10
	v_add_co_ci_u32_e32 v10, vcc_lo, v13, v16, vcc_lo
	v_add_co_ci_u32_e32 v11, vcc_lo, 0, v17, vcc_lo
	v_add_co_u32 v8, vcc_lo, v8, v15
	v_add_co_ci_u32_e32 v9, vcc_lo, v9, v15, vcc_lo
	s_delay_alu instid0(VALU_DEP_4) | instskip(NEXT) | instid1(VALU_DEP_4)
	v_add_co_u32 v5, vcc_lo, v10, v5
	v_add_co_ci_u32_e32 v10, vcc_lo, 0, v11, vcc_lo
	s_delay_alu instid0(VALU_DEP_4) | instskip(NEXT) | instid1(VALU_DEP_3)
	v_xor_b32_e32 v13, v8, v15
	v_add_co_u32 v5, vcc_lo, v2, v5
	s_delay_alu instid0(VALU_DEP_3) | instskip(SKIP_1) | instid1(VALU_DEP_3)
	v_add_co_ci_u32_e32 v14, vcc_lo, v3, v10, vcc_lo
	v_xor_b32_e32 v16, v9, v15
	v_mul_hi_u32 v17, v13, v5
	s_delay_alu instid0(VALU_DEP_3) | instskip(NEXT) | instid1(VALU_DEP_3)
	v_mad_u64_u32 v[2:3], null, v13, v14, 0
	v_mad_u64_u32 v[8:9], null, v16, v5, 0
	;; [unrolled: 1-line block ×3, first 2 shown]
	s_delay_alu instid0(VALU_DEP_3) | instskip(NEXT) | instid1(VALU_DEP_4)
	v_add_co_u32 v2, vcc_lo, v17, v2
	v_add_co_ci_u32_e32 v3, vcc_lo, 0, v3, vcc_lo
	s_delay_alu instid0(VALU_DEP_2) | instskip(NEXT) | instid1(VALU_DEP_2)
	v_add_co_u32 v2, vcc_lo, v2, v8
	v_add_co_ci_u32_e32 v2, vcc_lo, v3, v9, vcc_lo
	v_add_co_ci_u32_e32 v3, vcc_lo, 0, v11, vcc_lo
	s_delay_alu instid0(VALU_DEP_2) | instskip(NEXT) | instid1(VALU_DEP_2)
	v_add_co_u32 v5, vcc_lo, v2, v10
	v_add_co_ci_u32_e32 v8, vcc_lo, 0, v3, vcc_lo
	s_delay_alu instid0(VALU_DEP_2) | instskip(SKIP_1) | instid1(VALU_DEP_3)
	v_mul_lo_u32 v9, s21, v5
	v_mad_u64_u32 v[2:3], null, s20, v5, 0
	v_mul_lo_u32 v5, s20, v8
	s_delay_alu instid0(VALU_DEP_2) | instskip(NEXT) | instid1(VALU_DEP_2)
	v_sub_co_u32 v2, vcc_lo, v13, v2
	v_add3_u32 v3, v3, v5, v9
	s_delay_alu instid0(VALU_DEP_1) | instskip(NEXT) | instid1(VALU_DEP_1)
	v_sub_nc_u32_e32 v5, v16, v3
	v_subrev_co_ci_u32_e64 v5, s0, s21, v5, vcc_lo
	v_sub_co_ci_u32_e32 v3, vcc_lo, v16, v3, vcc_lo
	v_sub_co_u32 v8, vcc_lo, v2, s20
	s_delay_alu instid0(VALU_DEP_1) | instskip(SKIP_3) | instid1(VALU_DEP_3)
	v_subrev_co_ci_u32_e64 v9, s0, 0, v5, vcc_lo
	v_cmp_le_u32_e64 s0, s20, v2
	v_subrev_co_ci_u32_e32 v5, vcc_lo, s21, v5, vcc_lo
	v_cmp_le_u32_e32 vcc_lo, s21, v3
	v_cndmask_b32_e64 v10, 0, -1, s0
	v_cmp_le_u32_e64 s0, s20, v8
	v_cndmask_b32_e64 v14, 0, -1, vcc_lo
	v_cmp_eq_u32_e32 vcc_lo, s21, v9
	s_delay_alu instid0(VALU_DEP_3) | instskip(SKIP_1) | instid1(VALU_DEP_1)
	v_cndmask_b32_e64 v11, 0, -1, s0
	v_cmp_le_u32_e64 s0, s21, v9
	v_cndmask_b32_e64 v13, 0, -1, s0
	v_cmp_eq_u32_e64 s0, s21, v3
	s_delay_alu instid0(VALU_DEP_2) | instskip(SKIP_2) | instid1(VALU_DEP_3)
	v_cndmask_b32_e32 v11, v13, v11, vcc_lo
	v_sub_co_u32 v13, vcc_lo, v8, s20
	v_subrev_co_ci_u32_e32 v5, vcc_lo, 0, v5, vcc_lo
	v_cmp_ne_u32_e32 vcc_lo, 0, v11
	v_cndmask_b32_e64 v10, v14, v10, s0
	s_delay_alu instid0(VALU_DEP_3) | instskip(SKIP_1) | instid1(VALU_DEP_3)
	v_cndmask_b32_e32 v5, v9, v5, vcc_lo
	v_cndmask_b32_e32 v8, v8, v13, vcc_lo
	v_cmp_ne_u32_e32 vcc_lo, 0, v10
	s_delay_alu instid0(VALU_DEP_2) | instskip(NEXT) | instid1(VALU_DEP_1)
	v_dual_cndmask_b32 v2, v2, v8 :: v_dual_cndmask_b32 v3, v3, v5
                                        ; implicit-def: $vgpr8
	v_xor_b32_e32 v2, v2, v15
	s_delay_alu instid0(VALU_DEP_2) | instskip(NEXT) | instid1(VALU_DEP_2)
	v_xor_b32_e32 v3, v3, v15
	v_sub_co_u32 v2, vcc_lo, v2, v15
	s_delay_alu instid0(VALU_DEP_2)
	v_sub_co_ci_u32_e32 v3, vcc_lo, v3, v15, vcc_lo
.LBB46_9:                               ;   in Loop: Header=BB46_2 Depth=1
	s_and_not1_saveexec_b32 s0, s17
	s_cbranch_execz .LBB46_11
; %bb.10:                               ;   in Loop: Header=BB46_2 Depth=1
	v_cvt_f32_u32_e32 v2, s10
	s_delay_alu instid0(VALU_DEP_1) | instskip(SKIP_2) | instid1(VALU_DEP_1)
	v_rcp_iflag_f32_e32 v2, v2
	s_waitcnt_depctr 0xfff
	v_mul_f32_e32 v2, 0x4f7ffffe, v2
	v_cvt_u32_f32_e32 v2, v2
	s_delay_alu instid0(VALU_DEP_1) | instskip(NEXT) | instid1(VALU_DEP_1)
	v_mul_lo_u32 v3, s25, v2
	v_mul_hi_u32 v3, v2, v3
	s_delay_alu instid0(VALU_DEP_1) | instskip(NEXT) | instid1(VALU_DEP_1)
	v_add_nc_u32_e32 v2, v2, v3
	v_mul_hi_u32 v2, v8, v2
	s_delay_alu instid0(VALU_DEP_1) | instskip(NEXT) | instid1(VALU_DEP_1)
	v_mul_lo_u32 v2, v2, s10
	v_sub_nc_u32_e32 v2, v8, v2
	s_delay_alu instid0(VALU_DEP_1) | instskip(SKIP_1) | instid1(VALU_DEP_2)
	v_subrev_nc_u32_e32 v3, s10, v2
	v_cmp_le_u32_e32 vcc_lo, s10, v2
	v_cndmask_b32_e32 v2, v2, v3, vcc_lo
	s_delay_alu instid0(VALU_DEP_1) | instskip(SKIP_1) | instid1(VALU_DEP_2)
	v_subrev_nc_u32_e32 v3, s10, v2
	v_cmp_le_u32_e32 vcc_lo, s10, v2
	v_dual_cndmask_b32 v2, v2, v3 :: v_dual_mov_b32 v3, v4
.LBB46_11:                              ;   in Loop: Header=BB46_2 Depth=1
	s_or_b32 exec_lo, exec_lo, s0
	s_delay_alu instid0(VALU_DEP_1) | instskip(NEXT) | instid1(VALU_DEP_1)
	v_ashrrev_i32_e32 v5, 31, v3
	v_and_b32_e32 v8, s10, v5
	v_and_b32_e32 v5, s11, v5
	s_delay_alu instid0(VALU_DEP_2) | instskip(NEXT) | instid1(VALU_DEP_2)
	v_add_co_u32 v2, vcc_lo, v8, v2
	v_add_co_ci_u32_e32 v3, vcc_lo, v5, v3, vcc_lo
	s_delay_alu instid0(VALU_DEP_2) | instskip(NEXT) | instid1(VALU_DEP_2)
	v_sub_co_u32 v5, vcc_lo, s10, v2
	v_sub_co_ci_u32_e32 v8, vcc_lo, s11, v3, vcc_lo
	v_cmp_gt_i64_e32 vcc_lo, s[4:5], v[2:3]
	s_delay_alu instid0(VALU_DEP_2)
	v_dual_cndmask_b32 v3, v8, v3 :: v_dual_cndmask_b32 v2, v5, v2
.LBB46_12:                              ;   in Loop: Header=BB46_2 Depth=1
	v_mul_lo_u32 v1, v1, s4
	v_mul_lo_u32 v5, v0, s5
	v_mad_u64_u32 v[8:9], null, v0, s4, 0
	s_delay_alu instid0(VALU_DEP_4) | instskip(SKIP_1) | instid1(VALU_DEP_2)
	v_lshlrev_b64 v[2:3], 3, v[2:3]
	s_mov_b32 s0, 0
	v_add3_u32 v9, v9, v5, v1
	s_delay_alu instid0(VALU_DEP_1) | instskip(SKIP_2) | instid1(VALU_DEP_2)
	v_lshlrev_b64 v[0:1], 3, v[8:9]
	v_lshlrev_b64 v[8:9], 3, v[6:7]
	s_waitcnt lgkmcnt(0)
	v_add_co_u32 v5, vcc_lo, s12, v0
	s_delay_alu instid0(VALU_DEP_3) | instskip(NEXT) | instid1(VALU_DEP_3)
	v_add_co_ci_u32_e32 v10, vcc_lo, s13, v1, vcc_lo
	v_add_co_u32 v0, vcc_lo, s14, v8
	s_delay_alu instid0(VALU_DEP_4) | instskip(NEXT) | instid1(VALU_DEP_4)
	v_add_co_ci_u32_e32 v1, vcc_lo, s15, v9, vcc_lo
	v_add_co_u32 v8, vcc_lo, v5, v2
	s_delay_alu instid0(VALU_DEP_4)
	v_add_co_ci_u32_e32 v9, vcc_lo, v10, v3, vcc_lo
	global_load_b64 v[10:11], v[0:1], off
	global_load_b64 v[2:3], v[8:9], off
.LBB46_13:                              ;   Parent Loop BB46_2 Depth=1
                                        ; =>  This Inner Loop Header: Depth=2
	s_waitcnt vmcnt(0)
	v_add_f64 v[0:1], v[2:3], v[10:11]
	global_atomic_cmpswap_b64 v[0:1], v[8:9], v[0:3], off glc
	s_waitcnt vmcnt(0)
	v_cmp_eq_u64_e32 vcc_lo, v[0:1], v[2:3]
	v_dual_mov_b32 v3, v1 :: v_dual_mov_b32 v2, v0
	s_or_b32 s0, vcc_lo, s0
	s_delay_alu instid0(SALU_CYCLE_1)
	s_and_not1_b32 exec_lo, exec_lo, s0
	s_cbranch_execnz .LBB46_13
; %bb.14:                               ;   in Loop: Header=BB46_2 Depth=1
	s_or_b32 exec_lo, exec_lo, s0
	v_add_co_u32 v6, vcc_lo, v6, s23
	v_add_co_ci_u32_e32 v7, vcc_lo, s1, v7, vcc_lo
	s_delay_alu instid0(VALU_DEP_1) | instskip(SKIP_1) | instid1(SALU_CYCLE_1)
	v_cmp_le_i64_e32 vcc_lo, s[2:3], v[6:7]
	s_or_b32 s22, vcc_lo, s22
	s_and_not1_b32 exec_lo, exec_lo, s22
	s_cbranch_execnz .LBB46_2
.LBB46_15:
	s_endpgm
	.section	.rodata,"a",@progbits
	.p2align	6, 0x0
	.amdhsa_kernel _ZN2at6native12_GLOBAL__N_130reflection_pad1d_backward_flatIdEEvPT_PKS3_llll
		.amdhsa_group_segment_fixed_size 0
		.amdhsa_private_segment_fixed_size 0
		.amdhsa_kernarg_size 304
		.amdhsa_user_sgpr_count 15
		.amdhsa_user_sgpr_dispatch_ptr 0
		.amdhsa_user_sgpr_queue_ptr 0
		.amdhsa_user_sgpr_kernarg_segment_ptr 1
		.amdhsa_user_sgpr_dispatch_id 0
		.amdhsa_user_sgpr_private_segment_size 0
		.amdhsa_wavefront_size32 1
		.amdhsa_uses_dynamic_stack 0
		.amdhsa_enable_private_segment 0
		.amdhsa_system_sgpr_workgroup_id_x 1
		.amdhsa_system_sgpr_workgroup_id_y 0
		.amdhsa_system_sgpr_workgroup_id_z 0
		.amdhsa_system_sgpr_workgroup_info 0
		.amdhsa_system_vgpr_workitem_id 0
		.amdhsa_next_free_vgpr 18
		.amdhsa_next_free_sgpr 26
		.amdhsa_reserve_vcc 1
		.amdhsa_float_round_mode_32 0
		.amdhsa_float_round_mode_16_64 0
		.amdhsa_float_denorm_mode_32 3
		.amdhsa_float_denorm_mode_16_64 3
		.amdhsa_dx10_clamp 1
		.amdhsa_ieee_mode 1
		.amdhsa_fp16_overflow 0
		.amdhsa_workgroup_processor_mode 1
		.amdhsa_memory_ordered 1
		.amdhsa_forward_progress 0
		.amdhsa_shared_vgpr_count 0
		.amdhsa_exception_fp_ieee_invalid_op 0
		.amdhsa_exception_fp_denorm_src 0
		.amdhsa_exception_fp_ieee_div_zero 0
		.amdhsa_exception_fp_ieee_overflow 0
		.amdhsa_exception_fp_ieee_underflow 0
		.amdhsa_exception_fp_ieee_inexact 0
		.amdhsa_exception_int_div_zero 0
	.end_amdhsa_kernel
	.section	.text._ZN2at6native12_GLOBAL__N_130reflection_pad1d_backward_flatIdEEvPT_PKS3_llll,"axG",@progbits,_ZN2at6native12_GLOBAL__N_130reflection_pad1d_backward_flatIdEEvPT_PKS3_llll,comdat
.Lfunc_end46:
	.size	_ZN2at6native12_GLOBAL__N_130reflection_pad1d_backward_flatIdEEvPT_PKS3_llll, .Lfunc_end46-_ZN2at6native12_GLOBAL__N_130reflection_pad1d_backward_flatIdEEvPT_PKS3_llll
                                        ; -- End function
	.section	.AMDGPU.csdata,"",@progbits
; Kernel info:
; codeLenInByte = 2480
; NumSgprs: 28
; NumVgprs: 18
; ScratchSize: 0
; MemoryBound: 0
; FloatMode: 240
; IeeeMode: 1
; LDSByteSize: 0 bytes/workgroup (compile time only)
; SGPRBlocks: 3
; VGPRBlocks: 2
; NumSGPRsForWavesPerEU: 28
; NumVGPRsForWavesPerEU: 18
; Occupancy: 16
; WaveLimiterHint : 0
; COMPUTE_PGM_RSRC2:SCRATCH_EN: 0
; COMPUTE_PGM_RSRC2:USER_SGPR: 15
; COMPUTE_PGM_RSRC2:TRAP_HANDLER: 0
; COMPUTE_PGM_RSRC2:TGID_X_EN: 1
; COMPUTE_PGM_RSRC2:TGID_Y_EN: 0
; COMPUTE_PGM_RSRC2:TGID_Z_EN: 0
; COMPUTE_PGM_RSRC2:TIDIG_COMP_CNT: 0
	.section	.text._ZN2at6native12_GLOBAL__N_136reflection_pad1d_backward_out_kernelIfEEvPT_PKS3_lll,"axG",@progbits,_ZN2at6native12_GLOBAL__N_136reflection_pad1d_backward_out_kernelIfEEvPT_PKS3_lll,comdat
	.globl	_ZN2at6native12_GLOBAL__N_136reflection_pad1d_backward_out_kernelIfEEvPT_PKS3_lll ; -- Begin function _ZN2at6native12_GLOBAL__N_136reflection_pad1d_backward_out_kernelIfEEvPT_PKS3_lll
	.p2align	8
	.type	_ZN2at6native12_GLOBAL__N_136reflection_pad1d_backward_out_kernelIfEEvPT_PKS3_lll,@function
_ZN2at6native12_GLOBAL__N_136reflection_pad1d_backward_out_kernelIfEEvPT_PKS3_lll: ; @_ZN2at6native12_GLOBAL__N_136reflection_pad1d_backward_out_kernelIfEEvPT_PKS3_lll
; %bb.0:
	s_clause 0x2
	s_load_b32 s12, s[0:1], 0x34
	s_load_b256 s[4:11], s[0:1], 0x0
	s_load_b64 s[16:17], s[0:1], 0x20
	v_mov_b32_e32 v1, 0
	s_add_u32 s2, s0, 40
	s_addc_u32 s3, s1, 0
	s_waitcnt lgkmcnt(0)
	s_and_b32 s0, s12, 0xffff
	s_add_u32 s12, s10, s8
	v_mad_u64_u32 v[2:3], null, s0, s13, v[0:1]
	s_addc_u32 s13, s11, s9
	s_add_u32 s0, s12, s16
	s_addc_u32 s1, s13, s17
	s_mov_b32 s16, exec_lo
	s_delay_alu instid0(VALU_DEP_1)
	v_cmpx_gt_i64_e64 s[0:1], v[2:3]
	s_cbranch_execz .LBB47_3
; %bb.1:
	s_load_b32 s16, s[2:3], 0x4
	v_sub_co_u32 v0, vcc_lo, v2, s12
	v_subrev_co_ci_u32_e32 v1, vcc_lo, s13, v3, vcc_lo
	v_sub_co_u32 v4, vcc_lo, v2, s10
	v_subrev_co_ci_u32_e32 v5, vcc_lo, s11, v3, vcc_lo
	s_delay_alu instid0(VALU_DEP_4) | instskip(NEXT) | instid1(VALU_DEP_4)
	v_add_co_u32 v0, vcc_lo, v0, 1
	v_add_co_ci_u32_e32 v1, vcc_lo, 0, v1, vcc_lo
	s_sub_u32 s2, 0, s10
	s_subb_u32 s3, 0, s11
	v_cmp_gt_i64_e64 s17, s[10:11], 0
	s_delay_alu instid0(VALU_DEP_2)
	v_ashrrev_i32_e32 v6, 31, v1
	v_ashrrev_i32_e32 v7, 31, v5
	s_waitcnt lgkmcnt(0)
	s_mul_i32 s15, s16, s15
	v_cmp_gt_i64_e64 s16, s[2:3], 0
	s_add_i32 s14, s15, s14
	v_xor_b32_e32 v0, v0, v6
	s_mul_i32 s9, s14, s9
	s_mul_hi_u32 s15, s14, s8
	s_mul_i32 s1, s1, s14
	s_mul_hi_u32 s18, s0, s14
	v_xor_b32_e32 v1, v1, v6
	s_add_i32 s9, s15, s9
	s_add_i32 s1, s18, s1
	s_and_b32 s15, s16, exec_lo
	s_cselect_b32 s15, s3, 0
	s_cselect_b32 s16, s2, 0
	s_and_b32 s2, s17, exec_lo
	v_sub_co_u32 v0, vcc_lo, v0, v6
	s_cselect_b32 s3, s11, 0
	s_cselect_b32 s2, s10, 0
	v_sub_co_ci_u32_e32 v1, vcc_lo, v1, v6, vcc_lo
	s_not_b64 s[2:3], s[2:3]
	s_add_u32 s10, s12, s10
	s_addc_u32 s11, s13, s11
	v_add_co_u32 v0, vcc_lo, v2, v0
	s_add_u32 s2, s10, s2
	s_addc_u32 s3, s11, s3
	v_add_co_ci_u32_e32 v1, vcc_lo, v3, v1, vcc_lo
	s_add_u32 s2, s2, s16
	v_xor_b32_e32 v4, v4, v7
	s_addc_u32 s3, s3, s15
	v_sub_co_u32 v0, vcc_lo, s2, v0
	v_xor_b32_e32 v5, v5, v7
	v_sub_co_ci_u32_e32 v1, vcc_lo, s3, v1, vcc_lo
	v_sub_co_u32 v4, vcc_lo, v4, v7
	s_delay_alu instid0(VALU_DEP_3) | instskip(NEXT) | instid1(VALU_DEP_3)
	v_sub_co_ci_u32_e32 v5, vcc_lo, v5, v7, vcc_lo
	v_lshlrev_b64 v[0:1], 2, v[0:1]
	s_mul_i32 s0, s0, s14
	s_mul_i32 s8, s14, s8
	s_delay_alu instid0(VALU_DEP_2)
	v_lshlrev_b64 v[4:5], 2, v[4:5]
	s_lshl_b64 s[0:1], s[0:1], 2
	s_lshl_b64 s[2:3], s[8:9], 2
	v_add_co_u32 v0, vcc_lo, s4, v0
	v_add_co_ci_u32_e32 v1, vcc_lo, s5, v1, vcc_lo
	s_add_u32 s0, s6, s0
	s_delay_alu instid0(VALU_DEP_2) | instskip(NEXT) | instid1(VALU_DEP_2)
	v_add_co_u32 v4, vcc_lo, v0, v4
	v_add_co_ci_u32_e32 v5, vcc_lo, v1, v5, vcc_lo
	v_lshlrev_b64 v[0:1], 2, v[2:3]
	s_addc_u32 s1, s7, s1
	s_delay_alu instid0(VALU_DEP_1) | instskip(NEXT) | instid1(VALU_DEP_2)
	v_add_co_u32 v2, vcc_lo, s0, v0
	v_add_co_ci_u32_e32 v3, vcc_lo, s1, v1, vcc_lo
	v_add_co_u32 v0, vcc_lo, v4, s2
	v_add_co_ci_u32_e32 v1, vcc_lo, s3, v5, vcc_lo
	global_load_b32 v4, v[2:3], off
	global_load_b32 v3, v[0:1], off
	s_mov_b32 s0, 0
.LBB47_2:                               ; =>This Inner Loop Header: Depth=1
	s_waitcnt vmcnt(0)
	v_add_f32_e32 v2, v3, v4
	global_atomic_cmpswap_b32 v2, v[0:1], v[2:3], off glc
	s_waitcnt vmcnt(0)
	v_cmp_eq_u32_e32 vcc_lo, v2, v3
	v_mov_b32_e32 v3, v2
	s_or_b32 s0, vcc_lo, s0
	s_delay_alu instid0(SALU_CYCLE_1)
	s_and_not1_b32 exec_lo, exec_lo, s0
	s_cbranch_execnz .LBB47_2
.LBB47_3:
	s_endpgm
	.section	.rodata,"a",@progbits
	.p2align	6, 0x0
	.amdhsa_kernel _ZN2at6native12_GLOBAL__N_136reflection_pad1d_backward_out_kernelIfEEvPT_PKS3_lll
		.amdhsa_group_segment_fixed_size 0
		.amdhsa_private_segment_fixed_size 0
		.amdhsa_kernarg_size 296
		.amdhsa_user_sgpr_count 13
		.amdhsa_user_sgpr_dispatch_ptr 0
		.amdhsa_user_sgpr_queue_ptr 0
		.amdhsa_user_sgpr_kernarg_segment_ptr 1
		.amdhsa_user_sgpr_dispatch_id 0
		.amdhsa_user_sgpr_private_segment_size 0
		.amdhsa_wavefront_size32 1
		.amdhsa_uses_dynamic_stack 0
		.amdhsa_enable_private_segment 0
		.amdhsa_system_sgpr_workgroup_id_x 1
		.amdhsa_system_sgpr_workgroup_id_y 1
		.amdhsa_system_sgpr_workgroup_id_z 1
		.amdhsa_system_sgpr_workgroup_info 0
		.amdhsa_system_vgpr_workitem_id 0
		.amdhsa_next_free_vgpr 8
		.amdhsa_next_free_sgpr 19
		.amdhsa_reserve_vcc 1
		.amdhsa_float_round_mode_32 0
		.amdhsa_float_round_mode_16_64 0
		.amdhsa_float_denorm_mode_32 3
		.amdhsa_float_denorm_mode_16_64 3
		.amdhsa_dx10_clamp 1
		.amdhsa_ieee_mode 1
		.amdhsa_fp16_overflow 0
		.amdhsa_workgroup_processor_mode 1
		.amdhsa_memory_ordered 1
		.amdhsa_forward_progress 0
		.amdhsa_shared_vgpr_count 0
		.amdhsa_exception_fp_ieee_invalid_op 0
		.amdhsa_exception_fp_denorm_src 0
		.amdhsa_exception_fp_ieee_div_zero 0
		.amdhsa_exception_fp_ieee_overflow 0
		.amdhsa_exception_fp_ieee_underflow 0
		.amdhsa_exception_fp_ieee_inexact 0
		.amdhsa_exception_int_div_zero 0
	.end_amdhsa_kernel
	.section	.text._ZN2at6native12_GLOBAL__N_136reflection_pad1d_backward_out_kernelIfEEvPT_PKS3_lll,"axG",@progbits,_ZN2at6native12_GLOBAL__N_136reflection_pad1d_backward_out_kernelIfEEvPT_PKS3_lll,comdat
.Lfunc_end47:
	.size	_ZN2at6native12_GLOBAL__N_136reflection_pad1d_backward_out_kernelIfEEvPT_PKS3_lll, .Lfunc_end47-_ZN2at6native12_GLOBAL__N_136reflection_pad1d_backward_out_kernelIfEEvPT_PKS3_lll
                                        ; -- End function
	.section	.AMDGPU.csdata,"",@progbits
; Kernel info:
; codeLenInByte = 512
; NumSgprs: 21
; NumVgprs: 8
; ScratchSize: 0
; MemoryBound: 0
; FloatMode: 240
; IeeeMode: 1
; LDSByteSize: 0 bytes/workgroup (compile time only)
; SGPRBlocks: 2
; VGPRBlocks: 0
; NumSGPRsForWavesPerEU: 21
; NumVGPRsForWavesPerEU: 8
; Occupancy: 16
; WaveLimiterHint : 0
; COMPUTE_PGM_RSRC2:SCRATCH_EN: 0
; COMPUTE_PGM_RSRC2:USER_SGPR: 13
; COMPUTE_PGM_RSRC2:TRAP_HANDLER: 0
; COMPUTE_PGM_RSRC2:TGID_X_EN: 1
; COMPUTE_PGM_RSRC2:TGID_Y_EN: 1
; COMPUTE_PGM_RSRC2:TGID_Z_EN: 1
; COMPUTE_PGM_RSRC2:TIDIG_COMP_CNT: 0
	.section	.text._ZN2at6native12_GLOBAL__N_130reflection_pad1d_backward_flatIfEEvPT_PKS3_llll,"axG",@progbits,_ZN2at6native12_GLOBAL__N_130reflection_pad1d_backward_flatIfEEvPT_PKS3_llll,comdat
	.globl	_ZN2at6native12_GLOBAL__N_130reflection_pad1d_backward_flatIfEEvPT_PKS3_llll ; -- Begin function _ZN2at6native12_GLOBAL__N_130reflection_pad1d_backward_flatIfEEvPT_PKS3_llll
	.p2align	8
	.type	_ZN2at6native12_GLOBAL__N_130reflection_pad1d_backward_flatIfEEvPT_PKS3_llll,@function
_ZN2at6native12_GLOBAL__N_130reflection_pad1d_backward_flatIfEEvPT_PKS3_llll: ; @_ZN2at6native12_GLOBAL__N_130reflection_pad1d_backward_flatIfEEvPT_PKS3_llll
; %bb.0:
	s_clause 0x1
	s_load_b32 s2, s[0:1], 0x3c
	s_load_b256 s[4:11], s[0:1], 0x10
	v_mov_b32_e32 v2, 0
	s_add_u32 s12, s0, 48
	s_addc_u32 s13, s1, 0
	s_mov_b32 s22, 0
	s_delay_alu instid0(VALU_DEP_1) | instskip(SKIP_3) | instid1(VALU_DEP_1)
	v_mov_b32_e32 v1, v2
	s_waitcnt lgkmcnt(0)
	s_and_b32 s16, s2, 0xffff
	s_mul_i32 s2, s10, s9
	v_mad_u64_u32 v[4:5], null, s16, s15, v[0:1]
	s_mul_hi_u32 s3, s10, s8
	s_delay_alu instid0(SALU_CYCLE_1) | instskip(SKIP_1) | instid1(SALU_CYCLE_1)
	s_add_i32 s2, s3, s2
	s_mul_i32 s3, s11, s8
	s_add_i32 s3, s2, s3
	s_mul_i32 s2, s10, s8
	s_mov_b32 s10, exec_lo
	s_delay_alu instid0(VALU_DEP_1)
	v_cmpx_gt_i64_e64 s[2:3], v[4:5]
	s_cbranch_execz .LBB48_15
; %bb.1:
	v_cvt_f32_u32_e32 v0, s8
	s_lshl_b64 s[10:11], s[4:5], 1
	s_load_b32 s17, s[12:13], 0x0
	s_add_u32 s10, s10, -2
	s_addc_u32 s11, s11, -1
	v_rcp_iflag_f32_e32 v0, v0
	s_sub_i32 s12, 0, s8
	v_cmp_gt_i64_e64 s24, s[10:11], 0
	s_ashr_i32 s18, s11, 31
	s_sub_i32 s25, 0, s10
	s_waitcnt_depctr 0xfff
	v_mul_f32_e32 v0, 0x4f7ffffe, v0
	s_delay_alu instid0(VALU_DEP_1) | instskip(SKIP_2) | instid1(VALU_DEP_1)
	v_cvt_u32_f32_e32 v0, v0
	s_waitcnt lgkmcnt(0)
	s_mul_i32 s23, s16, s17
	v_mul_lo_u32 v1, s12, v0
	s_load_b128 s[12:15], s[0:1], 0x0
	s_mul_hi_u32 s1, s16, s17
	s_ashr_i32 s16, s9, 31
	s_delay_alu instid0(VALU_DEP_1) | instskip(NEXT) | instid1(VALU_DEP_1)
	v_mul_hi_u32 v1, v0, v1
	v_add_nc_u32_e32 v8, v0, v1
.LBB48_2:                               ; =>This Loop Header: Depth=1
                                        ;     Child Loop BB48_13 Depth 2
	v_or_b32_e32 v3, s9, v5
                                        ; implicit-def: $vgpr0_vgpr1
	s_mov_b32 s0, exec_lo
	s_delay_alu instid0(VALU_DEP_1)
	v_cmpx_ne_u64_e32 0, v[2:3]
	s_xor_b32 s19, exec_lo, s0
	s_cbranch_execz .LBB48_4
; %bb.3:                                ;   in Loop: Header=BB48_2 Depth=1
	s_add_u32 s20, s8, s16
	s_mov_b32 s17, s16
	s_addc_u32 s21, s9, s16
	s_delay_alu instid0(SALU_CYCLE_1) | instskip(NEXT) | instid1(SALU_CYCLE_1)
	s_xor_b64 s[20:21], s[20:21], s[16:17]
	v_cvt_f32_u32_e32 v0, s20
	v_cvt_f32_u32_e32 v1, s21
	s_sub_u32 s0, 0, s20
	s_subb_u32 s17, 0, s21
	s_delay_alu instid0(VALU_DEP_1) | instskip(NEXT) | instid1(VALU_DEP_1)
	v_fmac_f32_e32 v0, 0x4f800000, v1
	v_rcp_f32_e32 v0, v0
	s_waitcnt_depctr 0xfff
	v_mul_f32_e32 v0, 0x5f7ffffc, v0
	s_delay_alu instid0(VALU_DEP_1) | instskip(NEXT) | instid1(VALU_DEP_1)
	v_mul_f32_e32 v1, 0x2f800000, v0
	v_trunc_f32_e32 v1, v1
	s_delay_alu instid0(VALU_DEP_1) | instskip(SKIP_1) | instid1(VALU_DEP_2)
	v_fmac_f32_e32 v0, 0xcf800000, v1
	v_cvt_u32_f32_e32 v1, v1
	v_cvt_u32_f32_e32 v0, v0
	s_delay_alu instid0(VALU_DEP_2) | instskip(NEXT) | instid1(VALU_DEP_2)
	v_mul_lo_u32 v3, s0, v1
	v_mul_hi_u32 v6, s0, v0
	v_mul_lo_u32 v7, s17, v0
	s_delay_alu instid0(VALU_DEP_2) | instskip(SKIP_1) | instid1(VALU_DEP_2)
	v_add_nc_u32_e32 v3, v6, v3
	v_mul_lo_u32 v6, s0, v0
	v_add_nc_u32_e32 v3, v3, v7
	s_delay_alu instid0(VALU_DEP_2) | instskip(NEXT) | instid1(VALU_DEP_2)
	v_mul_hi_u32 v7, v0, v6
	v_mul_lo_u32 v9, v0, v3
	v_mul_hi_u32 v10, v0, v3
	v_mul_hi_u32 v11, v1, v6
	v_mul_lo_u32 v6, v1, v6
	v_mul_hi_u32 v12, v1, v3
	v_mul_lo_u32 v3, v1, v3
	v_add_co_u32 v7, vcc_lo, v7, v9
	v_add_co_ci_u32_e32 v9, vcc_lo, 0, v10, vcc_lo
	s_delay_alu instid0(VALU_DEP_2) | instskip(NEXT) | instid1(VALU_DEP_2)
	v_add_co_u32 v6, vcc_lo, v7, v6
	v_add_co_ci_u32_e32 v6, vcc_lo, v9, v11, vcc_lo
	v_add_co_ci_u32_e32 v7, vcc_lo, 0, v12, vcc_lo
	v_ashrrev_i32_e32 v11, 31, v5
	s_delay_alu instid0(VALU_DEP_3) | instskip(NEXT) | instid1(VALU_DEP_3)
	v_add_co_u32 v3, vcc_lo, v6, v3
	v_add_co_ci_u32_e32 v6, vcc_lo, 0, v7, vcc_lo
	s_delay_alu instid0(VALU_DEP_2) | instskip(NEXT) | instid1(VALU_DEP_2)
	v_add_co_u32 v0, vcc_lo, v0, v3
	v_add_co_ci_u32_e32 v1, vcc_lo, v1, v6, vcc_lo
	s_delay_alu instid0(VALU_DEP_2) | instskip(SKIP_1) | instid1(VALU_DEP_3)
	v_mul_hi_u32 v3, s0, v0
	v_mul_lo_u32 v7, s17, v0
	v_mul_lo_u32 v6, s0, v1
	s_delay_alu instid0(VALU_DEP_1) | instskip(SKIP_1) | instid1(VALU_DEP_2)
	v_add_nc_u32_e32 v3, v3, v6
	v_mul_lo_u32 v6, s0, v0
	v_add_nc_u32_e32 v3, v3, v7
	s_delay_alu instid0(VALU_DEP_2) | instskip(NEXT) | instid1(VALU_DEP_2)
	v_mul_hi_u32 v7, v0, v6
	v_mul_lo_u32 v9, v0, v3
	v_mul_hi_u32 v10, v0, v3
	v_mul_hi_u32 v12, v1, v6
	v_mul_lo_u32 v6, v1, v6
	v_mul_hi_u32 v13, v1, v3
	v_mul_lo_u32 v3, v1, v3
	v_add_co_u32 v7, vcc_lo, v7, v9
	v_add_co_ci_u32_e32 v9, vcc_lo, 0, v10, vcc_lo
	s_delay_alu instid0(VALU_DEP_2) | instskip(NEXT) | instid1(VALU_DEP_2)
	v_add_co_u32 v6, vcc_lo, v7, v6
	v_add_co_ci_u32_e32 v6, vcc_lo, v9, v12, vcc_lo
	v_add_co_ci_u32_e32 v7, vcc_lo, 0, v13, vcc_lo
	v_add_co_u32 v9, vcc_lo, v4, v11
	v_add_co_ci_u32_e32 v10, vcc_lo, v5, v11, vcc_lo
	s_delay_alu instid0(VALU_DEP_4) | instskip(NEXT) | instid1(VALU_DEP_4)
	v_add_co_u32 v3, vcc_lo, v6, v3
	v_add_co_ci_u32_e32 v6, vcc_lo, 0, v7, vcc_lo
	s_delay_alu instid0(VALU_DEP_4) | instskip(NEXT) | instid1(VALU_DEP_3)
	v_xor_b32_e32 v12, v9, v11
	v_add_co_u32 v3, vcc_lo, v0, v3
	s_delay_alu instid0(VALU_DEP_3) | instskip(SKIP_1) | instid1(VALU_DEP_3)
	v_add_co_ci_u32_e32 v13, vcc_lo, v1, v6, vcc_lo
	v_xor_b32_e32 v14, v10, v11
	v_mul_hi_u32 v15, v12, v3
	s_delay_alu instid0(VALU_DEP_3) | instskip(NEXT) | instid1(VALU_DEP_3)
	v_mad_u64_u32 v[0:1], null, v12, v13, 0
	v_mad_u64_u32 v[6:7], null, v14, v3, 0
	;; [unrolled: 1-line block ×3, first 2 shown]
	s_delay_alu instid0(VALU_DEP_3) | instskip(NEXT) | instid1(VALU_DEP_4)
	v_add_co_u32 v0, vcc_lo, v15, v0
	v_add_co_ci_u32_e32 v1, vcc_lo, 0, v1, vcc_lo
	s_delay_alu instid0(VALU_DEP_2) | instskip(NEXT) | instid1(VALU_DEP_2)
	v_add_co_u32 v0, vcc_lo, v0, v6
	v_add_co_ci_u32_e32 v0, vcc_lo, v1, v7, vcc_lo
	v_add_co_ci_u32_e32 v1, vcc_lo, 0, v10, vcc_lo
	s_delay_alu instid0(VALU_DEP_2) | instskip(NEXT) | instid1(VALU_DEP_2)
	v_add_co_u32 v3, vcc_lo, v0, v9
	v_add_co_ci_u32_e32 v6, vcc_lo, 0, v1, vcc_lo
	s_delay_alu instid0(VALU_DEP_2) | instskip(SKIP_1) | instid1(VALU_DEP_3)
	v_mul_lo_u32 v7, s21, v3
	v_mad_u64_u32 v[0:1], null, s20, v3, 0
	v_mul_lo_u32 v9, s20, v6
	s_delay_alu instid0(VALU_DEP_2) | instskip(NEXT) | instid1(VALU_DEP_2)
	v_sub_co_u32 v0, vcc_lo, v12, v0
	v_add3_u32 v1, v1, v9, v7
	s_delay_alu instid0(VALU_DEP_1) | instskip(NEXT) | instid1(VALU_DEP_1)
	v_sub_nc_u32_e32 v7, v14, v1
	v_subrev_co_ci_u32_e64 v7, s0, s21, v7, vcc_lo
	v_add_co_u32 v9, s0, v3, 2
	s_delay_alu instid0(VALU_DEP_1) | instskip(SKIP_3) | instid1(VALU_DEP_3)
	v_add_co_ci_u32_e64 v10, s0, 0, v6, s0
	v_sub_co_u32 v12, s0, v0, s20
	v_sub_co_ci_u32_e32 v1, vcc_lo, v14, v1, vcc_lo
	v_subrev_co_ci_u32_e64 v7, s0, 0, v7, s0
	v_cmp_le_u32_e32 vcc_lo, s20, v12
	s_delay_alu instid0(VALU_DEP_3) | instskip(SKIP_1) | instid1(VALU_DEP_4)
	v_cmp_eq_u32_e64 s0, s21, v1
	v_cndmask_b32_e64 v12, 0, -1, vcc_lo
	v_cmp_le_u32_e32 vcc_lo, s21, v7
	v_cndmask_b32_e64 v13, 0, -1, vcc_lo
	v_cmp_le_u32_e32 vcc_lo, s20, v0
	;; [unrolled: 2-line block ×3, first 2 shown]
	v_cndmask_b32_e64 v14, 0, -1, vcc_lo
	v_cmp_eq_u32_e32 vcc_lo, s21, v7
	s_delay_alu instid0(VALU_DEP_2) | instskip(SKIP_3) | instid1(VALU_DEP_3)
	v_cndmask_b32_e64 v0, v14, v0, s0
	v_cndmask_b32_e32 v7, v13, v12, vcc_lo
	v_add_co_u32 v12, vcc_lo, v3, 1
	v_add_co_ci_u32_e32 v13, vcc_lo, 0, v6, vcc_lo
	v_cmp_ne_u32_e32 vcc_lo, 0, v7
	s_delay_alu instid0(VALU_DEP_2) | instskip(NEXT) | instid1(VALU_DEP_4)
	v_cndmask_b32_e32 v1, v13, v10, vcc_lo
	v_cndmask_b32_e32 v7, v12, v9, vcc_lo
	v_cmp_ne_u32_e32 vcc_lo, 0, v0
	v_xor_b32_e32 v9, s16, v11
	s_delay_alu instid0(VALU_DEP_3) | instskip(NEXT) | instid1(VALU_DEP_1)
	v_dual_cndmask_b32 v0, v6, v1 :: v_dual_cndmask_b32 v1, v3, v7
	v_xor_b32_e32 v3, v0, v9
	s_delay_alu instid0(VALU_DEP_2) | instskip(NEXT) | instid1(VALU_DEP_1)
	v_xor_b32_e32 v1, v1, v9
	v_sub_co_u32 v0, vcc_lo, v1, v9
	s_delay_alu instid0(VALU_DEP_3)
	v_sub_co_ci_u32_e32 v1, vcc_lo, v3, v9, vcc_lo
.LBB48_4:                               ;   in Loop: Header=BB48_2 Depth=1
	s_and_not1_saveexec_b32 s0, s19
; %bb.5:                                ;   in Loop: Header=BB48_2 Depth=1
	v_mul_hi_u32 v0, v4, v8
	s_delay_alu instid0(VALU_DEP_1) | instskip(SKIP_1) | instid1(VALU_DEP_2)
	v_mul_lo_u32 v1, v0, s8
	v_add_nc_u32_e32 v3, 1, v0
	v_sub_nc_u32_e32 v1, v4, v1
	s_delay_alu instid0(VALU_DEP_1) | instskip(SKIP_1) | instid1(VALU_DEP_2)
	v_subrev_nc_u32_e32 v6, s8, v1
	v_cmp_le_u32_e32 vcc_lo, s8, v1
	v_dual_cndmask_b32 v1, v1, v6 :: v_dual_cndmask_b32 v0, v0, v3
	s_delay_alu instid0(VALU_DEP_1) | instskip(NEXT) | instid1(VALU_DEP_2)
	v_cmp_le_u32_e32 vcc_lo, s8, v1
	v_add_nc_u32_e32 v3, 1, v0
	s_delay_alu instid0(VALU_DEP_1)
	v_dual_mov_b32 v1, v2 :: v_dual_cndmask_b32 v0, v0, v3
; %bb.6:                                ;   in Loop: Header=BB48_2 Depth=1
	s_or_b32 exec_lo, exec_lo, s0
	v_mov_b32_e32 v6, 0
	v_mov_b32_e32 v7, 0
	s_and_not1_b32 vcc_lo, exec_lo, s24
	s_cbranch_vccnz .LBB48_12
; %bb.7:                                ;   in Loop: Header=BB48_2 Depth=1
	v_mad_u64_u32 v[6:7], null, v0, s8, s[6:7]
	v_mul_lo_u32 v3, v0, s9
	v_mul_lo_u32 v9, v1, s8
	s_mov_b32 s0, exec_lo
	s_delay_alu instid0(VALU_DEP_1) | instskip(NEXT) | instid1(VALU_DEP_4)
	v_add3_u32 v3, v9, v7, v3
	v_sub_co_u32 v9, vcc_lo, v4, v6
                                        ; implicit-def: $vgpr6_vgpr7
	s_delay_alu instid0(VALU_DEP_2) | instskip(NEXT) | instid1(VALU_DEP_1)
	v_sub_co_ci_u32_e32 v10, vcc_lo, v5, v3, vcc_lo
	v_or_b32_e32 v3, s11, v10
	s_delay_alu instid0(VALU_DEP_1)
	v_cmpx_ne_u64_e32 0, v[2:3]
	s_xor_b32 s17, exec_lo, s0
	s_cbranch_execz .LBB48_9
; %bb.8:                                ;   in Loop: Header=BB48_2 Depth=1
	s_add_u32 s20, s10, s18
	s_mov_b32 s19, s18
	s_addc_u32 s21, s11, s18
	s_delay_alu instid0(SALU_CYCLE_1) | instskip(NEXT) | instid1(SALU_CYCLE_1)
	s_xor_b64 s[20:21], s[20:21], s[18:19]
	v_cvt_f32_u32_e32 v3, s20
	v_cvt_f32_u32_e32 v6, s21
	s_sub_u32 s0, 0, s20
	s_subb_u32 s19, 0, s21
	s_delay_alu instid0(VALU_DEP_1) | instskip(NEXT) | instid1(VALU_DEP_1)
	v_fmac_f32_e32 v3, 0x4f800000, v6
	v_rcp_f32_e32 v3, v3
	s_waitcnt_depctr 0xfff
	v_mul_f32_e32 v3, 0x5f7ffffc, v3
	s_delay_alu instid0(VALU_DEP_1) | instskip(NEXT) | instid1(VALU_DEP_1)
	v_mul_f32_e32 v6, 0x2f800000, v3
	v_trunc_f32_e32 v6, v6
	s_delay_alu instid0(VALU_DEP_1) | instskip(SKIP_1) | instid1(VALU_DEP_2)
	v_fmac_f32_e32 v3, 0xcf800000, v6
	v_cvt_u32_f32_e32 v6, v6
	v_cvt_u32_f32_e32 v3, v3
	s_delay_alu instid0(VALU_DEP_2) | instskip(NEXT) | instid1(VALU_DEP_2)
	v_mul_lo_u32 v7, s0, v6
	v_mul_hi_u32 v11, s0, v3
	v_mul_lo_u32 v12, s19, v3
	s_delay_alu instid0(VALU_DEP_2) | instskip(SKIP_1) | instid1(VALU_DEP_2)
	v_add_nc_u32_e32 v7, v11, v7
	v_mul_lo_u32 v11, s0, v3
	v_add_nc_u32_e32 v7, v7, v12
	s_delay_alu instid0(VALU_DEP_2) | instskip(NEXT) | instid1(VALU_DEP_2)
	v_mul_hi_u32 v12, v3, v11
	v_mul_lo_u32 v13, v3, v7
	v_mul_hi_u32 v14, v3, v7
	v_mul_hi_u32 v15, v6, v11
	v_mul_lo_u32 v11, v6, v11
	v_mul_hi_u32 v16, v6, v7
	v_mul_lo_u32 v7, v6, v7
	v_add_co_u32 v12, vcc_lo, v12, v13
	v_add_co_ci_u32_e32 v13, vcc_lo, 0, v14, vcc_lo
	s_delay_alu instid0(VALU_DEP_2) | instskip(NEXT) | instid1(VALU_DEP_2)
	v_add_co_u32 v11, vcc_lo, v12, v11
	v_add_co_ci_u32_e32 v11, vcc_lo, v13, v15, vcc_lo
	v_add_co_ci_u32_e32 v12, vcc_lo, 0, v16, vcc_lo
	v_ashrrev_i32_e32 v15, 31, v10
	s_delay_alu instid0(VALU_DEP_3) | instskip(NEXT) | instid1(VALU_DEP_3)
	v_add_co_u32 v7, vcc_lo, v11, v7
	v_add_co_ci_u32_e32 v11, vcc_lo, 0, v12, vcc_lo
	s_delay_alu instid0(VALU_DEP_2) | instskip(NEXT) | instid1(VALU_DEP_2)
	v_add_co_u32 v3, vcc_lo, v3, v7
	v_add_co_ci_u32_e32 v6, vcc_lo, v6, v11, vcc_lo
	s_delay_alu instid0(VALU_DEP_2) | instskip(SKIP_1) | instid1(VALU_DEP_3)
	v_mul_hi_u32 v7, s0, v3
	v_mul_lo_u32 v12, s19, v3
	v_mul_lo_u32 v11, s0, v6
	s_delay_alu instid0(VALU_DEP_1) | instskip(SKIP_1) | instid1(VALU_DEP_2)
	v_add_nc_u32_e32 v7, v7, v11
	v_mul_lo_u32 v11, s0, v3
	v_add_nc_u32_e32 v7, v7, v12
	s_delay_alu instid0(VALU_DEP_2) | instskip(NEXT) | instid1(VALU_DEP_2)
	v_mul_hi_u32 v12, v3, v11
	v_mul_lo_u32 v13, v3, v7
	v_mul_hi_u32 v14, v3, v7
	v_mul_hi_u32 v16, v6, v11
	v_mul_lo_u32 v11, v6, v11
	v_mul_hi_u32 v17, v6, v7
	v_mul_lo_u32 v7, v6, v7
	v_add_co_u32 v12, vcc_lo, v12, v13
	v_add_co_ci_u32_e32 v13, vcc_lo, 0, v14, vcc_lo
	s_delay_alu instid0(VALU_DEP_2) | instskip(NEXT) | instid1(VALU_DEP_2)
	v_add_co_u32 v11, vcc_lo, v12, v11
	v_add_co_ci_u32_e32 v11, vcc_lo, v13, v16, vcc_lo
	v_add_co_ci_u32_e32 v12, vcc_lo, 0, v17, vcc_lo
	v_add_co_u32 v9, vcc_lo, v9, v15
	v_add_co_ci_u32_e32 v10, vcc_lo, v10, v15, vcc_lo
	s_delay_alu instid0(VALU_DEP_4) | instskip(NEXT) | instid1(VALU_DEP_4)
	v_add_co_u32 v7, vcc_lo, v11, v7
	v_add_co_ci_u32_e32 v11, vcc_lo, 0, v12, vcc_lo
	s_delay_alu instid0(VALU_DEP_4) | instskip(NEXT) | instid1(VALU_DEP_3)
	v_xor_b32_e32 v13, v9, v15
	v_add_co_u32 v3, vcc_lo, v3, v7
	s_delay_alu instid0(VALU_DEP_3) | instskip(SKIP_1) | instid1(VALU_DEP_3)
	v_add_co_ci_u32_e32 v14, vcc_lo, v6, v11, vcc_lo
	v_xor_b32_e32 v16, v10, v15
	v_mul_hi_u32 v17, v13, v3
	s_delay_alu instid0(VALU_DEP_3) | instskip(NEXT) | instid1(VALU_DEP_3)
	v_mad_u64_u32 v[6:7], null, v13, v14, 0
	v_mad_u64_u32 v[9:10], null, v16, v3, 0
	;; [unrolled: 1-line block ×3, first 2 shown]
	s_delay_alu instid0(VALU_DEP_3) | instskip(NEXT) | instid1(VALU_DEP_4)
	v_add_co_u32 v3, vcc_lo, v17, v6
	v_add_co_ci_u32_e32 v6, vcc_lo, 0, v7, vcc_lo
	s_delay_alu instid0(VALU_DEP_2) | instskip(NEXT) | instid1(VALU_DEP_2)
	v_add_co_u32 v3, vcc_lo, v3, v9
	v_add_co_ci_u32_e32 v3, vcc_lo, v6, v10, vcc_lo
	v_add_co_ci_u32_e32 v6, vcc_lo, 0, v12, vcc_lo
	s_delay_alu instid0(VALU_DEP_2) | instskip(NEXT) | instid1(VALU_DEP_2)
	v_add_co_u32 v3, vcc_lo, v3, v11
	v_add_co_ci_u32_e32 v9, vcc_lo, 0, v6, vcc_lo
	s_delay_alu instid0(VALU_DEP_2) | instskip(SKIP_1) | instid1(VALU_DEP_3)
	v_mul_lo_u32 v10, s21, v3
	v_mad_u64_u32 v[6:7], null, s20, v3, 0
	v_mul_lo_u32 v3, s20, v9
	s_delay_alu instid0(VALU_DEP_2) | instskip(NEXT) | instid1(VALU_DEP_2)
	v_sub_co_u32 v6, vcc_lo, v13, v6
	v_add3_u32 v3, v7, v3, v10
	s_delay_alu instid0(VALU_DEP_1) | instskip(NEXT) | instid1(VALU_DEP_1)
	v_sub_nc_u32_e32 v7, v16, v3
	v_subrev_co_ci_u32_e64 v7, s0, s21, v7, vcc_lo
	v_sub_co_ci_u32_e32 v3, vcc_lo, v16, v3, vcc_lo
	v_sub_co_u32 v9, vcc_lo, v6, s20
	s_delay_alu instid0(VALU_DEP_1) | instskip(SKIP_3) | instid1(VALU_DEP_3)
	v_subrev_co_ci_u32_e64 v10, s0, 0, v7, vcc_lo
	v_cmp_le_u32_e64 s0, s20, v6
	v_subrev_co_ci_u32_e32 v7, vcc_lo, s21, v7, vcc_lo
	v_cmp_le_u32_e32 vcc_lo, s21, v3
	v_cndmask_b32_e64 v11, 0, -1, s0
	v_cmp_le_u32_e64 s0, s20, v9
	v_cndmask_b32_e64 v14, 0, -1, vcc_lo
	v_cmp_eq_u32_e32 vcc_lo, s21, v10
	s_delay_alu instid0(VALU_DEP_3) | instskip(SKIP_1) | instid1(VALU_DEP_1)
	v_cndmask_b32_e64 v12, 0, -1, s0
	v_cmp_le_u32_e64 s0, s21, v10
	v_cndmask_b32_e64 v13, 0, -1, s0
	v_cmp_eq_u32_e64 s0, s21, v3
	s_delay_alu instid0(VALU_DEP_2) | instskip(SKIP_2) | instid1(VALU_DEP_3)
	v_cndmask_b32_e32 v12, v13, v12, vcc_lo
	v_sub_co_u32 v13, vcc_lo, v9, s20
	v_subrev_co_ci_u32_e32 v7, vcc_lo, 0, v7, vcc_lo
	v_cmp_ne_u32_e32 vcc_lo, 0, v12
	v_cndmask_b32_e64 v11, v14, v11, s0
	s_delay_alu instid0(VALU_DEP_3) | instskip(SKIP_1) | instid1(VALU_DEP_3)
	v_cndmask_b32_e32 v7, v10, v7, vcc_lo
	v_cndmask_b32_e32 v9, v9, v13, vcc_lo
	v_cmp_ne_u32_e32 vcc_lo, 0, v11
	s_delay_alu instid0(VALU_DEP_2) | instskip(NEXT) | instid1(VALU_DEP_1)
	v_dual_cndmask_b32 v6, v6, v9 :: v_dual_cndmask_b32 v3, v3, v7
                                        ; implicit-def: $vgpr9
	v_xor_b32_e32 v6, v6, v15
	s_delay_alu instid0(VALU_DEP_2) | instskip(NEXT) | instid1(VALU_DEP_2)
	v_xor_b32_e32 v3, v3, v15
	v_sub_co_u32 v6, vcc_lo, v6, v15
	s_delay_alu instid0(VALU_DEP_2)
	v_sub_co_ci_u32_e32 v7, vcc_lo, v3, v15, vcc_lo
.LBB48_9:                               ;   in Loop: Header=BB48_2 Depth=1
	s_and_not1_saveexec_b32 s0, s17
	s_cbranch_execz .LBB48_11
; %bb.10:                               ;   in Loop: Header=BB48_2 Depth=1
	v_cvt_f32_u32_e32 v3, s10
	v_mov_b32_e32 v7, v2
	s_delay_alu instid0(VALU_DEP_2) | instskip(SKIP_2) | instid1(VALU_DEP_1)
	v_rcp_iflag_f32_e32 v3, v3
	s_waitcnt_depctr 0xfff
	v_mul_f32_e32 v3, 0x4f7ffffe, v3
	v_cvt_u32_f32_e32 v3, v3
	s_delay_alu instid0(VALU_DEP_1) | instskip(NEXT) | instid1(VALU_DEP_1)
	v_mul_lo_u32 v6, s25, v3
	v_mul_hi_u32 v6, v3, v6
	s_delay_alu instid0(VALU_DEP_1) | instskip(NEXT) | instid1(VALU_DEP_1)
	v_add_nc_u32_e32 v3, v3, v6
	v_mul_hi_u32 v3, v9, v3
	s_delay_alu instid0(VALU_DEP_1) | instskip(NEXT) | instid1(VALU_DEP_1)
	v_mul_lo_u32 v3, v3, s10
	v_sub_nc_u32_e32 v3, v9, v3
	s_delay_alu instid0(VALU_DEP_1) | instskip(SKIP_1) | instid1(VALU_DEP_2)
	v_subrev_nc_u32_e32 v6, s10, v3
	v_cmp_le_u32_e32 vcc_lo, s10, v3
	v_cndmask_b32_e32 v3, v3, v6, vcc_lo
	s_delay_alu instid0(VALU_DEP_1) | instskip(SKIP_1) | instid1(VALU_DEP_2)
	v_subrev_nc_u32_e32 v6, s10, v3
	v_cmp_le_u32_e32 vcc_lo, s10, v3
	v_cndmask_b32_e32 v6, v3, v6, vcc_lo
.LBB48_11:                              ;   in Loop: Header=BB48_2 Depth=1
	s_or_b32 exec_lo, exec_lo, s0
	s_delay_alu instid0(VALU_DEP_1) | instskip(NEXT) | instid1(VALU_DEP_1)
	v_ashrrev_i32_e32 v3, 31, v7
	v_and_b32_e32 v9, s10, v3
	v_and_b32_e32 v3, s11, v3
	s_delay_alu instid0(VALU_DEP_2) | instskip(NEXT) | instid1(VALU_DEP_2)
	v_add_co_u32 v6, vcc_lo, v9, v6
	v_add_co_ci_u32_e32 v7, vcc_lo, v3, v7, vcc_lo
	s_delay_alu instid0(VALU_DEP_2) | instskip(NEXT) | instid1(VALU_DEP_2)
	v_sub_co_u32 v3, vcc_lo, s10, v6
	v_sub_co_ci_u32_e32 v9, vcc_lo, s11, v7, vcc_lo
	v_cmp_gt_i64_e32 vcc_lo, s[4:5], v[6:7]
	s_delay_alu instid0(VALU_DEP_2)
	v_dual_cndmask_b32 v6, v3, v6 :: v_dual_cndmask_b32 v7, v9, v7
.LBB48_12:                              ;   in Loop: Header=BB48_2 Depth=1
	v_mul_lo_u32 v1, v1, s4
	v_mul_lo_u32 v3, v0, s5
	v_mad_u64_u32 v[9:10], null, v0, s4, 0
	s_delay_alu instid0(VALU_DEP_4) | instskip(SKIP_1) | instid1(VALU_DEP_2)
	v_lshlrev_b64 v[6:7], 2, v[6:7]
	s_mov_b32 s0, 0
	v_add3_u32 v10, v10, v3, v1
	s_delay_alu instid0(VALU_DEP_1) | instskip(SKIP_2) | instid1(VALU_DEP_2)
	v_lshlrev_b64 v[0:1], 2, v[9:10]
	v_lshlrev_b64 v[9:10], 2, v[4:5]
	s_waitcnt lgkmcnt(0)
	v_add_co_u32 v0, vcc_lo, s12, v0
	s_delay_alu instid0(VALU_DEP_3) | instskip(NEXT) | instid1(VALU_DEP_3)
	v_add_co_ci_u32_e32 v1, vcc_lo, s13, v1, vcc_lo
	v_add_co_u32 v9, vcc_lo, s14, v9
	s_delay_alu instid0(VALU_DEP_4) | instskip(NEXT) | instid1(VALU_DEP_4)
	v_add_co_ci_u32_e32 v10, vcc_lo, s15, v10, vcc_lo
	v_add_co_u32 v0, vcc_lo, v0, v6
	s_delay_alu instid0(VALU_DEP_4)
	v_add_co_ci_u32_e32 v1, vcc_lo, v1, v7, vcc_lo
	global_load_b32 v3, v[9:10], off
	global_load_b32 v7, v[0:1], off
.LBB48_13:                              ;   Parent Loop BB48_2 Depth=1
                                        ; =>  This Inner Loop Header: Depth=2
	s_waitcnt vmcnt(0)
	v_add_f32_e32 v6, v7, v3
	global_atomic_cmpswap_b32 v6, v[0:1], v[6:7], off glc
	s_waitcnt vmcnt(0)
	v_cmp_eq_u32_e32 vcc_lo, v6, v7
	v_mov_b32_e32 v7, v6
	s_or_b32 s0, vcc_lo, s0
	s_delay_alu instid0(SALU_CYCLE_1)
	s_and_not1_b32 exec_lo, exec_lo, s0
	s_cbranch_execnz .LBB48_13
; %bb.14:                               ;   in Loop: Header=BB48_2 Depth=1
	s_or_b32 exec_lo, exec_lo, s0
	v_add_co_u32 v4, vcc_lo, v4, s23
	v_add_co_ci_u32_e32 v5, vcc_lo, s1, v5, vcc_lo
	s_delay_alu instid0(VALU_DEP_1) | instskip(SKIP_1) | instid1(SALU_CYCLE_1)
	v_cmp_le_i64_e32 vcc_lo, s[2:3], v[4:5]
	s_or_b32 s22, vcc_lo, s22
	s_and_not1_b32 exec_lo, exec_lo, s22
	s_cbranch_execnz .LBB48_2
.LBB48_15:
	s_endpgm
	.section	.rodata,"a",@progbits
	.p2align	6, 0x0
	.amdhsa_kernel _ZN2at6native12_GLOBAL__N_130reflection_pad1d_backward_flatIfEEvPT_PKS3_llll
		.amdhsa_group_segment_fixed_size 0
		.amdhsa_private_segment_fixed_size 0
		.amdhsa_kernarg_size 304
		.amdhsa_user_sgpr_count 15
		.amdhsa_user_sgpr_dispatch_ptr 0
		.amdhsa_user_sgpr_queue_ptr 0
		.amdhsa_user_sgpr_kernarg_segment_ptr 1
		.amdhsa_user_sgpr_dispatch_id 0
		.amdhsa_user_sgpr_private_segment_size 0
		.amdhsa_wavefront_size32 1
		.amdhsa_uses_dynamic_stack 0
		.amdhsa_enable_private_segment 0
		.amdhsa_system_sgpr_workgroup_id_x 1
		.amdhsa_system_sgpr_workgroup_id_y 0
		.amdhsa_system_sgpr_workgroup_id_z 0
		.amdhsa_system_sgpr_workgroup_info 0
		.amdhsa_system_vgpr_workitem_id 0
		.amdhsa_next_free_vgpr 18
		.amdhsa_next_free_sgpr 26
		.amdhsa_reserve_vcc 1
		.amdhsa_float_round_mode_32 0
		.amdhsa_float_round_mode_16_64 0
		.amdhsa_float_denorm_mode_32 3
		.amdhsa_float_denorm_mode_16_64 3
		.amdhsa_dx10_clamp 1
		.amdhsa_ieee_mode 1
		.amdhsa_fp16_overflow 0
		.amdhsa_workgroup_processor_mode 1
		.amdhsa_memory_ordered 1
		.amdhsa_forward_progress 0
		.amdhsa_shared_vgpr_count 0
		.amdhsa_exception_fp_ieee_invalid_op 0
		.amdhsa_exception_fp_denorm_src 0
		.amdhsa_exception_fp_ieee_div_zero 0
		.amdhsa_exception_fp_ieee_overflow 0
		.amdhsa_exception_fp_ieee_underflow 0
		.amdhsa_exception_fp_ieee_inexact 0
		.amdhsa_exception_int_div_zero 0
	.end_amdhsa_kernel
	.section	.text._ZN2at6native12_GLOBAL__N_130reflection_pad1d_backward_flatIfEEvPT_PKS3_llll,"axG",@progbits,_ZN2at6native12_GLOBAL__N_130reflection_pad1d_backward_flatIfEEvPT_PKS3_llll,comdat
.Lfunc_end48:
	.size	_ZN2at6native12_GLOBAL__N_130reflection_pad1d_backward_flatIfEEvPT_PKS3_llll, .Lfunc_end48-_ZN2at6native12_GLOBAL__N_130reflection_pad1d_backward_flatIfEEvPT_PKS3_llll
                                        ; -- End function
	.section	.AMDGPU.csdata,"",@progbits
; Kernel info:
; codeLenInByte = 2472
; NumSgprs: 28
; NumVgprs: 18
; ScratchSize: 0
; MemoryBound: 0
; FloatMode: 240
; IeeeMode: 1
; LDSByteSize: 0 bytes/workgroup (compile time only)
; SGPRBlocks: 3
; VGPRBlocks: 2
; NumSGPRsForWavesPerEU: 28
; NumVGPRsForWavesPerEU: 18
; Occupancy: 16
; WaveLimiterHint : 0
; COMPUTE_PGM_RSRC2:SCRATCH_EN: 0
; COMPUTE_PGM_RSRC2:USER_SGPR: 15
; COMPUTE_PGM_RSRC2:TRAP_HANDLER: 0
; COMPUTE_PGM_RSRC2:TGID_X_EN: 1
; COMPUTE_PGM_RSRC2:TGID_Y_EN: 0
; COMPUTE_PGM_RSRC2:TGID_Z_EN: 0
; COMPUTE_PGM_RSRC2:TIDIG_COMP_CNT: 0
	.section	.text._ZN2at6native12_GLOBAL__N_136reflection_pad1d_backward_out_kernelIN3c107complexIdEEEEvPT_PKS6_lll,"axG",@progbits,_ZN2at6native12_GLOBAL__N_136reflection_pad1d_backward_out_kernelIN3c107complexIdEEEEvPT_PKS6_lll,comdat
	.globl	_ZN2at6native12_GLOBAL__N_136reflection_pad1d_backward_out_kernelIN3c107complexIdEEEEvPT_PKS6_lll ; -- Begin function _ZN2at6native12_GLOBAL__N_136reflection_pad1d_backward_out_kernelIN3c107complexIdEEEEvPT_PKS6_lll
	.p2align	8
	.type	_ZN2at6native12_GLOBAL__N_136reflection_pad1d_backward_out_kernelIN3c107complexIdEEEEvPT_PKS6_lll,@function
_ZN2at6native12_GLOBAL__N_136reflection_pad1d_backward_out_kernelIN3c107complexIdEEEEvPT_PKS6_lll: ; @_ZN2at6native12_GLOBAL__N_136reflection_pad1d_backward_out_kernelIN3c107complexIdEEEEvPT_PKS6_lll
; %bb.0:
	s_clause 0x2
	s_load_b32 s12, s[0:1], 0x34
	s_load_b256 s[4:11], s[0:1], 0x0
	s_load_b64 s[16:17], s[0:1], 0x20
	v_mov_b32_e32 v1, 0
	s_add_u32 s2, s0, 40
	s_addc_u32 s3, s1, 0
	s_waitcnt lgkmcnt(0)
	s_and_b32 s0, s12, 0xffff
	s_add_u32 s12, s10, s8
	v_mad_u64_u32 v[2:3], null, s0, s13, v[0:1]
	s_addc_u32 s13, s11, s9
	s_add_u32 s0, s12, s16
	s_addc_u32 s1, s13, s17
	s_mov_b32 s16, exec_lo
	s_delay_alu instid0(VALU_DEP_1)
	v_cmpx_gt_i64_e64 s[0:1], v[2:3]
	s_cbranch_execz .LBB49_5
; %bb.1:
	s_load_b32 s16, s[2:3], 0x4
	v_sub_co_u32 v0, vcc_lo, v2, s12
	v_subrev_co_ci_u32_e32 v1, vcc_lo, s13, v3, vcc_lo
	v_sub_co_u32 v4, vcc_lo, v2, s10
	v_subrev_co_ci_u32_e32 v5, vcc_lo, s11, v3, vcc_lo
	s_delay_alu instid0(VALU_DEP_4) | instskip(NEXT) | instid1(VALU_DEP_4)
	v_add_co_u32 v0, vcc_lo, v0, 1
	v_add_co_ci_u32_e32 v1, vcc_lo, 0, v1, vcc_lo
	s_sub_u32 s2, 0, s10
	s_subb_u32 s3, 0, s11
	v_cmp_gt_i64_e64 s17, s[10:11], 0
	s_delay_alu instid0(VALU_DEP_2)
	v_ashrrev_i32_e32 v6, 31, v1
	v_ashrrev_i32_e32 v7, 31, v5
	s_waitcnt lgkmcnt(0)
	s_mul_i32 s15, s16, s15
	v_cmp_gt_i64_e64 s16, s[2:3], 0
	s_add_i32 s14, s15, s14
	v_xor_b32_e32 v0, v0, v6
	s_mul_i32 s9, s14, s9
	s_mul_hi_u32 s15, s14, s8
	s_mul_i32 s1, s1, s14
	s_mul_hi_u32 s18, s0, s14
	v_xor_b32_e32 v1, v1, v6
	s_add_i32 s9, s15, s9
	s_add_i32 s1, s18, s1
	s_and_b32 s15, s16, exec_lo
	s_cselect_b32 s15, s3, 0
	s_cselect_b32 s16, s2, 0
	s_and_b32 s2, s17, exec_lo
	v_sub_co_u32 v0, vcc_lo, v0, v6
	s_cselect_b32 s3, s11, 0
	s_cselect_b32 s2, s10, 0
	v_sub_co_ci_u32_e32 v1, vcc_lo, v1, v6, vcc_lo
	s_not_b64 s[2:3], s[2:3]
	s_add_u32 s10, s12, s10
	s_addc_u32 s11, s13, s11
	v_add_co_u32 v0, vcc_lo, v2, v0
	s_add_u32 s2, s10, s2
	s_addc_u32 s3, s11, s3
	v_add_co_ci_u32_e32 v1, vcc_lo, v3, v1, vcc_lo
	s_add_u32 s2, s2, s16
	v_xor_b32_e32 v4, v4, v7
	s_addc_u32 s3, s3, s15
	v_sub_co_u32 v0, vcc_lo, s2, v0
	v_xor_b32_e32 v5, v5, v7
	v_sub_co_ci_u32_e32 v1, vcc_lo, s3, v1, vcc_lo
	v_sub_co_u32 v4, vcc_lo, v4, v7
	s_delay_alu instid0(VALU_DEP_3) | instskip(NEXT) | instid1(VALU_DEP_3)
	v_sub_co_ci_u32_e32 v5, vcc_lo, v5, v7, vcc_lo
	v_lshlrev_b64 v[0:1], 4, v[0:1]
	s_mul_i32 s0, s0, s14
	s_mul_i32 s8, s14, s8
	s_delay_alu instid0(VALU_DEP_2)
	v_lshlrev_b64 v[4:5], 4, v[4:5]
	s_lshl_b64 s[0:1], s[0:1], 4
	s_lshl_b64 s[2:3], s[8:9], 4
	v_add_co_u32 v0, vcc_lo, s4, v0
	v_add_co_ci_u32_e32 v1, vcc_lo, s5, v1, vcc_lo
	s_add_u32 s0, s6, s0
	s_delay_alu instid0(VALU_DEP_2) | instskip(NEXT) | instid1(VALU_DEP_2)
	v_add_co_u32 v4, vcc_lo, v0, v4
	v_add_co_ci_u32_e32 v5, vcc_lo, v1, v5, vcc_lo
	v_lshlrev_b64 v[0:1], 4, v[2:3]
	s_addc_u32 s1, s7, s1
	s_delay_alu instid0(VALU_DEP_1) | instskip(NEXT) | instid1(VALU_DEP_2)
	v_add_co_u32 v0, vcc_lo, s0, v0
	v_add_co_ci_u32_e32 v1, vcc_lo, s1, v1, vcc_lo
	v_add_co_u32 v8, vcc_lo, v4, s2
	v_add_co_ci_u32_e32 v9, vcc_lo, s3, v5, vcc_lo
	global_load_b128 v[0:3], v[0:1], off
	global_load_b64 v[6:7], v[8:9], off
	s_mov_b32 s0, 0
.LBB49_2:                               ; =>This Inner Loop Header: Depth=1
	s_waitcnt vmcnt(0)
	v_add_f64 v[4:5], v[6:7], v[0:1]
	global_atomic_cmpswap_b64 v[4:5], v[8:9], v[4:7], off glc
	s_waitcnt vmcnt(0)
	v_cmp_eq_u64_e32 vcc_lo, v[4:5], v[6:7]
	v_dual_mov_b32 v7, v5 :: v_dual_mov_b32 v6, v4
	s_or_b32 s0, vcc_lo, s0
	s_delay_alu instid0(SALU_CYCLE_1)
	s_and_not1_b32 exec_lo, exec_lo, s0
	s_cbranch_execnz .LBB49_2
; %bb.3:
	s_or_b32 exec_lo, exec_lo, s0
	global_load_b64 v[6:7], v[8:9], off offset:8
	s_mov_b32 s0, 0
.LBB49_4:                               ; =>This Inner Loop Header: Depth=1
	s_waitcnt vmcnt(0)
	v_add_f64 v[4:5], v[6:7], v[2:3]
	global_atomic_cmpswap_b64 v[0:1], v[8:9], v[4:7], off offset:8 glc
	s_waitcnt vmcnt(0)
	v_cmp_eq_u64_e32 vcc_lo, v[0:1], v[6:7]
	v_dual_mov_b32 v7, v1 :: v_dual_mov_b32 v6, v0
	s_or_b32 s0, vcc_lo, s0
	s_delay_alu instid0(SALU_CYCLE_1)
	s_and_not1_b32 exec_lo, exec_lo, s0
	s_cbranch_execnz .LBB49_4
.LBB49_5:
	s_endpgm
	.section	.rodata,"a",@progbits
	.p2align	6, 0x0
	.amdhsa_kernel _ZN2at6native12_GLOBAL__N_136reflection_pad1d_backward_out_kernelIN3c107complexIdEEEEvPT_PKS6_lll
		.amdhsa_group_segment_fixed_size 0
		.amdhsa_private_segment_fixed_size 0
		.amdhsa_kernarg_size 296
		.amdhsa_user_sgpr_count 13
		.amdhsa_user_sgpr_dispatch_ptr 0
		.amdhsa_user_sgpr_queue_ptr 0
		.amdhsa_user_sgpr_kernarg_segment_ptr 1
		.amdhsa_user_sgpr_dispatch_id 0
		.amdhsa_user_sgpr_private_segment_size 0
		.amdhsa_wavefront_size32 1
		.amdhsa_uses_dynamic_stack 0
		.amdhsa_enable_private_segment 0
		.amdhsa_system_sgpr_workgroup_id_x 1
		.amdhsa_system_sgpr_workgroup_id_y 1
		.amdhsa_system_sgpr_workgroup_id_z 1
		.amdhsa_system_sgpr_workgroup_info 0
		.amdhsa_system_vgpr_workitem_id 0
		.amdhsa_next_free_vgpr 10
		.amdhsa_next_free_sgpr 19
		.amdhsa_reserve_vcc 1
		.amdhsa_float_round_mode_32 0
		.amdhsa_float_round_mode_16_64 0
		.amdhsa_float_denorm_mode_32 3
		.amdhsa_float_denorm_mode_16_64 3
		.amdhsa_dx10_clamp 1
		.amdhsa_ieee_mode 1
		.amdhsa_fp16_overflow 0
		.amdhsa_workgroup_processor_mode 1
		.amdhsa_memory_ordered 1
		.amdhsa_forward_progress 0
		.amdhsa_shared_vgpr_count 0
		.amdhsa_exception_fp_ieee_invalid_op 0
		.amdhsa_exception_fp_denorm_src 0
		.amdhsa_exception_fp_ieee_div_zero 0
		.amdhsa_exception_fp_ieee_overflow 0
		.amdhsa_exception_fp_ieee_underflow 0
		.amdhsa_exception_fp_ieee_inexact 0
		.amdhsa_exception_int_div_zero 0
	.end_amdhsa_kernel
	.section	.text._ZN2at6native12_GLOBAL__N_136reflection_pad1d_backward_out_kernelIN3c107complexIdEEEEvPT_PKS6_lll,"axG",@progbits,_ZN2at6native12_GLOBAL__N_136reflection_pad1d_backward_out_kernelIN3c107complexIdEEEEvPT_PKS6_lll,comdat
.Lfunc_end49:
	.size	_ZN2at6native12_GLOBAL__N_136reflection_pad1d_backward_out_kernelIN3c107complexIdEEEEvPT_PKS6_lll, .Lfunc_end49-_ZN2at6native12_GLOBAL__N_136reflection_pad1d_backward_out_kernelIN3c107complexIdEEEEvPT_PKS6_lll
                                        ; -- End function
	.section	.AMDGPU.csdata,"",@progbits
; Kernel info:
; codeLenInByte = 588
; NumSgprs: 21
; NumVgprs: 10
; ScratchSize: 0
; MemoryBound: 0
; FloatMode: 240
; IeeeMode: 1
; LDSByteSize: 0 bytes/workgroup (compile time only)
; SGPRBlocks: 2
; VGPRBlocks: 1
; NumSGPRsForWavesPerEU: 21
; NumVGPRsForWavesPerEU: 10
; Occupancy: 16
; WaveLimiterHint : 0
; COMPUTE_PGM_RSRC2:SCRATCH_EN: 0
; COMPUTE_PGM_RSRC2:USER_SGPR: 13
; COMPUTE_PGM_RSRC2:TRAP_HANDLER: 0
; COMPUTE_PGM_RSRC2:TGID_X_EN: 1
; COMPUTE_PGM_RSRC2:TGID_Y_EN: 1
; COMPUTE_PGM_RSRC2:TGID_Z_EN: 1
; COMPUTE_PGM_RSRC2:TIDIG_COMP_CNT: 0
	.section	.text._ZN2at6native12_GLOBAL__N_130reflection_pad1d_backward_flatIN3c107complexIdEEEEvPT_PKS6_llll,"axG",@progbits,_ZN2at6native12_GLOBAL__N_130reflection_pad1d_backward_flatIN3c107complexIdEEEEvPT_PKS6_llll,comdat
	.globl	_ZN2at6native12_GLOBAL__N_130reflection_pad1d_backward_flatIN3c107complexIdEEEEvPT_PKS6_llll ; -- Begin function _ZN2at6native12_GLOBAL__N_130reflection_pad1d_backward_flatIN3c107complexIdEEEEvPT_PKS6_llll
	.p2align	8
	.type	_ZN2at6native12_GLOBAL__N_130reflection_pad1d_backward_flatIN3c107complexIdEEEEvPT_PKS6_llll,@function
_ZN2at6native12_GLOBAL__N_130reflection_pad1d_backward_flatIN3c107complexIdEEEEvPT_PKS6_llll: ; @_ZN2at6native12_GLOBAL__N_130reflection_pad1d_backward_flatIN3c107complexIdEEEEvPT_PKS6_llll
; %bb.0:
	s_clause 0x1
	s_load_b32 s2, s[0:1], 0x3c
	s_load_b256 s[4:11], s[0:1], 0x10
	v_mov_b32_e32 v8, 0
	s_add_u32 s12, s0, 48
	s_addc_u32 s13, s1, 0
	s_mov_b32 s22, 0
	s_delay_alu instid0(VALU_DEP_1) | instskip(SKIP_3) | instid1(VALU_DEP_1)
	v_mov_b32_e32 v1, v8
	s_waitcnt lgkmcnt(0)
	s_and_b32 s16, s2, 0xffff
	s_mul_i32 s2, s10, s9
	v_mad_u64_u32 v[10:11], null, s16, s15, v[0:1]
	s_mul_hi_u32 s3, s10, s8
	s_delay_alu instid0(SALU_CYCLE_1) | instskip(SKIP_1) | instid1(SALU_CYCLE_1)
	s_add_i32 s2, s3, s2
	s_mul_i32 s3, s11, s8
	s_add_i32 s3, s2, s3
	s_mul_i32 s2, s10, s8
	s_mov_b32 s10, exec_lo
	s_delay_alu instid0(VALU_DEP_1)
	v_cmpx_gt_i64_e64 s[2:3], v[10:11]
	s_cbranch_execz .LBB50_17
; %bb.1:
	v_cvt_f32_u32_e32 v0, s8
	s_lshl_b64 s[10:11], s[4:5], 1
	s_load_b32 s17, s[12:13], 0x0
	s_add_u32 s10, s10, -2
	s_addc_u32 s11, s11, -1
	v_rcp_iflag_f32_e32 v0, v0
	s_sub_i32 s12, 0, s8
	v_cmp_gt_i64_e64 s24, s[10:11], 0
	s_ashr_i32 s18, s11, 31
	s_sub_i32 s25, 0, s10
	s_waitcnt_depctr 0xfff
	v_mul_f32_e32 v0, 0x4f7ffffe, v0
	s_delay_alu instid0(VALU_DEP_1) | instskip(SKIP_2) | instid1(VALU_DEP_1)
	v_cvt_u32_f32_e32 v0, v0
	s_waitcnt lgkmcnt(0)
	s_mul_i32 s23, s16, s17
	v_mul_lo_u32 v1, s12, v0
	s_load_b128 s[12:15], s[0:1], 0x0
	s_mul_hi_u32 s1, s16, s17
	s_ashr_i32 s16, s9, 31
	s_delay_alu instid0(VALU_DEP_1) | instskip(NEXT) | instid1(VALU_DEP_1)
	v_mul_hi_u32 v1, v0, v1
	v_add_nc_u32_e32 v14, v0, v1
.LBB50_2:                               ; =>This Loop Header: Depth=1
                                        ;     Child Loop BB50_13 Depth 2
                                        ;     Child Loop BB50_15 Depth 2
	v_or_b32_e32 v9, s9, v11
                                        ; implicit-def: $vgpr0_vgpr1
	s_mov_b32 s0, exec_lo
	s_delay_alu instid0(VALU_DEP_1)
	v_cmpx_ne_u64_e32 0, v[8:9]
	s_xor_b32 s19, exec_lo, s0
	s_cbranch_execz .LBB50_4
; %bb.3:                                ;   in Loop: Header=BB50_2 Depth=1
	s_add_u32 s20, s8, s16
	s_mov_b32 s17, s16
	s_addc_u32 s21, s9, s16
	s_delay_alu instid0(SALU_CYCLE_1) | instskip(NEXT) | instid1(SALU_CYCLE_1)
	s_xor_b64 s[20:21], s[20:21], s[16:17]
	v_cvt_f32_u32_e32 v0, s20
	v_cvt_f32_u32_e32 v1, s21
	s_sub_u32 s0, 0, s20
	s_subb_u32 s17, 0, s21
	s_delay_alu instid0(VALU_DEP_1) | instskip(NEXT) | instid1(VALU_DEP_1)
	v_fmac_f32_e32 v0, 0x4f800000, v1
	v_rcp_f32_e32 v0, v0
	s_waitcnt_depctr 0xfff
	v_mul_f32_e32 v0, 0x5f7ffffc, v0
	s_delay_alu instid0(VALU_DEP_1) | instskip(NEXT) | instid1(VALU_DEP_1)
	v_mul_f32_e32 v1, 0x2f800000, v0
	v_trunc_f32_e32 v1, v1
	s_delay_alu instid0(VALU_DEP_1) | instskip(SKIP_1) | instid1(VALU_DEP_2)
	v_fmac_f32_e32 v0, 0xcf800000, v1
	v_cvt_u32_f32_e32 v1, v1
	v_cvt_u32_f32_e32 v0, v0
	s_delay_alu instid0(VALU_DEP_2) | instskip(NEXT) | instid1(VALU_DEP_2)
	v_mul_lo_u32 v2, s0, v1
	v_mul_hi_u32 v3, s0, v0
	v_mul_lo_u32 v4, s17, v0
	s_delay_alu instid0(VALU_DEP_2) | instskip(SKIP_1) | instid1(VALU_DEP_2)
	v_add_nc_u32_e32 v2, v3, v2
	v_mul_lo_u32 v3, s0, v0
	v_add_nc_u32_e32 v2, v2, v4
	s_delay_alu instid0(VALU_DEP_2) | instskip(NEXT) | instid1(VALU_DEP_2)
	v_mul_hi_u32 v4, v0, v3
	v_mul_lo_u32 v5, v0, v2
	v_mul_hi_u32 v6, v0, v2
	v_mul_hi_u32 v7, v1, v3
	v_mul_lo_u32 v3, v1, v3
	v_mul_hi_u32 v9, v1, v2
	v_mul_lo_u32 v2, v1, v2
	v_add_co_u32 v4, vcc_lo, v4, v5
	v_add_co_ci_u32_e32 v5, vcc_lo, 0, v6, vcc_lo
	s_delay_alu instid0(VALU_DEP_2) | instskip(NEXT) | instid1(VALU_DEP_2)
	v_add_co_u32 v3, vcc_lo, v4, v3
	v_add_co_ci_u32_e32 v3, vcc_lo, v5, v7, vcc_lo
	v_add_co_ci_u32_e32 v4, vcc_lo, 0, v9, vcc_lo
	v_ashrrev_i32_e32 v7, 31, v11
	s_delay_alu instid0(VALU_DEP_3) | instskip(NEXT) | instid1(VALU_DEP_3)
	v_add_co_u32 v2, vcc_lo, v3, v2
	v_add_co_ci_u32_e32 v3, vcc_lo, 0, v4, vcc_lo
	s_delay_alu instid0(VALU_DEP_2) | instskip(NEXT) | instid1(VALU_DEP_2)
	v_add_co_u32 v0, vcc_lo, v0, v2
	v_add_co_ci_u32_e32 v1, vcc_lo, v1, v3, vcc_lo
	s_delay_alu instid0(VALU_DEP_2) | instskip(SKIP_1) | instid1(VALU_DEP_3)
	v_mul_hi_u32 v2, s0, v0
	v_mul_lo_u32 v4, s17, v0
	v_mul_lo_u32 v3, s0, v1
	s_delay_alu instid0(VALU_DEP_1) | instskip(SKIP_1) | instid1(VALU_DEP_2)
	v_add_nc_u32_e32 v2, v2, v3
	v_mul_lo_u32 v3, s0, v0
	v_add_nc_u32_e32 v2, v2, v4
	s_delay_alu instid0(VALU_DEP_2) | instskip(NEXT) | instid1(VALU_DEP_2)
	v_mul_hi_u32 v4, v0, v3
	v_mul_lo_u32 v5, v0, v2
	v_mul_hi_u32 v6, v0, v2
	v_mul_hi_u32 v9, v1, v3
	v_mul_lo_u32 v3, v1, v3
	v_mul_hi_u32 v12, v1, v2
	v_mul_lo_u32 v2, v1, v2
	v_add_co_u32 v4, vcc_lo, v4, v5
	v_add_co_ci_u32_e32 v5, vcc_lo, 0, v6, vcc_lo
	s_delay_alu instid0(VALU_DEP_2) | instskip(NEXT) | instid1(VALU_DEP_2)
	v_add_co_u32 v3, vcc_lo, v4, v3
	v_add_co_ci_u32_e32 v3, vcc_lo, v5, v9, vcc_lo
	v_add_co_ci_u32_e32 v4, vcc_lo, 0, v12, vcc_lo
	v_add_co_u32 v5, vcc_lo, v10, v7
	v_add_co_ci_u32_e32 v6, vcc_lo, v11, v7, vcc_lo
	s_delay_alu instid0(VALU_DEP_4) | instskip(NEXT) | instid1(VALU_DEP_4)
	v_add_co_u32 v2, vcc_lo, v3, v2
	v_add_co_ci_u32_e32 v3, vcc_lo, 0, v4, vcc_lo
	s_delay_alu instid0(VALU_DEP_4) | instskip(NEXT) | instid1(VALU_DEP_3)
	v_xor_b32_e32 v9, v5, v7
	v_add_co_u32 v4, vcc_lo, v0, v2
	s_delay_alu instid0(VALU_DEP_3) | instskip(SKIP_1) | instid1(VALU_DEP_3)
	v_add_co_ci_u32_e32 v12, vcc_lo, v1, v3, vcc_lo
	v_xor_b32_e32 v6, v6, v7
	v_mul_hi_u32 v13, v9, v4
	s_delay_alu instid0(VALU_DEP_3) | instskip(NEXT) | instid1(VALU_DEP_3)
	v_mad_u64_u32 v[0:1], null, v9, v12, 0
	v_mad_u64_u32 v[2:3], null, v6, v4, 0
	;; [unrolled: 1-line block ×3, first 2 shown]
	s_delay_alu instid0(VALU_DEP_3) | instskip(NEXT) | instid1(VALU_DEP_4)
	v_add_co_u32 v0, vcc_lo, v13, v0
	v_add_co_ci_u32_e32 v1, vcc_lo, 0, v1, vcc_lo
	s_delay_alu instid0(VALU_DEP_2) | instskip(NEXT) | instid1(VALU_DEP_2)
	v_add_co_u32 v0, vcc_lo, v0, v2
	v_add_co_ci_u32_e32 v0, vcc_lo, v1, v3, vcc_lo
	v_add_co_ci_u32_e32 v1, vcc_lo, 0, v5, vcc_lo
	s_delay_alu instid0(VALU_DEP_2) | instskip(NEXT) | instid1(VALU_DEP_2)
	v_add_co_u32 v2, vcc_lo, v0, v4
	v_add_co_ci_u32_e32 v3, vcc_lo, 0, v1, vcc_lo
	s_delay_alu instid0(VALU_DEP_2) | instskip(SKIP_1) | instid1(VALU_DEP_3)
	v_mul_lo_u32 v4, s21, v2
	v_mad_u64_u32 v[0:1], null, s20, v2, 0
	v_mul_lo_u32 v5, s20, v3
	s_delay_alu instid0(VALU_DEP_2) | instskip(NEXT) | instid1(VALU_DEP_2)
	v_sub_co_u32 v0, vcc_lo, v9, v0
	v_add3_u32 v1, v1, v5, v4
	s_delay_alu instid0(VALU_DEP_1) | instskip(NEXT) | instid1(VALU_DEP_1)
	v_sub_nc_u32_e32 v4, v6, v1
	v_subrev_co_ci_u32_e64 v4, s0, s21, v4, vcc_lo
	v_add_co_u32 v5, s0, v2, 2
	s_delay_alu instid0(VALU_DEP_1) | instskip(SKIP_3) | instid1(VALU_DEP_3)
	v_add_co_ci_u32_e64 v9, s0, 0, v3, s0
	v_sub_co_u32 v12, s0, v0, s20
	v_sub_co_ci_u32_e32 v1, vcc_lo, v6, v1, vcc_lo
	v_subrev_co_ci_u32_e64 v4, s0, 0, v4, s0
	v_cmp_le_u32_e32 vcc_lo, s20, v12
	s_delay_alu instid0(VALU_DEP_3) | instskip(SKIP_1) | instid1(VALU_DEP_4)
	v_cmp_eq_u32_e64 s0, s21, v1
	v_cndmask_b32_e64 v6, 0, -1, vcc_lo
	v_cmp_le_u32_e32 vcc_lo, s21, v4
	v_cndmask_b32_e64 v12, 0, -1, vcc_lo
	v_cmp_le_u32_e32 vcc_lo, s20, v0
	;; [unrolled: 2-line block ×3, first 2 shown]
	v_cndmask_b32_e64 v13, 0, -1, vcc_lo
	v_cmp_eq_u32_e32 vcc_lo, s21, v4
	s_delay_alu instid0(VALU_DEP_2) | instskip(SKIP_3) | instid1(VALU_DEP_3)
	v_cndmask_b32_e64 v0, v13, v0, s0
	v_cndmask_b32_e32 v4, v12, v6, vcc_lo
	v_add_co_u32 v6, vcc_lo, v2, 1
	v_add_co_ci_u32_e32 v12, vcc_lo, 0, v3, vcc_lo
	v_cmp_ne_u32_e32 vcc_lo, 0, v4
	s_delay_alu instid0(VALU_DEP_2) | instskip(NEXT) | instid1(VALU_DEP_4)
	v_cndmask_b32_e32 v1, v12, v9, vcc_lo
	v_cndmask_b32_e32 v4, v6, v5, vcc_lo
	v_cmp_ne_u32_e32 vcc_lo, 0, v0
	v_xor_b32_e32 v5, s16, v7
	s_delay_alu instid0(VALU_DEP_3) | instskip(NEXT) | instid1(VALU_DEP_1)
	v_dual_cndmask_b32 v0, v3, v1 :: v_dual_cndmask_b32 v1, v2, v4
	v_xor_b32_e32 v2, v0, v5
	s_delay_alu instid0(VALU_DEP_2) | instskip(NEXT) | instid1(VALU_DEP_1)
	v_xor_b32_e32 v1, v1, v5
	v_sub_co_u32 v0, vcc_lo, v1, v5
	s_delay_alu instid0(VALU_DEP_3)
	v_sub_co_ci_u32_e32 v1, vcc_lo, v2, v5, vcc_lo
.LBB50_4:                               ;   in Loop: Header=BB50_2 Depth=1
	s_and_not1_saveexec_b32 s0, s19
; %bb.5:                                ;   in Loop: Header=BB50_2 Depth=1
	v_mul_hi_u32 v0, v10, v14
	s_delay_alu instid0(VALU_DEP_1) | instskip(NEXT) | instid1(VALU_DEP_1)
	v_mul_lo_u32 v1, v0, s8
	v_sub_nc_u32_e32 v1, v10, v1
	s_delay_alu instid0(VALU_DEP_1) | instskip(SKIP_1) | instid1(VALU_DEP_2)
	v_subrev_nc_u32_e32 v3, s8, v1
	v_cmp_le_u32_e32 vcc_lo, s8, v1
	v_dual_cndmask_b32 v1, v1, v3 :: v_dual_add_nc_u32 v2, 1, v0
	s_delay_alu instid0(VALU_DEP_1) | instskip(NEXT) | instid1(VALU_DEP_2)
	v_cndmask_b32_e32 v0, v0, v2, vcc_lo
	v_cmp_le_u32_e32 vcc_lo, s8, v1
	s_delay_alu instid0(VALU_DEP_2) | instskip(NEXT) | instid1(VALU_DEP_1)
	v_dual_mov_b32 v1, v8 :: v_dual_add_nc_u32 v2, 1, v0
	v_cndmask_b32_e32 v0, v0, v2, vcc_lo
; %bb.6:                                ;   in Loop: Header=BB50_2 Depth=1
	s_or_b32 exec_lo, exec_lo, s0
	v_mov_b32_e32 v2, 0
	v_mov_b32_e32 v3, 0
	s_and_not1_b32 vcc_lo, exec_lo, s24
	s_cbranch_vccnz .LBB50_12
; %bb.7:                                ;   in Loop: Header=BB50_2 Depth=1
	v_mad_u64_u32 v[2:3], null, v0, s8, s[6:7]
	v_mul_lo_u32 v4, v0, s9
	v_mul_lo_u32 v5, v1, s8
	s_mov_b32 s0, exec_lo
	s_delay_alu instid0(VALU_DEP_1) | instskip(NEXT) | instid1(VALU_DEP_4)
	v_add3_u32 v3, v5, v3, v4
	v_sub_co_u32 v4, vcc_lo, v10, v2
	s_delay_alu instid0(VALU_DEP_2) | instskip(NEXT) | instid1(VALU_DEP_1)
	v_sub_co_ci_u32_e32 v5, vcc_lo, v11, v3, vcc_lo
                                        ; implicit-def: $vgpr2_vgpr3
	v_or_b32_e32 v9, s11, v5
	s_delay_alu instid0(VALU_DEP_1)
	v_cmpx_ne_u64_e32 0, v[8:9]
	s_xor_b32 s17, exec_lo, s0
	s_cbranch_execz .LBB50_9
; %bb.8:                                ;   in Loop: Header=BB50_2 Depth=1
	s_add_u32 s20, s10, s18
	s_mov_b32 s19, s18
	s_addc_u32 s21, s11, s18
	s_delay_alu instid0(SALU_CYCLE_1) | instskip(NEXT) | instid1(SALU_CYCLE_1)
	s_xor_b64 s[20:21], s[20:21], s[18:19]
	v_cvt_f32_u32_e32 v2, s20
	v_cvt_f32_u32_e32 v3, s21
	s_sub_u32 s0, 0, s20
	s_subb_u32 s19, 0, s21
	s_delay_alu instid0(VALU_DEP_1) | instskip(NEXT) | instid1(VALU_DEP_1)
	v_fmac_f32_e32 v2, 0x4f800000, v3
	v_rcp_f32_e32 v2, v2
	s_waitcnt_depctr 0xfff
	v_mul_f32_e32 v2, 0x5f7ffffc, v2
	s_delay_alu instid0(VALU_DEP_1) | instskip(NEXT) | instid1(VALU_DEP_1)
	v_mul_f32_e32 v3, 0x2f800000, v2
	v_trunc_f32_e32 v3, v3
	s_delay_alu instid0(VALU_DEP_1) | instskip(SKIP_1) | instid1(VALU_DEP_2)
	v_fmac_f32_e32 v2, 0xcf800000, v3
	v_cvt_u32_f32_e32 v3, v3
	v_cvt_u32_f32_e32 v2, v2
	s_delay_alu instid0(VALU_DEP_2) | instskip(NEXT) | instid1(VALU_DEP_2)
	v_mul_lo_u32 v6, s0, v3
	v_mul_hi_u32 v7, s0, v2
	v_mul_lo_u32 v9, s19, v2
	s_delay_alu instid0(VALU_DEP_2) | instskip(SKIP_1) | instid1(VALU_DEP_2)
	v_add_nc_u32_e32 v6, v7, v6
	v_mul_lo_u32 v7, s0, v2
	v_add_nc_u32_e32 v6, v6, v9
	s_delay_alu instid0(VALU_DEP_2) | instskip(NEXT) | instid1(VALU_DEP_2)
	v_mul_hi_u32 v9, v2, v7
	v_mul_lo_u32 v12, v2, v6
	v_mul_hi_u32 v13, v2, v6
	v_mul_hi_u32 v15, v3, v7
	v_mul_lo_u32 v7, v3, v7
	v_mul_hi_u32 v16, v3, v6
	v_mul_lo_u32 v6, v3, v6
	v_add_co_u32 v9, vcc_lo, v9, v12
	v_add_co_ci_u32_e32 v12, vcc_lo, 0, v13, vcc_lo
	s_delay_alu instid0(VALU_DEP_2) | instskip(NEXT) | instid1(VALU_DEP_2)
	v_add_co_u32 v7, vcc_lo, v9, v7
	v_add_co_ci_u32_e32 v7, vcc_lo, v12, v15, vcc_lo
	v_add_co_ci_u32_e32 v9, vcc_lo, 0, v16, vcc_lo
	v_ashrrev_i32_e32 v15, 31, v5
	s_delay_alu instid0(VALU_DEP_3) | instskip(NEXT) | instid1(VALU_DEP_3)
	v_add_co_u32 v6, vcc_lo, v7, v6
	v_add_co_ci_u32_e32 v7, vcc_lo, 0, v9, vcc_lo
	s_delay_alu instid0(VALU_DEP_2) | instskip(NEXT) | instid1(VALU_DEP_2)
	v_add_co_u32 v2, vcc_lo, v2, v6
	v_add_co_ci_u32_e32 v3, vcc_lo, v3, v7, vcc_lo
	s_delay_alu instid0(VALU_DEP_2) | instskip(SKIP_1) | instid1(VALU_DEP_3)
	v_mul_hi_u32 v6, s0, v2
	v_mul_lo_u32 v9, s19, v2
	v_mul_lo_u32 v7, s0, v3
	s_delay_alu instid0(VALU_DEP_1) | instskip(SKIP_1) | instid1(VALU_DEP_2)
	v_add_nc_u32_e32 v6, v6, v7
	v_mul_lo_u32 v7, s0, v2
	v_add_nc_u32_e32 v6, v6, v9
	s_delay_alu instid0(VALU_DEP_2) | instskip(NEXT) | instid1(VALU_DEP_2)
	v_mul_hi_u32 v9, v2, v7
	v_mul_lo_u32 v12, v2, v6
	v_mul_hi_u32 v13, v2, v6
	v_mul_hi_u32 v16, v3, v7
	v_mul_lo_u32 v7, v3, v7
	v_mul_hi_u32 v17, v3, v6
	v_mul_lo_u32 v6, v3, v6
	v_add_co_u32 v9, vcc_lo, v9, v12
	v_add_co_ci_u32_e32 v12, vcc_lo, 0, v13, vcc_lo
	s_delay_alu instid0(VALU_DEP_2) | instskip(NEXT) | instid1(VALU_DEP_2)
	v_add_co_u32 v7, vcc_lo, v9, v7
	v_add_co_ci_u32_e32 v7, vcc_lo, v12, v16, vcc_lo
	v_add_co_ci_u32_e32 v9, vcc_lo, 0, v17, vcc_lo
	v_add_co_u32 v4, vcc_lo, v4, v15
	v_add_co_ci_u32_e32 v5, vcc_lo, v5, v15, vcc_lo
	s_delay_alu instid0(VALU_DEP_4) | instskip(NEXT) | instid1(VALU_DEP_4)
	v_add_co_u32 v6, vcc_lo, v7, v6
	v_add_co_ci_u32_e32 v7, vcc_lo, 0, v9, vcc_lo
	s_delay_alu instid0(VALU_DEP_4) | instskip(NEXT) | instid1(VALU_DEP_3)
	v_xor_b32_e32 v9, v4, v15
	v_add_co_u32 v6, vcc_lo, v2, v6
	s_delay_alu instid0(VALU_DEP_3) | instskip(SKIP_1) | instid1(VALU_DEP_3)
	v_add_co_ci_u32_e32 v12, vcc_lo, v3, v7, vcc_lo
	v_xor_b32_e32 v13, v5, v15
	v_mul_hi_u32 v16, v9, v6
	s_delay_alu instid0(VALU_DEP_3) | instskip(NEXT) | instid1(VALU_DEP_3)
	v_mad_u64_u32 v[2:3], null, v9, v12, 0
	v_mad_u64_u32 v[4:5], null, v13, v6, 0
	;; [unrolled: 1-line block ×3, first 2 shown]
	s_delay_alu instid0(VALU_DEP_3) | instskip(NEXT) | instid1(VALU_DEP_4)
	v_add_co_u32 v2, vcc_lo, v16, v2
	v_add_co_ci_u32_e32 v3, vcc_lo, 0, v3, vcc_lo
	s_delay_alu instid0(VALU_DEP_2) | instskip(NEXT) | instid1(VALU_DEP_2)
	v_add_co_u32 v2, vcc_lo, v2, v4
	v_add_co_ci_u32_e32 v2, vcc_lo, v3, v5, vcc_lo
	v_add_co_ci_u32_e32 v3, vcc_lo, 0, v7, vcc_lo
	s_delay_alu instid0(VALU_DEP_2) | instskip(NEXT) | instid1(VALU_DEP_2)
	v_add_co_u32 v4, vcc_lo, v2, v6
	v_add_co_ci_u32_e32 v5, vcc_lo, 0, v3, vcc_lo
	s_delay_alu instid0(VALU_DEP_2) | instskip(SKIP_1) | instid1(VALU_DEP_3)
	v_mul_lo_u32 v6, s21, v4
	v_mad_u64_u32 v[2:3], null, s20, v4, 0
	v_mul_lo_u32 v4, s20, v5
	s_delay_alu instid0(VALU_DEP_2) | instskip(NEXT) | instid1(VALU_DEP_2)
	v_sub_co_u32 v2, vcc_lo, v9, v2
	v_add3_u32 v3, v3, v4, v6
	s_delay_alu instid0(VALU_DEP_1) | instskip(NEXT) | instid1(VALU_DEP_1)
	v_sub_nc_u32_e32 v4, v13, v3
	v_subrev_co_ci_u32_e64 v4, s0, s21, v4, vcc_lo
	v_sub_co_ci_u32_e32 v3, vcc_lo, v13, v3, vcc_lo
	v_sub_co_u32 v5, vcc_lo, v2, s20
	s_delay_alu instid0(VALU_DEP_1) | instskip(SKIP_3) | instid1(VALU_DEP_3)
	v_subrev_co_ci_u32_e64 v6, s0, 0, v4, vcc_lo
	v_cmp_le_u32_e64 s0, s20, v2
	v_subrev_co_ci_u32_e32 v4, vcc_lo, s21, v4, vcc_lo
	v_cmp_le_u32_e32 vcc_lo, s21, v3
	v_cndmask_b32_e64 v7, 0, -1, s0
	v_cmp_le_u32_e64 s0, s20, v5
	v_cndmask_b32_e64 v13, 0, -1, vcc_lo
	v_cmp_eq_u32_e32 vcc_lo, s21, v6
	s_delay_alu instid0(VALU_DEP_3) | instskip(SKIP_1) | instid1(VALU_DEP_1)
	v_cndmask_b32_e64 v9, 0, -1, s0
	v_cmp_le_u32_e64 s0, s21, v6
	v_cndmask_b32_e64 v12, 0, -1, s0
	v_cmp_eq_u32_e64 s0, s21, v3
	s_delay_alu instid0(VALU_DEP_2) | instskip(SKIP_2) | instid1(VALU_DEP_3)
	v_cndmask_b32_e32 v9, v12, v9, vcc_lo
	v_sub_co_u32 v12, vcc_lo, v5, s20
	v_subrev_co_ci_u32_e32 v4, vcc_lo, 0, v4, vcc_lo
	v_cmp_ne_u32_e32 vcc_lo, 0, v9
	v_cndmask_b32_e64 v7, v13, v7, s0
	s_delay_alu instid0(VALU_DEP_3) | instskip(SKIP_1) | instid1(VALU_DEP_3)
	v_cndmask_b32_e32 v4, v6, v4, vcc_lo
	v_cndmask_b32_e32 v5, v5, v12, vcc_lo
	v_cmp_ne_u32_e32 vcc_lo, 0, v7
	s_delay_alu instid0(VALU_DEP_2) | instskip(NEXT) | instid1(VALU_DEP_1)
	v_dual_cndmask_b32 v3, v3, v4 :: v_dual_cndmask_b32 v2, v2, v5
                                        ; implicit-def: $vgpr4
	v_xor_b32_e32 v3, v3, v15
	s_delay_alu instid0(VALU_DEP_2) | instskip(NEXT) | instid1(VALU_DEP_1)
	v_xor_b32_e32 v2, v2, v15
	v_sub_co_u32 v2, vcc_lo, v2, v15
	s_delay_alu instid0(VALU_DEP_3)
	v_sub_co_ci_u32_e32 v3, vcc_lo, v3, v15, vcc_lo
.LBB50_9:                               ;   in Loop: Header=BB50_2 Depth=1
	s_and_not1_saveexec_b32 s0, s17
	s_cbranch_execz .LBB50_11
; %bb.10:                               ;   in Loop: Header=BB50_2 Depth=1
	v_cvt_f32_u32_e32 v2, s10
	s_delay_alu instid0(VALU_DEP_1) | instskip(SKIP_2) | instid1(VALU_DEP_1)
	v_rcp_iflag_f32_e32 v2, v2
	s_waitcnt_depctr 0xfff
	v_mul_f32_e32 v2, 0x4f7ffffe, v2
	v_cvt_u32_f32_e32 v2, v2
	s_delay_alu instid0(VALU_DEP_1) | instskip(NEXT) | instid1(VALU_DEP_1)
	v_mul_lo_u32 v3, s25, v2
	v_mul_hi_u32 v3, v2, v3
	s_delay_alu instid0(VALU_DEP_1) | instskip(NEXT) | instid1(VALU_DEP_1)
	v_add_nc_u32_e32 v2, v2, v3
	v_mul_hi_u32 v2, v4, v2
	s_delay_alu instid0(VALU_DEP_1) | instskip(NEXT) | instid1(VALU_DEP_1)
	v_mul_lo_u32 v2, v2, s10
	v_sub_nc_u32_e32 v2, v4, v2
	s_delay_alu instid0(VALU_DEP_1) | instskip(SKIP_1) | instid1(VALU_DEP_2)
	v_subrev_nc_u32_e32 v3, s10, v2
	v_cmp_le_u32_e32 vcc_lo, s10, v2
	v_cndmask_b32_e32 v2, v2, v3, vcc_lo
	s_delay_alu instid0(VALU_DEP_1) | instskip(SKIP_1) | instid1(VALU_DEP_2)
	v_subrev_nc_u32_e32 v3, s10, v2
	v_cmp_le_u32_e32 vcc_lo, s10, v2
	v_dual_cndmask_b32 v2, v2, v3 :: v_dual_mov_b32 v3, v8
.LBB50_11:                              ;   in Loop: Header=BB50_2 Depth=1
	s_or_b32 exec_lo, exec_lo, s0
	s_delay_alu instid0(VALU_DEP_1) | instskip(NEXT) | instid1(VALU_DEP_1)
	v_ashrrev_i32_e32 v4, 31, v3
	v_and_b32_e32 v5, s10, v4
	v_and_b32_e32 v4, s11, v4
	s_delay_alu instid0(VALU_DEP_2) | instskip(NEXT) | instid1(VALU_DEP_2)
	v_add_co_u32 v2, vcc_lo, v5, v2
	v_add_co_ci_u32_e32 v3, vcc_lo, v4, v3, vcc_lo
	s_delay_alu instid0(VALU_DEP_2) | instskip(NEXT) | instid1(VALU_DEP_2)
	v_sub_co_u32 v4, vcc_lo, s10, v2
	v_sub_co_ci_u32_e32 v5, vcc_lo, s11, v3, vcc_lo
	v_cmp_gt_i64_e32 vcc_lo, s[4:5], v[2:3]
	s_delay_alu instid0(VALU_DEP_2)
	v_dual_cndmask_b32 v3, v5, v3 :: v_dual_cndmask_b32 v2, v4, v2
.LBB50_12:                              ;   in Loop: Header=BB50_2 Depth=1
	v_mul_lo_u32 v1, v1, s4
	v_mul_lo_u32 v6, v0, s5
	v_mad_u64_u32 v[4:5], null, v0, s4, 0
	s_delay_alu instid0(VALU_DEP_4) | instskip(SKIP_1) | instid1(VALU_DEP_2)
	v_lshlrev_b64 v[2:3], 4, v[2:3]
	s_mov_b32 s0, 0
	v_add3_u32 v5, v5, v6, v1
	s_delay_alu instid0(VALU_DEP_1) | instskip(SKIP_2) | instid1(VALU_DEP_2)
	v_lshlrev_b64 v[0:1], 4, v[4:5]
	v_lshlrev_b64 v[4:5], 4, v[10:11]
	s_waitcnt lgkmcnt(0)
	v_add_co_u32 v6, vcc_lo, s12, v0
	s_delay_alu instid0(VALU_DEP_3) | instskip(NEXT) | instid1(VALU_DEP_3)
	v_add_co_ci_u32_e32 v7, vcc_lo, s13, v1, vcc_lo
	v_add_co_u32 v0, vcc_lo, s14, v4
	s_delay_alu instid0(VALU_DEP_4) | instskip(NEXT) | instid1(VALU_DEP_4)
	v_add_co_ci_u32_e32 v1, vcc_lo, s15, v5, vcc_lo
	v_add_co_u32 v12, vcc_lo, v6, v2
	s_delay_alu instid0(VALU_DEP_4)
	v_add_co_ci_u32_e32 v13, vcc_lo, v7, v3, vcc_lo
	global_load_b128 v[0:3], v[0:1], off
	global_load_b64 v[6:7], v[12:13], off
.LBB50_13:                              ;   Parent Loop BB50_2 Depth=1
                                        ; =>  This Inner Loop Header: Depth=2
	s_waitcnt vmcnt(0)
	v_add_f64 v[4:5], v[6:7], v[0:1]
	global_atomic_cmpswap_b64 v[4:5], v[12:13], v[4:7], off glc
	s_waitcnt vmcnt(0)
	v_cmp_eq_u64_e32 vcc_lo, v[4:5], v[6:7]
	v_dual_mov_b32 v7, v5 :: v_dual_mov_b32 v6, v4
	s_or_b32 s0, vcc_lo, s0
	s_delay_alu instid0(SALU_CYCLE_1)
	s_and_not1_b32 exec_lo, exec_lo, s0
	s_cbranch_execnz .LBB50_13
; %bb.14:                               ;   in Loop: Header=BB50_2 Depth=1
	s_or_b32 exec_lo, exec_lo, s0
	global_load_b64 v[6:7], v[12:13], off offset:8
	s_mov_b32 s0, 0
.LBB50_15:                              ;   Parent Loop BB50_2 Depth=1
                                        ; =>  This Inner Loop Header: Depth=2
	s_waitcnt vmcnt(0)
	v_add_f64 v[4:5], v[6:7], v[2:3]
	global_atomic_cmpswap_b64 v[0:1], v[12:13], v[4:7], off offset:8 glc
	s_waitcnt vmcnt(0)
	v_cmp_eq_u64_e32 vcc_lo, v[0:1], v[6:7]
	v_dual_mov_b32 v7, v1 :: v_dual_mov_b32 v6, v0
	s_or_b32 s0, vcc_lo, s0
	s_delay_alu instid0(SALU_CYCLE_1)
	s_and_not1_b32 exec_lo, exec_lo, s0
	s_cbranch_execnz .LBB50_15
; %bb.16:                               ;   in Loop: Header=BB50_2 Depth=1
	s_or_b32 exec_lo, exec_lo, s0
	v_add_co_u32 v10, vcc_lo, v10, s23
	v_add_co_ci_u32_e32 v11, vcc_lo, s1, v11, vcc_lo
	s_delay_alu instid0(VALU_DEP_1) | instskip(SKIP_1) | instid1(SALU_CYCLE_1)
	v_cmp_le_i64_e32 vcc_lo, s[2:3], v[10:11]
	s_or_b32 s22, vcc_lo, s22
	s_and_not1_b32 exec_lo, exec_lo, s22
	s_cbranch_execnz .LBB50_2
.LBB50_17:
	s_endpgm
	.section	.rodata,"a",@progbits
	.p2align	6, 0x0
	.amdhsa_kernel _ZN2at6native12_GLOBAL__N_130reflection_pad1d_backward_flatIN3c107complexIdEEEEvPT_PKS6_llll
		.amdhsa_group_segment_fixed_size 0
		.amdhsa_private_segment_fixed_size 0
		.amdhsa_kernarg_size 304
		.amdhsa_user_sgpr_count 15
		.amdhsa_user_sgpr_dispatch_ptr 0
		.amdhsa_user_sgpr_queue_ptr 0
		.amdhsa_user_sgpr_kernarg_segment_ptr 1
		.amdhsa_user_sgpr_dispatch_id 0
		.amdhsa_user_sgpr_private_segment_size 0
		.amdhsa_wavefront_size32 1
		.amdhsa_uses_dynamic_stack 0
		.amdhsa_enable_private_segment 0
		.amdhsa_system_sgpr_workgroup_id_x 1
		.amdhsa_system_sgpr_workgroup_id_y 0
		.amdhsa_system_sgpr_workgroup_id_z 0
		.amdhsa_system_sgpr_workgroup_info 0
		.amdhsa_system_vgpr_workitem_id 0
		.amdhsa_next_free_vgpr 18
		.amdhsa_next_free_sgpr 26
		.amdhsa_reserve_vcc 1
		.amdhsa_float_round_mode_32 0
		.amdhsa_float_round_mode_16_64 0
		.amdhsa_float_denorm_mode_32 3
		.amdhsa_float_denorm_mode_16_64 3
		.amdhsa_dx10_clamp 1
		.amdhsa_ieee_mode 1
		.amdhsa_fp16_overflow 0
		.amdhsa_workgroup_processor_mode 1
		.amdhsa_memory_ordered 1
		.amdhsa_forward_progress 0
		.amdhsa_shared_vgpr_count 0
		.amdhsa_exception_fp_ieee_invalid_op 0
		.amdhsa_exception_fp_denorm_src 0
		.amdhsa_exception_fp_ieee_div_zero 0
		.amdhsa_exception_fp_ieee_overflow 0
		.amdhsa_exception_fp_ieee_underflow 0
		.amdhsa_exception_fp_ieee_inexact 0
		.amdhsa_exception_int_div_zero 0
	.end_amdhsa_kernel
	.section	.text._ZN2at6native12_GLOBAL__N_130reflection_pad1d_backward_flatIN3c107complexIdEEEEvPT_PKS6_llll,"axG",@progbits,_ZN2at6native12_GLOBAL__N_130reflection_pad1d_backward_flatIN3c107complexIdEEEEvPT_PKS6_llll,comdat
.Lfunc_end50:
	.size	_ZN2at6native12_GLOBAL__N_130reflection_pad1d_backward_flatIN3c107complexIdEEEEvPT_PKS6_llll, .Lfunc_end50-_ZN2at6native12_GLOBAL__N_130reflection_pad1d_backward_flatIN3c107complexIdEEEEvPT_PKS6_llll
                                        ; -- End function
	.section	.AMDGPU.csdata,"",@progbits
; Kernel info:
; codeLenInByte = 2548
; NumSgprs: 28
; NumVgprs: 18
; ScratchSize: 0
; MemoryBound: 0
; FloatMode: 240
; IeeeMode: 1
; LDSByteSize: 0 bytes/workgroup (compile time only)
; SGPRBlocks: 3
; VGPRBlocks: 2
; NumSGPRsForWavesPerEU: 28
; NumVGPRsForWavesPerEU: 18
; Occupancy: 16
; WaveLimiterHint : 0
; COMPUTE_PGM_RSRC2:SCRATCH_EN: 0
; COMPUTE_PGM_RSRC2:USER_SGPR: 15
; COMPUTE_PGM_RSRC2:TRAP_HANDLER: 0
; COMPUTE_PGM_RSRC2:TGID_X_EN: 1
; COMPUTE_PGM_RSRC2:TGID_Y_EN: 0
; COMPUTE_PGM_RSRC2:TGID_Z_EN: 0
; COMPUTE_PGM_RSRC2:TIDIG_COMP_CNT: 0
	.section	.text._ZN2at6native12_GLOBAL__N_136reflection_pad1d_backward_out_kernelIN3c107complexIfEEEEvPT_PKS6_lll,"axG",@progbits,_ZN2at6native12_GLOBAL__N_136reflection_pad1d_backward_out_kernelIN3c107complexIfEEEEvPT_PKS6_lll,comdat
	.globl	_ZN2at6native12_GLOBAL__N_136reflection_pad1d_backward_out_kernelIN3c107complexIfEEEEvPT_PKS6_lll ; -- Begin function _ZN2at6native12_GLOBAL__N_136reflection_pad1d_backward_out_kernelIN3c107complexIfEEEEvPT_PKS6_lll
	.p2align	8
	.type	_ZN2at6native12_GLOBAL__N_136reflection_pad1d_backward_out_kernelIN3c107complexIfEEEEvPT_PKS6_lll,@function
_ZN2at6native12_GLOBAL__N_136reflection_pad1d_backward_out_kernelIN3c107complexIfEEEEvPT_PKS6_lll: ; @_ZN2at6native12_GLOBAL__N_136reflection_pad1d_backward_out_kernelIN3c107complexIfEEEEvPT_PKS6_lll
; %bb.0:
	s_clause 0x2
	s_load_b32 s12, s[0:1], 0x34
	s_load_b256 s[4:11], s[0:1], 0x0
	s_load_b64 s[16:17], s[0:1], 0x20
	v_mov_b32_e32 v1, 0
	s_add_u32 s2, s0, 40
	s_addc_u32 s3, s1, 0
	s_waitcnt lgkmcnt(0)
	s_and_b32 s0, s12, 0xffff
	s_add_u32 s12, s10, s8
	v_mad_u64_u32 v[2:3], null, s0, s13, v[0:1]
	s_addc_u32 s13, s11, s9
	s_add_u32 s0, s12, s16
	s_addc_u32 s1, s13, s17
	s_mov_b32 s16, exec_lo
	s_delay_alu instid0(VALU_DEP_1)
	v_cmpx_gt_i64_e64 s[0:1], v[2:3]
	s_cbranch_execz .LBB51_5
; %bb.1:
	s_load_b32 s16, s[2:3], 0x4
	v_sub_co_u32 v0, vcc_lo, v2, s12
	v_subrev_co_ci_u32_e32 v1, vcc_lo, s13, v3, vcc_lo
	v_sub_co_u32 v4, vcc_lo, v2, s10
	v_subrev_co_ci_u32_e32 v5, vcc_lo, s11, v3, vcc_lo
	s_delay_alu instid0(VALU_DEP_4) | instskip(NEXT) | instid1(VALU_DEP_4)
	v_add_co_u32 v0, vcc_lo, v0, 1
	v_add_co_ci_u32_e32 v1, vcc_lo, 0, v1, vcc_lo
	s_sub_u32 s2, 0, s10
	s_subb_u32 s3, 0, s11
	v_cmp_gt_i64_e64 s17, s[10:11], 0
	s_delay_alu instid0(VALU_DEP_2)
	v_ashrrev_i32_e32 v6, 31, v1
	v_ashrrev_i32_e32 v7, 31, v5
	s_waitcnt lgkmcnt(0)
	s_mul_i32 s15, s16, s15
	v_cmp_gt_i64_e64 s16, s[2:3], 0
	s_add_i32 s14, s15, s14
	v_xor_b32_e32 v0, v0, v6
	s_mul_i32 s9, s14, s9
	s_mul_hi_u32 s15, s14, s8
	s_mul_i32 s1, s1, s14
	s_mul_hi_u32 s18, s0, s14
	v_xor_b32_e32 v1, v1, v6
	s_add_i32 s9, s15, s9
	s_add_i32 s1, s18, s1
	s_and_b32 s15, s16, exec_lo
	s_cselect_b32 s15, s3, 0
	s_cselect_b32 s16, s2, 0
	s_and_b32 s2, s17, exec_lo
	v_sub_co_u32 v0, vcc_lo, v0, v6
	s_cselect_b32 s3, s11, 0
	s_cselect_b32 s2, s10, 0
	v_sub_co_ci_u32_e32 v1, vcc_lo, v1, v6, vcc_lo
	s_not_b64 s[2:3], s[2:3]
	s_add_u32 s10, s12, s10
	s_addc_u32 s11, s13, s11
	v_add_co_u32 v0, vcc_lo, v2, v0
	s_add_u32 s2, s10, s2
	s_addc_u32 s3, s11, s3
	v_add_co_ci_u32_e32 v1, vcc_lo, v3, v1, vcc_lo
	s_add_u32 s2, s2, s16
	v_xor_b32_e32 v4, v4, v7
	s_addc_u32 s3, s3, s15
	v_sub_co_u32 v0, vcc_lo, s2, v0
	v_xor_b32_e32 v5, v5, v7
	v_sub_co_ci_u32_e32 v1, vcc_lo, s3, v1, vcc_lo
	v_sub_co_u32 v4, vcc_lo, v4, v7
	s_delay_alu instid0(VALU_DEP_3) | instskip(NEXT) | instid1(VALU_DEP_3)
	v_sub_co_ci_u32_e32 v5, vcc_lo, v5, v7, vcc_lo
	v_lshlrev_b64 v[0:1], 3, v[0:1]
	s_mul_i32 s0, s0, s14
	s_mul_i32 s8, s14, s8
	s_delay_alu instid0(VALU_DEP_2)
	v_lshlrev_b64 v[4:5], 3, v[4:5]
	s_lshl_b64 s[0:1], s[0:1], 3
	s_lshl_b64 s[2:3], s[8:9], 3
	v_add_co_u32 v0, vcc_lo, s4, v0
	v_add_co_ci_u32_e32 v1, vcc_lo, s5, v1, vcc_lo
	s_add_u32 s0, s6, s0
	s_delay_alu instid0(VALU_DEP_2) | instskip(NEXT) | instid1(VALU_DEP_2)
	v_add_co_u32 v4, vcc_lo, v0, v4
	v_add_co_ci_u32_e32 v5, vcc_lo, v1, v5, vcc_lo
	v_lshlrev_b64 v[0:1], 3, v[2:3]
	s_addc_u32 s1, s7, s1
	s_delay_alu instid0(VALU_DEP_1) | instskip(NEXT) | instid1(VALU_DEP_2)
	v_add_co_u32 v2, vcc_lo, s0, v0
	v_add_co_ci_u32_e32 v3, vcc_lo, s1, v1, vcc_lo
	v_add_co_u32 v0, vcc_lo, v4, s2
	v_add_co_ci_u32_e32 v1, vcc_lo, s3, v5, vcc_lo
	global_load_b64 v[2:3], v[2:3], off
	global_load_b32 v5, v[0:1], off
	s_mov_b32 s0, 0
.LBB51_2:                               ; =>This Inner Loop Header: Depth=1
	s_waitcnt vmcnt(0)
	v_add_f32_e32 v4, v5, v2
	global_atomic_cmpswap_b32 v4, v[0:1], v[4:5], off glc
	s_waitcnt vmcnt(0)
	v_cmp_eq_u32_e32 vcc_lo, v4, v5
	v_mov_b32_e32 v5, v4
	s_or_b32 s0, vcc_lo, s0
	s_delay_alu instid0(SALU_CYCLE_1)
	s_and_not1_b32 exec_lo, exec_lo, s0
	s_cbranch_execnz .LBB51_2
; %bb.3:
	s_or_b32 exec_lo, exec_lo, s0
	global_load_b32 v5, v[0:1], off offset:4
	s_mov_b32 s0, 0
.LBB51_4:                               ; =>This Inner Loop Header: Depth=1
	s_waitcnt vmcnt(0)
	v_add_f32_e32 v4, v5, v3
	global_atomic_cmpswap_b32 v2, v[0:1], v[4:5], off offset:4 glc
	s_waitcnt vmcnt(0)
	v_cmp_eq_u32_e32 vcc_lo, v2, v5
	v_mov_b32_e32 v5, v2
	s_or_b32 s0, vcc_lo, s0
	s_delay_alu instid0(SALU_CYCLE_1)
	s_and_not1_b32 exec_lo, exec_lo, s0
	s_cbranch_execnz .LBB51_4
.LBB51_5:
	s_endpgm
	.section	.rodata,"a",@progbits
	.p2align	6, 0x0
	.amdhsa_kernel _ZN2at6native12_GLOBAL__N_136reflection_pad1d_backward_out_kernelIN3c107complexIfEEEEvPT_PKS6_lll
		.amdhsa_group_segment_fixed_size 0
		.amdhsa_private_segment_fixed_size 0
		.amdhsa_kernarg_size 296
		.amdhsa_user_sgpr_count 13
		.amdhsa_user_sgpr_dispatch_ptr 0
		.amdhsa_user_sgpr_queue_ptr 0
		.amdhsa_user_sgpr_kernarg_segment_ptr 1
		.amdhsa_user_sgpr_dispatch_id 0
		.amdhsa_user_sgpr_private_segment_size 0
		.amdhsa_wavefront_size32 1
		.amdhsa_uses_dynamic_stack 0
		.amdhsa_enable_private_segment 0
		.amdhsa_system_sgpr_workgroup_id_x 1
		.amdhsa_system_sgpr_workgroup_id_y 1
		.amdhsa_system_sgpr_workgroup_id_z 1
		.amdhsa_system_sgpr_workgroup_info 0
		.amdhsa_system_vgpr_workitem_id 0
		.amdhsa_next_free_vgpr 8
		.amdhsa_next_free_sgpr 19
		.amdhsa_reserve_vcc 1
		.amdhsa_float_round_mode_32 0
		.amdhsa_float_round_mode_16_64 0
		.amdhsa_float_denorm_mode_32 3
		.amdhsa_float_denorm_mode_16_64 3
		.amdhsa_dx10_clamp 1
		.amdhsa_ieee_mode 1
		.amdhsa_fp16_overflow 0
		.amdhsa_workgroup_processor_mode 1
		.amdhsa_memory_ordered 1
		.amdhsa_forward_progress 0
		.amdhsa_shared_vgpr_count 0
		.amdhsa_exception_fp_ieee_invalid_op 0
		.amdhsa_exception_fp_denorm_src 0
		.amdhsa_exception_fp_ieee_div_zero 0
		.amdhsa_exception_fp_ieee_overflow 0
		.amdhsa_exception_fp_ieee_underflow 0
		.amdhsa_exception_fp_ieee_inexact 0
		.amdhsa_exception_int_div_zero 0
	.end_amdhsa_kernel
	.section	.text._ZN2at6native12_GLOBAL__N_136reflection_pad1d_backward_out_kernelIN3c107complexIfEEEEvPT_PKS6_lll,"axG",@progbits,_ZN2at6native12_GLOBAL__N_136reflection_pad1d_backward_out_kernelIN3c107complexIfEEEEvPT_PKS6_lll,comdat
.Lfunc_end51:
	.size	_ZN2at6native12_GLOBAL__N_136reflection_pad1d_backward_out_kernelIN3c107complexIfEEEEvPT_PKS6_lll, .Lfunc_end51-_ZN2at6native12_GLOBAL__N_136reflection_pad1d_backward_out_kernelIN3c107complexIfEEEEvPT_PKS6_lll
                                        ; -- End function
	.section	.AMDGPU.csdata,"",@progbits
; Kernel info:
; codeLenInByte = 572
; NumSgprs: 21
; NumVgprs: 8
; ScratchSize: 0
; MemoryBound: 0
; FloatMode: 240
; IeeeMode: 1
; LDSByteSize: 0 bytes/workgroup (compile time only)
; SGPRBlocks: 2
; VGPRBlocks: 0
; NumSGPRsForWavesPerEU: 21
; NumVGPRsForWavesPerEU: 8
; Occupancy: 16
; WaveLimiterHint : 0
; COMPUTE_PGM_RSRC2:SCRATCH_EN: 0
; COMPUTE_PGM_RSRC2:USER_SGPR: 13
; COMPUTE_PGM_RSRC2:TRAP_HANDLER: 0
; COMPUTE_PGM_RSRC2:TGID_X_EN: 1
; COMPUTE_PGM_RSRC2:TGID_Y_EN: 1
; COMPUTE_PGM_RSRC2:TGID_Z_EN: 1
; COMPUTE_PGM_RSRC2:TIDIG_COMP_CNT: 0
	.section	.text._ZN2at6native12_GLOBAL__N_130reflection_pad1d_backward_flatIN3c107complexIfEEEEvPT_PKS6_llll,"axG",@progbits,_ZN2at6native12_GLOBAL__N_130reflection_pad1d_backward_flatIN3c107complexIfEEEEvPT_PKS6_llll,comdat
	.globl	_ZN2at6native12_GLOBAL__N_130reflection_pad1d_backward_flatIN3c107complexIfEEEEvPT_PKS6_llll ; -- Begin function _ZN2at6native12_GLOBAL__N_130reflection_pad1d_backward_flatIN3c107complexIfEEEEvPT_PKS6_llll
	.p2align	8
	.type	_ZN2at6native12_GLOBAL__N_130reflection_pad1d_backward_flatIN3c107complexIfEEEEvPT_PKS6_llll,@function
_ZN2at6native12_GLOBAL__N_130reflection_pad1d_backward_flatIN3c107complexIfEEEEvPT_PKS6_llll: ; @_ZN2at6native12_GLOBAL__N_130reflection_pad1d_backward_flatIN3c107complexIfEEEEvPT_PKS6_llll
; %bb.0:
	s_clause 0x1
	s_load_b32 s2, s[0:1], 0x3c
	s_load_b256 s[4:11], s[0:1], 0x10
	v_mov_b32_e32 v2, 0
	s_add_u32 s12, s0, 48
	s_addc_u32 s13, s1, 0
	s_mov_b32 s22, 0
	s_delay_alu instid0(VALU_DEP_1) | instskip(SKIP_3) | instid1(VALU_DEP_1)
	v_mov_b32_e32 v1, v2
	s_waitcnt lgkmcnt(0)
	s_and_b32 s16, s2, 0xffff
	s_mul_i32 s2, s10, s9
	v_mad_u64_u32 v[4:5], null, s16, s15, v[0:1]
	s_mul_hi_u32 s3, s10, s8
	s_delay_alu instid0(SALU_CYCLE_1) | instskip(SKIP_1) | instid1(SALU_CYCLE_1)
	s_add_i32 s2, s3, s2
	s_mul_i32 s3, s11, s8
	s_add_i32 s3, s2, s3
	s_mul_i32 s2, s10, s8
	s_mov_b32 s10, exec_lo
	s_delay_alu instid0(VALU_DEP_1)
	v_cmpx_gt_i64_e64 s[2:3], v[4:5]
	s_cbranch_execz .LBB52_17
; %bb.1:
	v_cvt_f32_u32_e32 v0, s8
	s_lshl_b64 s[10:11], s[4:5], 1
	s_load_b32 s17, s[12:13], 0x0
	s_add_u32 s10, s10, -2
	s_addc_u32 s11, s11, -1
	v_rcp_iflag_f32_e32 v0, v0
	s_sub_i32 s12, 0, s8
	v_cmp_gt_i64_e64 s24, s[10:11], 0
	s_ashr_i32 s18, s11, 31
	s_sub_i32 s25, 0, s10
	s_waitcnt_depctr 0xfff
	v_mul_f32_e32 v0, 0x4f7ffffe, v0
	s_delay_alu instid0(VALU_DEP_1) | instskip(SKIP_2) | instid1(VALU_DEP_1)
	v_cvt_u32_f32_e32 v0, v0
	s_waitcnt lgkmcnt(0)
	s_mul_i32 s23, s16, s17
	v_mul_lo_u32 v1, s12, v0
	s_load_b128 s[12:15], s[0:1], 0x0
	s_mul_hi_u32 s1, s16, s17
	s_ashr_i32 s16, s9, 31
	s_delay_alu instid0(VALU_DEP_1) | instskip(NEXT) | instid1(VALU_DEP_1)
	v_mul_hi_u32 v1, v0, v1
	v_add_nc_u32_e32 v10, v0, v1
.LBB52_2:                               ; =>This Loop Header: Depth=1
                                        ;     Child Loop BB52_13 Depth 2
                                        ;     Child Loop BB52_15 Depth 2
	v_or_b32_e32 v3, s9, v5
                                        ; implicit-def: $vgpr0_vgpr1
	s_mov_b32 s0, exec_lo
	s_delay_alu instid0(VALU_DEP_1)
	v_cmpx_ne_u64_e32 0, v[2:3]
	s_xor_b32 s19, exec_lo, s0
	s_cbranch_execz .LBB52_4
; %bb.3:                                ;   in Loop: Header=BB52_2 Depth=1
	s_add_u32 s20, s8, s16
	s_mov_b32 s17, s16
	s_addc_u32 s21, s9, s16
	s_delay_alu instid0(SALU_CYCLE_1) | instskip(NEXT) | instid1(SALU_CYCLE_1)
	s_xor_b64 s[20:21], s[20:21], s[16:17]
	v_cvt_f32_u32_e32 v0, s20
	v_cvt_f32_u32_e32 v1, s21
	s_sub_u32 s0, 0, s20
	s_subb_u32 s17, 0, s21
	s_delay_alu instid0(VALU_DEP_1) | instskip(NEXT) | instid1(VALU_DEP_1)
	v_fmac_f32_e32 v0, 0x4f800000, v1
	v_rcp_f32_e32 v0, v0
	s_waitcnt_depctr 0xfff
	v_mul_f32_e32 v0, 0x5f7ffffc, v0
	s_delay_alu instid0(VALU_DEP_1) | instskip(NEXT) | instid1(VALU_DEP_1)
	v_mul_f32_e32 v1, 0x2f800000, v0
	v_trunc_f32_e32 v1, v1
	s_delay_alu instid0(VALU_DEP_1) | instskip(SKIP_1) | instid1(VALU_DEP_2)
	v_fmac_f32_e32 v0, 0xcf800000, v1
	v_cvt_u32_f32_e32 v1, v1
	v_cvt_u32_f32_e32 v0, v0
	s_delay_alu instid0(VALU_DEP_2) | instskip(NEXT) | instid1(VALU_DEP_2)
	v_mul_lo_u32 v3, s0, v1
	v_mul_hi_u32 v6, s0, v0
	v_mul_lo_u32 v7, s17, v0
	s_delay_alu instid0(VALU_DEP_2) | instskip(SKIP_1) | instid1(VALU_DEP_2)
	v_add_nc_u32_e32 v3, v6, v3
	v_mul_lo_u32 v6, s0, v0
	v_add_nc_u32_e32 v3, v3, v7
	s_delay_alu instid0(VALU_DEP_2) | instskip(NEXT) | instid1(VALU_DEP_2)
	v_mul_hi_u32 v7, v0, v6
	v_mul_lo_u32 v8, v0, v3
	v_mul_hi_u32 v9, v0, v3
	v_mul_hi_u32 v11, v1, v6
	v_mul_lo_u32 v6, v1, v6
	v_mul_hi_u32 v12, v1, v3
	v_mul_lo_u32 v3, v1, v3
	v_add_co_u32 v7, vcc_lo, v7, v8
	v_add_co_ci_u32_e32 v8, vcc_lo, 0, v9, vcc_lo
	s_delay_alu instid0(VALU_DEP_2) | instskip(NEXT) | instid1(VALU_DEP_2)
	v_add_co_u32 v6, vcc_lo, v7, v6
	v_add_co_ci_u32_e32 v6, vcc_lo, v8, v11, vcc_lo
	v_add_co_ci_u32_e32 v7, vcc_lo, 0, v12, vcc_lo
	v_ashrrev_i32_e32 v11, 31, v5
	s_delay_alu instid0(VALU_DEP_3) | instskip(NEXT) | instid1(VALU_DEP_3)
	v_add_co_u32 v3, vcc_lo, v6, v3
	v_add_co_ci_u32_e32 v6, vcc_lo, 0, v7, vcc_lo
	s_delay_alu instid0(VALU_DEP_2) | instskip(NEXT) | instid1(VALU_DEP_2)
	v_add_co_u32 v0, vcc_lo, v0, v3
	v_add_co_ci_u32_e32 v1, vcc_lo, v1, v6, vcc_lo
	s_delay_alu instid0(VALU_DEP_2) | instskip(SKIP_1) | instid1(VALU_DEP_3)
	v_mul_hi_u32 v3, s0, v0
	v_mul_lo_u32 v7, s17, v0
	v_mul_lo_u32 v6, s0, v1
	s_delay_alu instid0(VALU_DEP_1) | instskip(SKIP_1) | instid1(VALU_DEP_2)
	v_add_nc_u32_e32 v3, v3, v6
	v_mul_lo_u32 v6, s0, v0
	v_add_nc_u32_e32 v3, v3, v7
	s_delay_alu instid0(VALU_DEP_2) | instskip(NEXT) | instid1(VALU_DEP_2)
	v_mul_hi_u32 v7, v0, v6
	v_mul_lo_u32 v8, v0, v3
	v_mul_hi_u32 v9, v0, v3
	v_mul_hi_u32 v12, v1, v6
	v_mul_lo_u32 v6, v1, v6
	v_mul_hi_u32 v13, v1, v3
	v_mul_lo_u32 v3, v1, v3
	v_add_co_u32 v7, vcc_lo, v7, v8
	v_add_co_ci_u32_e32 v8, vcc_lo, 0, v9, vcc_lo
	s_delay_alu instid0(VALU_DEP_2) | instskip(NEXT) | instid1(VALU_DEP_2)
	v_add_co_u32 v6, vcc_lo, v7, v6
	v_add_co_ci_u32_e32 v6, vcc_lo, v8, v12, vcc_lo
	v_add_co_ci_u32_e32 v7, vcc_lo, 0, v13, vcc_lo
	v_add_co_u32 v8, vcc_lo, v4, v11
	v_add_co_ci_u32_e32 v9, vcc_lo, v5, v11, vcc_lo
	s_delay_alu instid0(VALU_DEP_4) | instskip(NEXT) | instid1(VALU_DEP_4)
	v_add_co_u32 v3, vcc_lo, v6, v3
	v_add_co_ci_u32_e32 v6, vcc_lo, 0, v7, vcc_lo
	s_delay_alu instid0(VALU_DEP_4) | instskip(NEXT) | instid1(VALU_DEP_3)
	v_xor_b32_e32 v12, v8, v11
	v_add_co_u32 v3, vcc_lo, v0, v3
	s_delay_alu instid0(VALU_DEP_3) | instskip(SKIP_1) | instid1(VALU_DEP_3)
	v_add_co_ci_u32_e32 v13, vcc_lo, v1, v6, vcc_lo
	v_xor_b32_e32 v14, v9, v11
	v_mul_hi_u32 v15, v12, v3
	s_delay_alu instid0(VALU_DEP_3) | instskip(NEXT) | instid1(VALU_DEP_3)
	v_mad_u64_u32 v[0:1], null, v12, v13, 0
	v_mad_u64_u32 v[6:7], null, v14, v3, 0
	v_mad_u64_u32 v[8:9], null, v14, v13, 0
	s_delay_alu instid0(VALU_DEP_3) | instskip(NEXT) | instid1(VALU_DEP_4)
	v_add_co_u32 v0, vcc_lo, v15, v0
	v_add_co_ci_u32_e32 v1, vcc_lo, 0, v1, vcc_lo
	s_delay_alu instid0(VALU_DEP_2) | instskip(NEXT) | instid1(VALU_DEP_2)
	v_add_co_u32 v0, vcc_lo, v0, v6
	v_add_co_ci_u32_e32 v0, vcc_lo, v1, v7, vcc_lo
	v_add_co_ci_u32_e32 v1, vcc_lo, 0, v9, vcc_lo
	s_delay_alu instid0(VALU_DEP_2) | instskip(NEXT) | instid1(VALU_DEP_2)
	v_add_co_u32 v3, vcc_lo, v0, v8
	v_add_co_ci_u32_e32 v6, vcc_lo, 0, v1, vcc_lo
	s_delay_alu instid0(VALU_DEP_2) | instskip(SKIP_1) | instid1(VALU_DEP_3)
	v_mul_lo_u32 v7, s21, v3
	v_mad_u64_u32 v[0:1], null, s20, v3, 0
	v_mul_lo_u32 v8, s20, v6
	s_delay_alu instid0(VALU_DEP_2) | instskip(NEXT) | instid1(VALU_DEP_2)
	v_sub_co_u32 v0, vcc_lo, v12, v0
	v_add3_u32 v1, v1, v8, v7
	s_delay_alu instid0(VALU_DEP_1) | instskip(NEXT) | instid1(VALU_DEP_1)
	v_sub_nc_u32_e32 v7, v14, v1
	v_subrev_co_ci_u32_e64 v7, s0, s21, v7, vcc_lo
	v_add_co_u32 v8, s0, v3, 2
	s_delay_alu instid0(VALU_DEP_1) | instskip(SKIP_3) | instid1(VALU_DEP_3)
	v_add_co_ci_u32_e64 v9, s0, 0, v6, s0
	v_sub_co_u32 v12, s0, v0, s20
	v_sub_co_ci_u32_e32 v1, vcc_lo, v14, v1, vcc_lo
	v_subrev_co_ci_u32_e64 v7, s0, 0, v7, s0
	v_cmp_le_u32_e32 vcc_lo, s20, v12
	s_delay_alu instid0(VALU_DEP_3) | instskip(SKIP_1) | instid1(VALU_DEP_4)
	v_cmp_eq_u32_e64 s0, s21, v1
	v_cndmask_b32_e64 v12, 0, -1, vcc_lo
	v_cmp_le_u32_e32 vcc_lo, s21, v7
	v_cndmask_b32_e64 v13, 0, -1, vcc_lo
	v_cmp_le_u32_e32 vcc_lo, s20, v0
	;; [unrolled: 2-line block ×3, first 2 shown]
	v_cndmask_b32_e64 v14, 0, -1, vcc_lo
	v_cmp_eq_u32_e32 vcc_lo, s21, v7
	s_delay_alu instid0(VALU_DEP_2) | instskip(SKIP_3) | instid1(VALU_DEP_3)
	v_cndmask_b32_e64 v0, v14, v0, s0
	v_cndmask_b32_e32 v7, v13, v12, vcc_lo
	v_add_co_u32 v12, vcc_lo, v3, 1
	v_add_co_ci_u32_e32 v13, vcc_lo, 0, v6, vcc_lo
	v_cmp_ne_u32_e32 vcc_lo, 0, v7
	s_delay_alu instid0(VALU_DEP_2) | instskip(NEXT) | instid1(VALU_DEP_4)
	v_cndmask_b32_e32 v1, v13, v9, vcc_lo
	v_cndmask_b32_e32 v7, v12, v8, vcc_lo
	v_cmp_ne_u32_e32 vcc_lo, 0, v0
	v_xor_b32_e32 v8, s16, v11
	s_delay_alu instid0(VALU_DEP_3) | instskip(NEXT) | instid1(VALU_DEP_1)
	v_dual_cndmask_b32 v0, v6, v1 :: v_dual_cndmask_b32 v1, v3, v7
	v_xor_b32_e32 v3, v0, v8
	s_delay_alu instid0(VALU_DEP_2) | instskip(NEXT) | instid1(VALU_DEP_1)
	v_xor_b32_e32 v1, v1, v8
	v_sub_co_u32 v0, vcc_lo, v1, v8
	s_delay_alu instid0(VALU_DEP_3)
	v_sub_co_ci_u32_e32 v1, vcc_lo, v3, v8, vcc_lo
.LBB52_4:                               ;   in Loop: Header=BB52_2 Depth=1
	s_and_not1_saveexec_b32 s0, s19
; %bb.5:                                ;   in Loop: Header=BB52_2 Depth=1
	v_mul_hi_u32 v0, v4, v10
	s_delay_alu instid0(VALU_DEP_1) | instskip(SKIP_1) | instid1(VALU_DEP_2)
	v_mul_lo_u32 v1, v0, s8
	v_add_nc_u32_e32 v3, 1, v0
	v_sub_nc_u32_e32 v1, v4, v1
	s_delay_alu instid0(VALU_DEP_1) | instskip(SKIP_1) | instid1(VALU_DEP_2)
	v_subrev_nc_u32_e32 v6, s8, v1
	v_cmp_le_u32_e32 vcc_lo, s8, v1
	v_dual_cndmask_b32 v1, v1, v6 :: v_dual_cndmask_b32 v0, v0, v3
	s_delay_alu instid0(VALU_DEP_1) | instskip(NEXT) | instid1(VALU_DEP_2)
	v_cmp_le_u32_e32 vcc_lo, s8, v1
	v_add_nc_u32_e32 v3, 1, v0
	s_delay_alu instid0(VALU_DEP_1)
	v_dual_mov_b32 v1, v2 :: v_dual_cndmask_b32 v0, v0, v3
; %bb.6:                                ;   in Loop: Header=BB52_2 Depth=1
	s_or_b32 exec_lo, exec_lo, s0
	v_mov_b32_e32 v6, 0
	v_mov_b32_e32 v7, 0
	s_and_not1_b32 vcc_lo, exec_lo, s24
	s_cbranch_vccnz .LBB52_12
; %bb.7:                                ;   in Loop: Header=BB52_2 Depth=1
	v_mad_u64_u32 v[6:7], null, v0, s8, s[6:7]
	v_mul_lo_u32 v3, v0, s9
	v_mul_lo_u32 v8, v1, s8
	s_mov_b32 s0, exec_lo
	s_delay_alu instid0(VALU_DEP_1) | instskip(NEXT) | instid1(VALU_DEP_4)
	v_add3_u32 v3, v8, v7, v3
	v_sub_co_u32 v8, vcc_lo, v4, v6
                                        ; implicit-def: $vgpr6_vgpr7
	s_delay_alu instid0(VALU_DEP_2) | instskip(NEXT) | instid1(VALU_DEP_1)
	v_sub_co_ci_u32_e32 v9, vcc_lo, v5, v3, vcc_lo
	v_or_b32_e32 v3, s11, v9
	s_delay_alu instid0(VALU_DEP_1)
	v_cmpx_ne_u64_e32 0, v[2:3]
	s_xor_b32 s17, exec_lo, s0
	s_cbranch_execz .LBB52_9
; %bb.8:                                ;   in Loop: Header=BB52_2 Depth=1
	s_add_u32 s20, s10, s18
	s_mov_b32 s19, s18
	s_addc_u32 s21, s11, s18
	s_delay_alu instid0(SALU_CYCLE_1) | instskip(NEXT) | instid1(SALU_CYCLE_1)
	s_xor_b64 s[20:21], s[20:21], s[18:19]
	v_cvt_f32_u32_e32 v3, s20
	v_cvt_f32_u32_e32 v6, s21
	s_sub_u32 s0, 0, s20
	s_subb_u32 s19, 0, s21
	s_delay_alu instid0(VALU_DEP_1) | instskip(NEXT) | instid1(VALU_DEP_1)
	v_fmac_f32_e32 v3, 0x4f800000, v6
	v_rcp_f32_e32 v3, v3
	s_waitcnt_depctr 0xfff
	v_mul_f32_e32 v3, 0x5f7ffffc, v3
	s_delay_alu instid0(VALU_DEP_1) | instskip(NEXT) | instid1(VALU_DEP_1)
	v_mul_f32_e32 v6, 0x2f800000, v3
	v_trunc_f32_e32 v6, v6
	s_delay_alu instid0(VALU_DEP_1) | instskip(SKIP_1) | instid1(VALU_DEP_2)
	v_fmac_f32_e32 v3, 0xcf800000, v6
	v_cvt_u32_f32_e32 v6, v6
	v_cvt_u32_f32_e32 v3, v3
	s_delay_alu instid0(VALU_DEP_2) | instskip(NEXT) | instid1(VALU_DEP_2)
	v_mul_lo_u32 v7, s0, v6
	v_mul_hi_u32 v11, s0, v3
	v_mul_lo_u32 v12, s19, v3
	s_delay_alu instid0(VALU_DEP_2) | instskip(SKIP_1) | instid1(VALU_DEP_2)
	v_add_nc_u32_e32 v7, v11, v7
	v_mul_lo_u32 v11, s0, v3
	v_add_nc_u32_e32 v7, v7, v12
	s_delay_alu instid0(VALU_DEP_2) | instskip(NEXT) | instid1(VALU_DEP_2)
	v_mul_hi_u32 v12, v3, v11
	v_mul_lo_u32 v13, v3, v7
	v_mul_hi_u32 v14, v3, v7
	v_mul_hi_u32 v15, v6, v11
	v_mul_lo_u32 v11, v6, v11
	v_mul_hi_u32 v16, v6, v7
	v_mul_lo_u32 v7, v6, v7
	v_add_co_u32 v12, vcc_lo, v12, v13
	v_add_co_ci_u32_e32 v13, vcc_lo, 0, v14, vcc_lo
	s_delay_alu instid0(VALU_DEP_2) | instskip(NEXT) | instid1(VALU_DEP_2)
	v_add_co_u32 v11, vcc_lo, v12, v11
	v_add_co_ci_u32_e32 v11, vcc_lo, v13, v15, vcc_lo
	v_add_co_ci_u32_e32 v12, vcc_lo, 0, v16, vcc_lo
	v_ashrrev_i32_e32 v15, 31, v9
	s_delay_alu instid0(VALU_DEP_3) | instskip(NEXT) | instid1(VALU_DEP_3)
	v_add_co_u32 v7, vcc_lo, v11, v7
	v_add_co_ci_u32_e32 v11, vcc_lo, 0, v12, vcc_lo
	s_delay_alu instid0(VALU_DEP_2) | instskip(NEXT) | instid1(VALU_DEP_2)
	v_add_co_u32 v3, vcc_lo, v3, v7
	v_add_co_ci_u32_e32 v6, vcc_lo, v6, v11, vcc_lo
	s_delay_alu instid0(VALU_DEP_2) | instskip(SKIP_1) | instid1(VALU_DEP_3)
	v_mul_hi_u32 v7, s0, v3
	v_mul_lo_u32 v12, s19, v3
	v_mul_lo_u32 v11, s0, v6
	s_delay_alu instid0(VALU_DEP_1) | instskip(SKIP_1) | instid1(VALU_DEP_2)
	v_add_nc_u32_e32 v7, v7, v11
	v_mul_lo_u32 v11, s0, v3
	v_add_nc_u32_e32 v7, v7, v12
	s_delay_alu instid0(VALU_DEP_2) | instskip(NEXT) | instid1(VALU_DEP_2)
	v_mul_hi_u32 v12, v3, v11
	v_mul_lo_u32 v13, v3, v7
	v_mul_hi_u32 v14, v3, v7
	v_mul_hi_u32 v16, v6, v11
	v_mul_lo_u32 v11, v6, v11
	v_mul_hi_u32 v17, v6, v7
	v_mul_lo_u32 v7, v6, v7
	v_add_co_u32 v12, vcc_lo, v12, v13
	v_add_co_ci_u32_e32 v13, vcc_lo, 0, v14, vcc_lo
	s_delay_alu instid0(VALU_DEP_2) | instskip(NEXT) | instid1(VALU_DEP_2)
	v_add_co_u32 v11, vcc_lo, v12, v11
	v_add_co_ci_u32_e32 v11, vcc_lo, v13, v16, vcc_lo
	v_add_co_ci_u32_e32 v12, vcc_lo, 0, v17, vcc_lo
	v_add_co_u32 v8, vcc_lo, v8, v15
	v_add_co_ci_u32_e32 v9, vcc_lo, v9, v15, vcc_lo
	s_delay_alu instid0(VALU_DEP_4) | instskip(NEXT) | instid1(VALU_DEP_4)
	v_add_co_u32 v7, vcc_lo, v11, v7
	v_add_co_ci_u32_e32 v11, vcc_lo, 0, v12, vcc_lo
	s_delay_alu instid0(VALU_DEP_4) | instskip(NEXT) | instid1(VALU_DEP_3)
	v_xor_b32_e32 v13, v8, v15
	v_add_co_u32 v3, vcc_lo, v3, v7
	s_delay_alu instid0(VALU_DEP_3) | instskip(SKIP_1) | instid1(VALU_DEP_3)
	v_add_co_ci_u32_e32 v14, vcc_lo, v6, v11, vcc_lo
	v_xor_b32_e32 v16, v9, v15
	v_mul_hi_u32 v17, v13, v3
	s_delay_alu instid0(VALU_DEP_3) | instskip(NEXT) | instid1(VALU_DEP_3)
	v_mad_u64_u32 v[6:7], null, v13, v14, 0
	v_mad_u64_u32 v[8:9], null, v16, v3, 0
	;; [unrolled: 1-line block ×3, first 2 shown]
	s_delay_alu instid0(VALU_DEP_3) | instskip(NEXT) | instid1(VALU_DEP_4)
	v_add_co_u32 v3, vcc_lo, v17, v6
	v_add_co_ci_u32_e32 v6, vcc_lo, 0, v7, vcc_lo
	s_delay_alu instid0(VALU_DEP_2) | instskip(NEXT) | instid1(VALU_DEP_2)
	v_add_co_u32 v3, vcc_lo, v3, v8
	v_add_co_ci_u32_e32 v3, vcc_lo, v6, v9, vcc_lo
	v_add_co_ci_u32_e32 v6, vcc_lo, 0, v12, vcc_lo
	s_delay_alu instid0(VALU_DEP_2) | instskip(NEXT) | instid1(VALU_DEP_2)
	v_add_co_u32 v3, vcc_lo, v3, v11
	v_add_co_ci_u32_e32 v8, vcc_lo, 0, v6, vcc_lo
	s_delay_alu instid0(VALU_DEP_2) | instskip(SKIP_1) | instid1(VALU_DEP_3)
	v_mul_lo_u32 v9, s21, v3
	v_mad_u64_u32 v[6:7], null, s20, v3, 0
	v_mul_lo_u32 v3, s20, v8
	s_delay_alu instid0(VALU_DEP_2) | instskip(NEXT) | instid1(VALU_DEP_2)
	v_sub_co_u32 v6, vcc_lo, v13, v6
	v_add3_u32 v3, v7, v3, v9
	s_delay_alu instid0(VALU_DEP_1) | instskip(NEXT) | instid1(VALU_DEP_1)
	v_sub_nc_u32_e32 v7, v16, v3
	v_subrev_co_ci_u32_e64 v7, s0, s21, v7, vcc_lo
	v_sub_co_ci_u32_e32 v3, vcc_lo, v16, v3, vcc_lo
	v_sub_co_u32 v8, vcc_lo, v6, s20
	s_delay_alu instid0(VALU_DEP_1) | instskip(SKIP_3) | instid1(VALU_DEP_3)
	v_subrev_co_ci_u32_e64 v9, s0, 0, v7, vcc_lo
	v_cmp_le_u32_e64 s0, s20, v6
	v_subrev_co_ci_u32_e32 v7, vcc_lo, s21, v7, vcc_lo
	v_cmp_le_u32_e32 vcc_lo, s21, v3
	v_cndmask_b32_e64 v11, 0, -1, s0
	v_cmp_le_u32_e64 s0, s20, v8
	v_cndmask_b32_e64 v14, 0, -1, vcc_lo
	v_cmp_eq_u32_e32 vcc_lo, s21, v9
	s_delay_alu instid0(VALU_DEP_3) | instskip(SKIP_1) | instid1(VALU_DEP_1)
	v_cndmask_b32_e64 v12, 0, -1, s0
	v_cmp_le_u32_e64 s0, s21, v9
	v_cndmask_b32_e64 v13, 0, -1, s0
	v_cmp_eq_u32_e64 s0, s21, v3
	s_delay_alu instid0(VALU_DEP_2) | instskip(SKIP_2) | instid1(VALU_DEP_3)
	v_cndmask_b32_e32 v12, v13, v12, vcc_lo
	v_sub_co_u32 v13, vcc_lo, v8, s20
	v_subrev_co_ci_u32_e32 v7, vcc_lo, 0, v7, vcc_lo
	v_cmp_ne_u32_e32 vcc_lo, 0, v12
	v_cndmask_b32_e64 v11, v14, v11, s0
	s_delay_alu instid0(VALU_DEP_3) | instskip(NEXT) | instid1(VALU_DEP_2)
	v_dual_cndmask_b32 v7, v9, v7 :: v_dual_cndmask_b32 v8, v8, v13
	v_cmp_ne_u32_e32 vcc_lo, 0, v11
	s_delay_alu instid0(VALU_DEP_2) | instskip(NEXT) | instid1(VALU_DEP_1)
	v_dual_cndmask_b32 v6, v6, v8 :: v_dual_cndmask_b32 v3, v3, v7
                                        ; implicit-def: $vgpr8
	v_xor_b32_e32 v6, v6, v15
	s_delay_alu instid0(VALU_DEP_2) | instskip(NEXT) | instid1(VALU_DEP_2)
	v_xor_b32_e32 v3, v3, v15
	v_sub_co_u32 v6, vcc_lo, v6, v15
	s_delay_alu instid0(VALU_DEP_2)
	v_sub_co_ci_u32_e32 v7, vcc_lo, v3, v15, vcc_lo
.LBB52_9:                               ;   in Loop: Header=BB52_2 Depth=1
	s_and_not1_saveexec_b32 s0, s17
	s_cbranch_execz .LBB52_11
; %bb.10:                               ;   in Loop: Header=BB52_2 Depth=1
	v_cvt_f32_u32_e32 v3, s10
	v_mov_b32_e32 v7, v2
	s_delay_alu instid0(VALU_DEP_2) | instskip(SKIP_2) | instid1(VALU_DEP_1)
	v_rcp_iflag_f32_e32 v3, v3
	s_waitcnt_depctr 0xfff
	v_mul_f32_e32 v3, 0x4f7ffffe, v3
	v_cvt_u32_f32_e32 v3, v3
	s_delay_alu instid0(VALU_DEP_1) | instskip(NEXT) | instid1(VALU_DEP_1)
	v_mul_lo_u32 v6, s25, v3
	v_mul_hi_u32 v6, v3, v6
	s_delay_alu instid0(VALU_DEP_1) | instskip(NEXT) | instid1(VALU_DEP_1)
	v_add_nc_u32_e32 v3, v3, v6
	v_mul_hi_u32 v3, v8, v3
	s_delay_alu instid0(VALU_DEP_1) | instskip(NEXT) | instid1(VALU_DEP_1)
	v_mul_lo_u32 v3, v3, s10
	v_sub_nc_u32_e32 v3, v8, v3
	s_delay_alu instid0(VALU_DEP_1) | instskip(SKIP_1) | instid1(VALU_DEP_2)
	v_subrev_nc_u32_e32 v6, s10, v3
	v_cmp_le_u32_e32 vcc_lo, s10, v3
	v_cndmask_b32_e32 v3, v3, v6, vcc_lo
	s_delay_alu instid0(VALU_DEP_1) | instskip(SKIP_1) | instid1(VALU_DEP_2)
	v_subrev_nc_u32_e32 v6, s10, v3
	v_cmp_le_u32_e32 vcc_lo, s10, v3
	v_cndmask_b32_e32 v6, v3, v6, vcc_lo
.LBB52_11:                              ;   in Loop: Header=BB52_2 Depth=1
	s_or_b32 exec_lo, exec_lo, s0
	s_delay_alu instid0(VALU_DEP_1) | instskip(NEXT) | instid1(VALU_DEP_1)
	v_ashrrev_i32_e32 v3, 31, v7
	v_and_b32_e32 v8, s10, v3
	v_and_b32_e32 v3, s11, v3
	s_delay_alu instid0(VALU_DEP_2) | instskip(NEXT) | instid1(VALU_DEP_2)
	v_add_co_u32 v6, vcc_lo, v8, v6
	v_add_co_ci_u32_e32 v7, vcc_lo, v3, v7, vcc_lo
	s_delay_alu instid0(VALU_DEP_2) | instskip(NEXT) | instid1(VALU_DEP_2)
	v_sub_co_u32 v3, vcc_lo, s10, v6
	v_sub_co_ci_u32_e32 v8, vcc_lo, s11, v7, vcc_lo
	v_cmp_gt_i64_e32 vcc_lo, s[4:5], v[6:7]
	s_delay_alu instid0(VALU_DEP_2)
	v_dual_cndmask_b32 v7, v8, v7 :: v_dual_cndmask_b32 v6, v3, v6
.LBB52_12:                              ;   in Loop: Header=BB52_2 Depth=1
	v_mul_lo_u32 v1, v1, s4
	v_mul_lo_u32 v3, v0, s5
	v_mad_u64_u32 v[8:9], null, v0, s4, 0
	s_delay_alu instid0(VALU_DEP_4) | instskip(SKIP_1) | instid1(VALU_DEP_2)
	v_lshlrev_b64 v[6:7], 3, v[6:7]
	s_mov_b32 s0, 0
	v_add3_u32 v9, v9, v3, v1
	s_delay_alu instid0(VALU_DEP_1) | instskip(SKIP_2) | instid1(VALU_DEP_2)
	v_lshlrev_b64 v[0:1], 3, v[8:9]
	v_lshlrev_b64 v[8:9], 3, v[4:5]
	s_waitcnt lgkmcnt(0)
	v_add_co_u32 v0, vcc_lo, s12, v0
	s_delay_alu instid0(VALU_DEP_3) | instskip(NEXT) | instid1(VALU_DEP_3)
	v_add_co_ci_u32_e32 v1, vcc_lo, s13, v1, vcc_lo
	v_add_co_u32 v8, vcc_lo, s14, v8
	s_delay_alu instid0(VALU_DEP_4) | instskip(NEXT) | instid1(VALU_DEP_4)
	v_add_co_ci_u32_e32 v9, vcc_lo, s15, v9, vcc_lo
	v_add_co_u32 v0, vcc_lo, v0, v6
	s_delay_alu instid0(VALU_DEP_4)
	v_add_co_ci_u32_e32 v1, vcc_lo, v1, v7, vcc_lo
	global_load_b64 v[6:7], v[8:9], off
	global_load_b32 v9, v[0:1], off
.LBB52_13:                              ;   Parent Loop BB52_2 Depth=1
                                        ; =>  This Inner Loop Header: Depth=2
	s_waitcnt vmcnt(0)
	v_add_f32_e32 v8, v9, v6
	global_atomic_cmpswap_b32 v3, v[0:1], v[8:9], off glc
	s_waitcnt vmcnt(0)
	v_cmp_eq_u32_e32 vcc_lo, v3, v9
	v_mov_b32_e32 v9, v3
	s_or_b32 s0, vcc_lo, s0
	s_delay_alu instid0(SALU_CYCLE_1)
	s_and_not1_b32 exec_lo, exec_lo, s0
	s_cbranch_execnz .LBB52_13
; %bb.14:                               ;   in Loop: Header=BB52_2 Depth=1
	s_or_b32 exec_lo, exec_lo, s0
	global_load_b32 v9, v[0:1], off offset:4
	s_mov_b32 s0, 0
.LBB52_15:                              ;   Parent Loop BB52_2 Depth=1
                                        ; =>  This Inner Loop Header: Depth=2
	s_waitcnt vmcnt(0)
	v_add_f32_e32 v8, v9, v7
	global_atomic_cmpswap_b32 v3, v[0:1], v[8:9], off offset:4 glc
	s_waitcnt vmcnt(0)
	v_cmp_eq_u32_e32 vcc_lo, v3, v9
	v_mov_b32_e32 v9, v3
	s_or_b32 s0, vcc_lo, s0
	s_delay_alu instid0(SALU_CYCLE_1)
	s_and_not1_b32 exec_lo, exec_lo, s0
	s_cbranch_execnz .LBB52_15
; %bb.16:                               ;   in Loop: Header=BB52_2 Depth=1
	s_or_b32 exec_lo, exec_lo, s0
	v_add_co_u32 v4, vcc_lo, v4, s23
	v_add_co_ci_u32_e32 v5, vcc_lo, s1, v5, vcc_lo
	s_delay_alu instid0(VALU_DEP_1) | instskip(SKIP_1) | instid1(SALU_CYCLE_1)
	v_cmp_le_i64_e32 vcc_lo, s[2:3], v[4:5]
	s_or_b32 s22, vcc_lo, s22
	s_and_not1_b32 exec_lo, exec_lo, s22
	s_cbranch_execnz .LBB52_2
.LBB52_17:
	s_endpgm
	.section	.rodata,"a",@progbits
	.p2align	6, 0x0
	.amdhsa_kernel _ZN2at6native12_GLOBAL__N_130reflection_pad1d_backward_flatIN3c107complexIfEEEEvPT_PKS6_llll
		.amdhsa_group_segment_fixed_size 0
		.amdhsa_private_segment_fixed_size 0
		.amdhsa_kernarg_size 304
		.amdhsa_user_sgpr_count 15
		.amdhsa_user_sgpr_dispatch_ptr 0
		.amdhsa_user_sgpr_queue_ptr 0
		.amdhsa_user_sgpr_kernarg_segment_ptr 1
		.amdhsa_user_sgpr_dispatch_id 0
		.amdhsa_user_sgpr_private_segment_size 0
		.amdhsa_wavefront_size32 1
		.amdhsa_uses_dynamic_stack 0
		.amdhsa_enable_private_segment 0
		.amdhsa_system_sgpr_workgroup_id_x 1
		.amdhsa_system_sgpr_workgroup_id_y 0
		.amdhsa_system_sgpr_workgroup_id_z 0
		.amdhsa_system_sgpr_workgroup_info 0
		.amdhsa_system_vgpr_workitem_id 0
		.amdhsa_next_free_vgpr 18
		.amdhsa_next_free_sgpr 26
		.amdhsa_reserve_vcc 1
		.amdhsa_float_round_mode_32 0
		.amdhsa_float_round_mode_16_64 0
		.amdhsa_float_denorm_mode_32 3
		.amdhsa_float_denorm_mode_16_64 3
		.amdhsa_dx10_clamp 1
		.amdhsa_ieee_mode 1
		.amdhsa_fp16_overflow 0
		.amdhsa_workgroup_processor_mode 1
		.amdhsa_memory_ordered 1
		.amdhsa_forward_progress 0
		.amdhsa_shared_vgpr_count 0
		.amdhsa_exception_fp_ieee_invalid_op 0
		.amdhsa_exception_fp_denorm_src 0
		.amdhsa_exception_fp_ieee_div_zero 0
		.amdhsa_exception_fp_ieee_overflow 0
		.amdhsa_exception_fp_ieee_underflow 0
		.amdhsa_exception_fp_ieee_inexact 0
		.amdhsa_exception_int_div_zero 0
	.end_amdhsa_kernel
	.section	.text._ZN2at6native12_GLOBAL__N_130reflection_pad1d_backward_flatIN3c107complexIfEEEEvPT_PKS6_llll,"axG",@progbits,_ZN2at6native12_GLOBAL__N_130reflection_pad1d_backward_flatIN3c107complexIfEEEEvPT_PKS6_llll,comdat
.Lfunc_end52:
	.size	_ZN2at6native12_GLOBAL__N_130reflection_pad1d_backward_flatIN3c107complexIfEEEEvPT_PKS6_llll, .Lfunc_end52-_ZN2at6native12_GLOBAL__N_130reflection_pad1d_backward_flatIN3c107complexIfEEEEvPT_PKS6_llll
                                        ; -- End function
	.section	.AMDGPU.csdata,"",@progbits
; Kernel info:
; codeLenInByte = 2532
; NumSgprs: 28
; NumVgprs: 18
; ScratchSize: 0
; MemoryBound: 0
; FloatMode: 240
; IeeeMode: 1
; LDSByteSize: 0 bytes/workgroup (compile time only)
; SGPRBlocks: 3
; VGPRBlocks: 2
; NumSGPRsForWavesPerEU: 28
; NumVGPRsForWavesPerEU: 18
; Occupancy: 16
; WaveLimiterHint : 0
; COMPUTE_PGM_RSRC2:SCRATCH_EN: 0
; COMPUTE_PGM_RSRC2:USER_SGPR: 15
; COMPUTE_PGM_RSRC2:TRAP_HANDLER: 0
; COMPUTE_PGM_RSRC2:TGID_X_EN: 1
; COMPUTE_PGM_RSRC2:TGID_Y_EN: 0
; COMPUTE_PGM_RSRC2:TGID_Z_EN: 0
; COMPUTE_PGM_RSRC2:TIDIG_COMP_CNT: 0
	.section	.text._ZN2at6native12_GLOBAL__N_136reflection_pad1d_backward_out_kernelIN3c104HalfEEEvPT_PKS5_lll,"axG",@progbits,_ZN2at6native12_GLOBAL__N_136reflection_pad1d_backward_out_kernelIN3c104HalfEEEvPT_PKS5_lll,comdat
	.globl	_ZN2at6native12_GLOBAL__N_136reflection_pad1d_backward_out_kernelIN3c104HalfEEEvPT_PKS5_lll ; -- Begin function _ZN2at6native12_GLOBAL__N_136reflection_pad1d_backward_out_kernelIN3c104HalfEEEvPT_PKS5_lll
	.p2align	8
	.type	_ZN2at6native12_GLOBAL__N_136reflection_pad1d_backward_out_kernelIN3c104HalfEEEvPT_PKS5_lll,@function
_ZN2at6native12_GLOBAL__N_136reflection_pad1d_backward_out_kernelIN3c104HalfEEEvPT_PKS5_lll: ; @_ZN2at6native12_GLOBAL__N_136reflection_pad1d_backward_out_kernelIN3c104HalfEEEvPT_PKS5_lll
; %bb.0:
	s_clause 0x2
	s_load_b32 s12, s[0:1], 0x34
	s_load_b256 s[4:11], s[0:1], 0x0
	s_load_b64 s[16:17], s[0:1], 0x20
	v_mov_b32_e32 v1, 0
	s_add_u32 s2, s0, 40
	s_addc_u32 s3, s1, 0
	s_waitcnt lgkmcnt(0)
	s_and_b32 s0, s12, 0xffff
	s_add_u32 s12, s10, s8
	v_mad_u64_u32 v[2:3], null, s0, s13, v[0:1]
	s_addc_u32 s13, s11, s9
	s_add_u32 s0, s12, s16
	s_addc_u32 s1, s13, s17
	s_mov_b32 s16, exec_lo
	s_delay_alu instid0(VALU_DEP_1)
	v_cmpx_gt_i64_e64 s[0:1], v[2:3]
	s_cbranch_execz .LBB53_7
; %bb.1:
	s_load_b32 s16, s[2:3], 0x4
	v_sub_co_u32 v0, vcc_lo, v2, s12
	v_subrev_co_ci_u32_e32 v4, vcc_lo, s13, v3, vcc_lo
	v_sub_co_u32 v5, vcc_lo, v2, s10
	v_subrev_co_ci_u32_e32 v6, vcc_lo, s11, v3, vcc_lo
	s_delay_alu instid0(VALU_DEP_4) | instskip(NEXT) | instid1(VALU_DEP_4)
	v_add_co_u32 v0, vcc_lo, v0, 1
	v_add_co_ci_u32_e32 v4, vcc_lo, 0, v4, vcc_lo
	s_sub_u32 s2, 0, s10
	s_subb_u32 s3, 0, s11
	v_cmp_gt_i64_e64 s17, s[10:11], 0
	s_delay_alu instid0(VALU_DEP_2)
	v_ashrrev_i32_e32 v7, 31, v4
	v_ashrrev_i32_e32 v8, 31, v6
	s_waitcnt lgkmcnt(0)
	s_mul_i32 s15, s16, s15
	v_cmp_gt_i64_e64 s16, s[2:3], 0
	s_add_i32 s14, s15, s14
	v_xor_b32_e32 v0, v0, v7
	s_mul_i32 s9, s14, s9
	s_mul_hi_u32 s15, s14, s8
	s_mul_i32 s1, s1, s14
	s_mul_hi_u32 s18, s0, s14
	v_xor_b32_e32 v4, v4, v7
	s_add_i32 s9, s15, s9
	s_add_i32 s1, s18, s1
	s_and_b32 s15, s16, exec_lo
	s_cselect_b32 s15, s3, 0
	s_cselect_b32 s16, s2, 0
	s_and_b32 s2, s17, exec_lo
	v_sub_co_u32 v0, vcc_lo, v0, v7
	s_cselect_b32 s3, s11, 0
	s_cselect_b32 s2, s10, 0
	v_sub_co_ci_u32_e32 v4, vcc_lo, v4, v7, vcc_lo
	s_not_b64 s[2:3], s[2:3]
	s_add_u32 s10, s12, s10
	s_addc_u32 s11, s13, s11
	v_add_co_u32 v0, vcc_lo, v2, v0
	s_add_u32 s2, s10, s2
	v_xor_b32_e32 v9, v6, v8
	v_xor_b32_e32 v6, v5, v8
	s_addc_u32 s3, s11, s3
	v_add_co_ci_u32_e32 v5, vcc_lo, v3, v4, vcc_lo
	s_add_u32 s2, s2, s16
	s_addc_u32 s3, s3, s15
	v_sub_co_u32 v4, vcc_lo, s2, v0
	s_delay_alu instid0(VALU_DEP_2) | instskip(SKIP_2) | instid1(VALU_DEP_3)
	v_sub_co_ci_u32_e32 v5, vcc_lo, s3, v5, vcc_lo
	v_sub_co_u32 v6, vcc_lo, v6, v8
	v_sub_co_ci_u32_e32 v7, vcc_lo, v9, v8, vcc_lo
	v_lshlrev_b64 v[4:5], 1, v[4:5]
	s_mul_i32 s8, s14, s8
	s_mul_i32 s0, s0, s14
	s_delay_alu instid0(VALU_DEP_2)
	v_lshlrev_b64 v[6:7], 1, v[6:7]
	s_lshl_b64 s[2:3], s[8:9], 1
	s_lshl_b64 s[0:1], s[0:1], 1
	v_add_co_u32 v0, vcc_lo, s4, v4
	v_add_co_ci_u32_e32 v4, vcc_lo, s5, v5, vcc_lo
	s_add_u32 s0, s6, s0
	s_delay_alu instid0(VALU_DEP_2) | instskip(NEXT) | instid1(VALU_DEP_2)
	v_add_co_u32 v0, vcc_lo, v0, v6
	v_add_co_ci_u32_e32 v6, vcc_lo, v4, v7, vcc_lo
	v_lshlrev_b64 v[4:5], 1, v[2:3]
	s_delay_alu instid0(VALU_DEP_3) | instskip(NEXT) | instid1(VALU_DEP_3)
	v_add_co_u32 v0, vcc_lo, v0, s2
	v_add_co_ci_u32_e32 v3, vcc_lo, s3, v6, vcc_lo
	s_addc_u32 s1, s7, s1
	s_delay_alu instid0(VALU_DEP_3) | instskip(NEXT) | instid1(VALU_DEP_4)
	v_add_co_u32 v4, vcc_lo, s0, v4
	v_add_co_ci_u32_e32 v5, vcc_lo, s1, v5, vcc_lo
	v_and_b32_e32 v2, -3, v0
	global_load_u16 v6, v[4:5], off
	global_load_b32 v5, v[2:3], off
	v_and_b32_e32 v0, 2, v0
	s_mov_b32 s2, 0
	s_delay_alu instid0(VALU_DEP_1)
	v_cmp_eq_u64_e32 vcc_lo, 0, v[0:1]
	v_cmp_ne_u32_e64 s0, 0, v0
	s_set_inst_prefetch_distance 0x1
	s_branch .LBB53_3
	.p2align	6
.LBB53_2:                               ;   in Loop: Header=BB53_3 Depth=1
	s_or_b32 exec_lo, exec_lo, s1
	global_atomic_cmpswap_b32 v0, v[2:3], v[4:5], off glc
	s_waitcnt vmcnt(0)
	v_cmp_eq_u32_e64 s1, v5, v0
	v_mov_b32_e32 v5, v0
	s_delay_alu instid0(VALU_DEP_2) | instskip(NEXT) | instid1(SALU_CYCLE_1)
	s_or_b32 s2, s1, s2
	s_and_not1_b32 exec_lo, exec_lo, s2
	s_cbranch_execz .LBB53_7
.LBB53_3:                               ; =>This Inner Loop Header: Depth=1
	s_waitcnt vmcnt(0)
	v_lshrrev_b32_e32 v0, 16, v5
	s_delay_alu instid0(VALU_DEP_1) | instskip(NEXT) | instid1(VALU_DEP_1)
	v_cndmask_b32_e32 v0, v0, v5, vcc_lo
	v_add_f16_e32 v0, v6, v0
	s_delay_alu instid0(VALU_DEP_1) | instskip(SKIP_1) | instid1(SALU_CYCLE_1)
	v_and_b32_e32 v0, 0xffff, v0
	s_and_saveexec_b32 s1, s0
	s_xor_b32 s1, exec_lo, s1
; %bb.4:                                ;   in Loop: Header=BB53_3 Depth=1
	v_and_b32_e32 v1, 0xffff, v5
	s_delay_alu instid0(VALU_DEP_1)
	v_lshl_or_b32 v4, v0, 16, v1
                                        ; implicit-def: $vgpr0
; %bb.5:                                ;   in Loop: Header=BB53_3 Depth=1
	s_and_not1_saveexec_b32 s1, s1
	s_cbranch_execz .LBB53_2
; %bb.6:                                ;   in Loop: Header=BB53_3 Depth=1
	v_and_or_b32 v4, 0xffff0000, v5, v0
	s_branch .LBB53_2
.LBB53_7:
	s_set_inst_prefetch_distance 0x2
	s_endpgm
	.section	.rodata,"a",@progbits
	.p2align	6, 0x0
	.amdhsa_kernel _ZN2at6native12_GLOBAL__N_136reflection_pad1d_backward_out_kernelIN3c104HalfEEEvPT_PKS5_lll
		.amdhsa_group_segment_fixed_size 0
		.amdhsa_private_segment_fixed_size 0
		.amdhsa_kernarg_size 296
		.amdhsa_user_sgpr_count 13
		.amdhsa_user_sgpr_dispatch_ptr 0
		.amdhsa_user_sgpr_queue_ptr 0
		.amdhsa_user_sgpr_kernarg_segment_ptr 1
		.amdhsa_user_sgpr_dispatch_id 0
		.amdhsa_user_sgpr_private_segment_size 0
		.amdhsa_wavefront_size32 1
		.amdhsa_uses_dynamic_stack 0
		.amdhsa_enable_private_segment 0
		.amdhsa_system_sgpr_workgroup_id_x 1
		.amdhsa_system_sgpr_workgroup_id_y 1
		.amdhsa_system_sgpr_workgroup_id_z 1
		.amdhsa_system_sgpr_workgroup_info 0
		.amdhsa_system_vgpr_workitem_id 0
		.amdhsa_next_free_vgpr 10
		.amdhsa_next_free_sgpr 19
		.amdhsa_reserve_vcc 1
		.amdhsa_float_round_mode_32 0
		.amdhsa_float_round_mode_16_64 0
		.amdhsa_float_denorm_mode_32 3
		.amdhsa_float_denorm_mode_16_64 3
		.amdhsa_dx10_clamp 1
		.amdhsa_ieee_mode 1
		.amdhsa_fp16_overflow 0
		.amdhsa_workgroup_processor_mode 1
		.amdhsa_memory_ordered 1
		.amdhsa_forward_progress 0
		.amdhsa_shared_vgpr_count 0
		.amdhsa_exception_fp_ieee_invalid_op 0
		.amdhsa_exception_fp_denorm_src 0
		.amdhsa_exception_fp_ieee_div_zero 0
		.amdhsa_exception_fp_ieee_overflow 0
		.amdhsa_exception_fp_ieee_underflow 0
		.amdhsa_exception_fp_ieee_inexact 0
		.amdhsa_exception_int_div_zero 0
	.end_amdhsa_kernel
	.section	.text._ZN2at6native12_GLOBAL__N_136reflection_pad1d_backward_out_kernelIN3c104HalfEEEvPT_PKS5_lll,"axG",@progbits,_ZN2at6native12_GLOBAL__N_136reflection_pad1d_backward_out_kernelIN3c104HalfEEEvPT_PKS5_lll,comdat
.Lfunc_end53:
	.size	_ZN2at6native12_GLOBAL__N_136reflection_pad1d_backward_out_kernelIN3c104HalfEEEvPT_PKS5_lll, .Lfunc_end53-_ZN2at6native12_GLOBAL__N_136reflection_pad1d_backward_out_kernelIN3c104HalfEEEvPT_PKS5_lll
                                        ; -- End function
	.section	.AMDGPU.csdata,"",@progbits
; Kernel info:
; codeLenInByte = 636
; NumSgprs: 21
; NumVgprs: 10
; ScratchSize: 0
; MemoryBound: 0
; FloatMode: 240
; IeeeMode: 1
; LDSByteSize: 0 bytes/workgroup (compile time only)
; SGPRBlocks: 2
; VGPRBlocks: 1
; NumSGPRsForWavesPerEU: 21
; NumVGPRsForWavesPerEU: 10
; Occupancy: 16
; WaveLimiterHint : 0
; COMPUTE_PGM_RSRC2:SCRATCH_EN: 0
; COMPUTE_PGM_RSRC2:USER_SGPR: 13
; COMPUTE_PGM_RSRC2:TRAP_HANDLER: 0
; COMPUTE_PGM_RSRC2:TGID_X_EN: 1
; COMPUTE_PGM_RSRC2:TGID_Y_EN: 1
; COMPUTE_PGM_RSRC2:TGID_Z_EN: 1
; COMPUTE_PGM_RSRC2:TIDIG_COMP_CNT: 0
	.section	.text._ZN2at6native12_GLOBAL__N_130reflection_pad1d_backward_flatIN3c104HalfEEEvPT_PKS5_llll,"axG",@progbits,_ZN2at6native12_GLOBAL__N_130reflection_pad1d_backward_flatIN3c104HalfEEEvPT_PKS5_llll,comdat
	.globl	_ZN2at6native12_GLOBAL__N_130reflection_pad1d_backward_flatIN3c104HalfEEEvPT_PKS5_llll ; -- Begin function _ZN2at6native12_GLOBAL__N_130reflection_pad1d_backward_flatIN3c104HalfEEEvPT_PKS5_llll
	.p2align	8
	.type	_ZN2at6native12_GLOBAL__N_130reflection_pad1d_backward_flatIN3c104HalfEEEvPT_PKS5_llll,@function
_ZN2at6native12_GLOBAL__N_130reflection_pad1d_backward_flatIN3c104HalfEEEvPT_PKS5_llll: ; @_ZN2at6native12_GLOBAL__N_130reflection_pad1d_backward_flatIN3c104HalfEEEvPT_PKS5_llll
; %bb.0:
	s_clause 0x1
	s_load_b32 s2, s[0:1], 0x3c
	s_load_b256 s[4:11], s[0:1], 0x10
	v_mov_b32_e32 v2, 0
	s_add_u32 s12, s0, 48
	s_addc_u32 s13, s1, 0
	s_mov_b32 s22, 0
	s_delay_alu instid0(VALU_DEP_1) | instskip(SKIP_3) | instid1(VALU_DEP_1)
	v_mov_b32_e32 v1, v2
	s_waitcnt lgkmcnt(0)
	s_and_b32 s16, s2, 0xffff
	s_mul_i32 s2, s10, s9
	v_mad_u64_u32 v[4:5], null, s16, s15, v[0:1]
	s_mul_hi_u32 s3, s10, s8
	s_delay_alu instid0(SALU_CYCLE_1) | instskip(SKIP_1) | instid1(SALU_CYCLE_1)
	s_add_i32 s2, s3, s2
	s_mul_i32 s3, s11, s8
	s_add_i32 s3, s2, s3
	s_mul_i32 s2, s10, s8
	s_mov_b32 s10, exec_lo
	s_delay_alu instid0(VALU_DEP_1)
	v_cmpx_gt_i64_e64 s[2:3], v[4:5]
	s_cbranch_execz .LBB54_19
; %bb.1:
	v_cvt_f32_u32_e32 v0, s8
	s_lshl_b64 s[10:11], s[4:5], 1
	s_load_b32 s17, s[12:13], 0x0
	s_add_u32 s10, s10, -2
	s_addc_u32 s11, s11, -1
	v_rcp_iflag_f32_e32 v0, v0
	s_sub_i32 s12, 0, s8
	v_cmp_gt_i64_e64 s25, s[10:11], 0
	s_ashr_i32 s18, s11, 31
	s_sub_i32 s26, 0, s10
	s_waitcnt_depctr 0xfff
	v_mul_f32_e32 v0, 0x4f7ffffe, v0
	s_delay_alu instid0(VALU_DEP_1)
	v_cvt_u32_f32_e32 v0, v0
	s_waitcnt lgkmcnt(0)
	s_mul_hi_u32 s23, s16, s17
	s_mul_i32 s24, s16, s17
	s_ashr_i32 s16, s9, 31
	v_mul_lo_u32 v1, s12, v0
	s_load_b128 s[12:15], s[0:1], 0x0
	s_delay_alu instid0(VALU_DEP_1) | instskip(NEXT) | instid1(VALU_DEP_1)
	v_mul_hi_u32 v1, v0, v1
	v_add_nc_u32_e32 v8, v0, v1
	s_branch .LBB54_3
.LBB54_2:                               ;   in Loop: Header=BB54_3 Depth=1
	s_set_inst_prefetch_distance 0x2
	s_or_b32 exec_lo, exec_lo, s17
	v_add_co_u32 v4, vcc_lo, v4, s24
	v_add_co_ci_u32_e32 v5, vcc_lo, s23, v5, vcc_lo
	s_delay_alu instid0(VALU_DEP_1) | instskip(SKIP_1) | instid1(SALU_CYCLE_1)
	v_cmp_le_i64_e32 vcc_lo, s[2:3], v[4:5]
	s_or_b32 s22, vcc_lo, s22
	s_and_not1_b32 exec_lo, exec_lo, s22
	s_cbranch_execz .LBB54_19
.LBB54_3:                               ; =>This Loop Header: Depth=1
                                        ;     Child Loop BB54_15 Depth 2
	v_or_b32_e32 v3, s9, v5
                                        ; implicit-def: $vgpr0_vgpr1
	s_mov_b32 s0, exec_lo
	s_delay_alu instid0(VALU_DEP_1)
	v_cmpx_ne_u64_e32 0, v[2:3]
	s_xor_b32 s1, exec_lo, s0
	s_cbranch_execz .LBB54_5
; %bb.4:                                ;   in Loop: Header=BB54_3 Depth=1
	s_add_u32 s20, s8, s16
	s_mov_b32 s17, s16
	s_addc_u32 s21, s9, s16
	s_delay_alu instid0(SALU_CYCLE_1) | instskip(NEXT) | instid1(SALU_CYCLE_1)
	s_xor_b64 s[20:21], s[20:21], s[16:17]
	v_cvt_f32_u32_e32 v0, s20
	v_cvt_f32_u32_e32 v1, s21
	s_sub_u32 s0, 0, s20
	s_subb_u32 s17, 0, s21
	s_delay_alu instid0(VALU_DEP_1) | instskip(NEXT) | instid1(VALU_DEP_1)
	v_fmac_f32_e32 v0, 0x4f800000, v1
	v_rcp_f32_e32 v0, v0
	s_waitcnt_depctr 0xfff
	v_mul_f32_e32 v0, 0x5f7ffffc, v0
	s_delay_alu instid0(VALU_DEP_1) | instskip(NEXT) | instid1(VALU_DEP_1)
	v_mul_f32_e32 v1, 0x2f800000, v0
	v_trunc_f32_e32 v1, v1
	s_delay_alu instid0(VALU_DEP_1) | instskip(SKIP_1) | instid1(VALU_DEP_2)
	v_fmac_f32_e32 v0, 0xcf800000, v1
	v_cvt_u32_f32_e32 v1, v1
	v_cvt_u32_f32_e32 v0, v0
	s_delay_alu instid0(VALU_DEP_2) | instskip(NEXT) | instid1(VALU_DEP_2)
	v_mul_lo_u32 v3, s0, v1
	v_mul_hi_u32 v6, s0, v0
	v_mul_lo_u32 v7, s17, v0
	s_delay_alu instid0(VALU_DEP_2) | instskip(SKIP_1) | instid1(VALU_DEP_2)
	v_add_nc_u32_e32 v3, v6, v3
	v_mul_lo_u32 v6, s0, v0
	v_add_nc_u32_e32 v3, v3, v7
	s_delay_alu instid0(VALU_DEP_2) | instskip(NEXT) | instid1(VALU_DEP_2)
	v_mul_hi_u32 v7, v0, v6
	v_mul_lo_u32 v9, v0, v3
	v_mul_hi_u32 v10, v0, v3
	v_mul_hi_u32 v11, v1, v6
	v_mul_lo_u32 v6, v1, v6
	v_mul_hi_u32 v12, v1, v3
	v_mul_lo_u32 v3, v1, v3
	v_add_co_u32 v7, vcc_lo, v7, v9
	v_add_co_ci_u32_e32 v9, vcc_lo, 0, v10, vcc_lo
	s_delay_alu instid0(VALU_DEP_2) | instskip(NEXT) | instid1(VALU_DEP_2)
	v_add_co_u32 v6, vcc_lo, v7, v6
	v_add_co_ci_u32_e32 v6, vcc_lo, v9, v11, vcc_lo
	v_add_co_ci_u32_e32 v7, vcc_lo, 0, v12, vcc_lo
	v_ashrrev_i32_e32 v11, 31, v5
	s_delay_alu instid0(VALU_DEP_3) | instskip(NEXT) | instid1(VALU_DEP_3)
	v_add_co_u32 v3, vcc_lo, v6, v3
	v_add_co_ci_u32_e32 v6, vcc_lo, 0, v7, vcc_lo
	s_delay_alu instid0(VALU_DEP_2) | instskip(NEXT) | instid1(VALU_DEP_2)
	v_add_co_u32 v0, vcc_lo, v0, v3
	v_add_co_ci_u32_e32 v1, vcc_lo, v1, v6, vcc_lo
	s_delay_alu instid0(VALU_DEP_2) | instskip(SKIP_1) | instid1(VALU_DEP_3)
	v_mul_hi_u32 v3, s0, v0
	v_mul_lo_u32 v7, s17, v0
	v_mul_lo_u32 v6, s0, v1
	s_delay_alu instid0(VALU_DEP_1) | instskip(SKIP_1) | instid1(VALU_DEP_2)
	v_add_nc_u32_e32 v3, v3, v6
	v_mul_lo_u32 v6, s0, v0
	v_add_nc_u32_e32 v3, v3, v7
	s_delay_alu instid0(VALU_DEP_2) | instskip(NEXT) | instid1(VALU_DEP_2)
	v_mul_hi_u32 v7, v0, v6
	v_mul_lo_u32 v9, v0, v3
	v_mul_hi_u32 v10, v0, v3
	v_mul_hi_u32 v12, v1, v6
	v_mul_lo_u32 v6, v1, v6
	v_mul_hi_u32 v13, v1, v3
	v_mul_lo_u32 v3, v1, v3
	v_add_co_u32 v7, vcc_lo, v7, v9
	v_add_co_ci_u32_e32 v9, vcc_lo, 0, v10, vcc_lo
	s_delay_alu instid0(VALU_DEP_2) | instskip(NEXT) | instid1(VALU_DEP_2)
	v_add_co_u32 v6, vcc_lo, v7, v6
	v_add_co_ci_u32_e32 v6, vcc_lo, v9, v12, vcc_lo
	v_add_co_ci_u32_e32 v7, vcc_lo, 0, v13, vcc_lo
	v_add_co_u32 v9, vcc_lo, v4, v11
	v_add_co_ci_u32_e32 v10, vcc_lo, v5, v11, vcc_lo
	s_delay_alu instid0(VALU_DEP_4) | instskip(NEXT) | instid1(VALU_DEP_4)
	v_add_co_u32 v3, vcc_lo, v6, v3
	v_add_co_ci_u32_e32 v6, vcc_lo, 0, v7, vcc_lo
	s_delay_alu instid0(VALU_DEP_4) | instskip(NEXT) | instid1(VALU_DEP_3)
	v_xor_b32_e32 v12, v9, v11
	v_add_co_u32 v3, vcc_lo, v0, v3
	s_delay_alu instid0(VALU_DEP_3) | instskip(SKIP_1) | instid1(VALU_DEP_3)
	v_add_co_ci_u32_e32 v13, vcc_lo, v1, v6, vcc_lo
	v_xor_b32_e32 v14, v10, v11
	v_mul_hi_u32 v15, v12, v3
	s_delay_alu instid0(VALU_DEP_3) | instskip(NEXT) | instid1(VALU_DEP_3)
	v_mad_u64_u32 v[0:1], null, v12, v13, 0
	v_mad_u64_u32 v[6:7], null, v14, v3, 0
	;; [unrolled: 1-line block ×3, first 2 shown]
	s_delay_alu instid0(VALU_DEP_3) | instskip(NEXT) | instid1(VALU_DEP_4)
	v_add_co_u32 v0, vcc_lo, v15, v0
	v_add_co_ci_u32_e32 v1, vcc_lo, 0, v1, vcc_lo
	s_delay_alu instid0(VALU_DEP_2) | instskip(NEXT) | instid1(VALU_DEP_2)
	v_add_co_u32 v0, vcc_lo, v0, v6
	v_add_co_ci_u32_e32 v0, vcc_lo, v1, v7, vcc_lo
	v_add_co_ci_u32_e32 v1, vcc_lo, 0, v10, vcc_lo
	s_delay_alu instid0(VALU_DEP_2) | instskip(NEXT) | instid1(VALU_DEP_2)
	v_add_co_u32 v3, vcc_lo, v0, v9
	v_add_co_ci_u32_e32 v6, vcc_lo, 0, v1, vcc_lo
	s_delay_alu instid0(VALU_DEP_2) | instskip(SKIP_1) | instid1(VALU_DEP_3)
	v_mul_lo_u32 v7, s21, v3
	v_mad_u64_u32 v[0:1], null, s20, v3, 0
	v_mul_lo_u32 v9, s20, v6
	s_delay_alu instid0(VALU_DEP_2) | instskip(NEXT) | instid1(VALU_DEP_2)
	v_sub_co_u32 v0, vcc_lo, v12, v0
	v_add3_u32 v1, v1, v9, v7
	s_delay_alu instid0(VALU_DEP_1) | instskip(NEXT) | instid1(VALU_DEP_1)
	v_sub_nc_u32_e32 v7, v14, v1
	v_subrev_co_ci_u32_e64 v7, s0, s21, v7, vcc_lo
	v_add_co_u32 v9, s0, v3, 2
	s_delay_alu instid0(VALU_DEP_1) | instskip(SKIP_3) | instid1(VALU_DEP_3)
	v_add_co_ci_u32_e64 v10, s0, 0, v6, s0
	v_sub_co_u32 v12, s0, v0, s20
	v_sub_co_ci_u32_e32 v1, vcc_lo, v14, v1, vcc_lo
	v_subrev_co_ci_u32_e64 v7, s0, 0, v7, s0
	v_cmp_le_u32_e32 vcc_lo, s20, v12
	s_delay_alu instid0(VALU_DEP_3) | instskip(SKIP_1) | instid1(VALU_DEP_4)
	v_cmp_eq_u32_e64 s0, s21, v1
	v_cndmask_b32_e64 v12, 0, -1, vcc_lo
	v_cmp_le_u32_e32 vcc_lo, s21, v7
	v_cndmask_b32_e64 v13, 0, -1, vcc_lo
	v_cmp_le_u32_e32 vcc_lo, s20, v0
	;; [unrolled: 2-line block ×3, first 2 shown]
	v_cndmask_b32_e64 v14, 0, -1, vcc_lo
	v_cmp_eq_u32_e32 vcc_lo, s21, v7
	s_delay_alu instid0(VALU_DEP_2) | instskip(SKIP_3) | instid1(VALU_DEP_3)
	v_cndmask_b32_e64 v0, v14, v0, s0
	v_cndmask_b32_e32 v7, v13, v12, vcc_lo
	v_add_co_u32 v12, vcc_lo, v3, 1
	v_add_co_ci_u32_e32 v13, vcc_lo, 0, v6, vcc_lo
	v_cmp_ne_u32_e32 vcc_lo, 0, v7
	s_delay_alu instid0(VALU_DEP_2) | instskip(NEXT) | instid1(VALU_DEP_4)
	v_cndmask_b32_e32 v1, v13, v10, vcc_lo
	v_cndmask_b32_e32 v7, v12, v9, vcc_lo
	v_cmp_ne_u32_e32 vcc_lo, 0, v0
	v_xor_b32_e32 v9, s16, v11
	s_delay_alu instid0(VALU_DEP_3) | instskip(NEXT) | instid1(VALU_DEP_1)
	v_dual_cndmask_b32 v0, v6, v1 :: v_dual_cndmask_b32 v1, v3, v7
	v_xor_b32_e32 v3, v0, v9
	s_delay_alu instid0(VALU_DEP_2) | instskip(NEXT) | instid1(VALU_DEP_1)
	v_xor_b32_e32 v1, v1, v9
	v_sub_co_u32 v0, vcc_lo, v1, v9
	s_delay_alu instid0(VALU_DEP_3)
	v_sub_co_ci_u32_e32 v1, vcc_lo, v3, v9, vcc_lo
.LBB54_5:                               ;   in Loop: Header=BB54_3 Depth=1
	s_and_not1_saveexec_b32 s0, s1
; %bb.6:                                ;   in Loop: Header=BB54_3 Depth=1
	v_mul_hi_u32 v0, v4, v8
	s_delay_alu instid0(VALU_DEP_1) | instskip(SKIP_1) | instid1(VALU_DEP_2)
	v_mul_lo_u32 v1, v0, s8
	v_add_nc_u32_e32 v3, 1, v0
	v_sub_nc_u32_e32 v1, v4, v1
	s_delay_alu instid0(VALU_DEP_1) | instskip(SKIP_1) | instid1(VALU_DEP_2)
	v_subrev_nc_u32_e32 v6, s8, v1
	v_cmp_le_u32_e32 vcc_lo, s8, v1
	v_dual_cndmask_b32 v1, v1, v6 :: v_dual_cndmask_b32 v0, v0, v3
	s_delay_alu instid0(VALU_DEP_1) | instskip(NEXT) | instid1(VALU_DEP_2)
	v_cmp_le_u32_e32 vcc_lo, s8, v1
	v_add_nc_u32_e32 v3, 1, v0
	s_delay_alu instid0(VALU_DEP_1)
	v_dual_mov_b32 v1, v2 :: v_dual_cndmask_b32 v0, v0, v3
; %bb.7:                                ;   in Loop: Header=BB54_3 Depth=1
	s_or_b32 exec_lo, exec_lo, s0
	v_mov_b32_e32 v6, 0
	v_mov_b32_e32 v7, 0
	s_and_not1_b32 vcc_lo, exec_lo, s25
	s_cbranch_vccnz .LBB54_13
; %bb.8:                                ;   in Loop: Header=BB54_3 Depth=1
	v_mad_u64_u32 v[6:7], null, v0, s8, s[6:7]
	v_mul_lo_u32 v3, v0, s9
	v_mul_lo_u32 v9, v1, s8
	s_mov_b32 s0, exec_lo
	s_delay_alu instid0(VALU_DEP_1) | instskip(NEXT) | instid1(VALU_DEP_4)
	v_add3_u32 v3, v9, v7, v3
	v_sub_co_u32 v9, vcc_lo, v4, v6
                                        ; implicit-def: $vgpr6_vgpr7
	s_delay_alu instid0(VALU_DEP_2) | instskip(NEXT) | instid1(VALU_DEP_1)
	v_sub_co_ci_u32_e32 v10, vcc_lo, v5, v3, vcc_lo
	v_or_b32_e32 v3, s11, v10
	s_delay_alu instid0(VALU_DEP_1)
	v_cmpx_ne_u64_e32 0, v[2:3]
	s_xor_b32 s1, exec_lo, s0
	s_cbranch_execz .LBB54_10
; %bb.9:                                ;   in Loop: Header=BB54_3 Depth=1
	s_add_u32 s20, s10, s18
	s_mov_b32 s19, s18
	s_addc_u32 s21, s11, s18
	s_delay_alu instid0(SALU_CYCLE_1) | instskip(NEXT) | instid1(SALU_CYCLE_1)
	s_xor_b64 s[20:21], s[20:21], s[18:19]
	v_cvt_f32_u32_e32 v3, s20
	v_cvt_f32_u32_e32 v6, s21
	s_sub_u32 s0, 0, s20
	s_subb_u32 s17, 0, s21
	s_delay_alu instid0(VALU_DEP_1) | instskip(NEXT) | instid1(VALU_DEP_1)
	v_fmac_f32_e32 v3, 0x4f800000, v6
	v_rcp_f32_e32 v3, v3
	s_waitcnt_depctr 0xfff
	v_mul_f32_e32 v3, 0x5f7ffffc, v3
	s_delay_alu instid0(VALU_DEP_1) | instskip(NEXT) | instid1(VALU_DEP_1)
	v_mul_f32_e32 v6, 0x2f800000, v3
	v_trunc_f32_e32 v6, v6
	s_delay_alu instid0(VALU_DEP_1) | instskip(SKIP_1) | instid1(VALU_DEP_2)
	v_fmac_f32_e32 v3, 0xcf800000, v6
	v_cvt_u32_f32_e32 v6, v6
	v_cvt_u32_f32_e32 v3, v3
	s_delay_alu instid0(VALU_DEP_2) | instskip(NEXT) | instid1(VALU_DEP_2)
	v_mul_lo_u32 v7, s0, v6
	v_mul_hi_u32 v11, s0, v3
	v_mul_lo_u32 v12, s17, v3
	s_delay_alu instid0(VALU_DEP_2) | instskip(SKIP_1) | instid1(VALU_DEP_2)
	v_add_nc_u32_e32 v7, v11, v7
	v_mul_lo_u32 v11, s0, v3
	v_add_nc_u32_e32 v7, v7, v12
	s_delay_alu instid0(VALU_DEP_2) | instskip(NEXT) | instid1(VALU_DEP_2)
	v_mul_hi_u32 v12, v3, v11
	v_mul_lo_u32 v13, v3, v7
	v_mul_hi_u32 v14, v3, v7
	v_mul_hi_u32 v15, v6, v11
	v_mul_lo_u32 v11, v6, v11
	v_mul_hi_u32 v16, v6, v7
	v_mul_lo_u32 v7, v6, v7
	v_add_co_u32 v12, vcc_lo, v12, v13
	v_add_co_ci_u32_e32 v13, vcc_lo, 0, v14, vcc_lo
	s_delay_alu instid0(VALU_DEP_2) | instskip(NEXT) | instid1(VALU_DEP_2)
	v_add_co_u32 v11, vcc_lo, v12, v11
	v_add_co_ci_u32_e32 v11, vcc_lo, v13, v15, vcc_lo
	v_add_co_ci_u32_e32 v12, vcc_lo, 0, v16, vcc_lo
	v_ashrrev_i32_e32 v15, 31, v10
	s_delay_alu instid0(VALU_DEP_3) | instskip(NEXT) | instid1(VALU_DEP_3)
	v_add_co_u32 v7, vcc_lo, v11, v7
	v_add_co_ci_u32_e32 v11, vcc_lo, 0, v12, vcc_lo
	s_delay_alu instid0(VALU_DEP_2) | instskip(NEXT) | instid1(VALU_DEP_2)
	v_add_co_u32 v3, vcc_lo, v3, v7
	v_add_co_ci_u32_e32 v6, vcc_lo, v6, v11, vcc_lo
	s_delay_alu instid0(VALU_DEP_2) | instskip(SKIP_1) | instid1(VALU_DEP_3)
	v_mul_hi_u32 v7, s0, v3
	v_mul_lo_u32 v12, s17, v3
	v_mul_lo_u32 v11, s0, v6
	s_delay_alu instid0(VALU_DEP_1) | instskip(SKIP_1) | instid1(VALU_DEP_2)
	v_add_nc_u32_e32 v7, v7, v11
	v_mul_lo_u32 v11, s0, v3
	v_add_nc_u32_e32 v7, v7, v12
	s_delay_alu instid0(VALU_DEP_2) | instskip(NEXT) | instid1(VALU_DEP_2)
	v_mul_hi_u32 v12, v3, v11
	v_mul_lo_u32 v13, v3, v7
	v_mul_hi_u32 v14, v3, v7
	v_mul_hi_u32 v16, v6, v11
	v_mul_lo_u32 v11, v6, v11
	v_mul_hi_u32 v17, v6, v7
	v_mul_lo_u32 v7, v6, v7
	v_add_co_u32 v12, vcc_lo, v12, v13
	v_add_co_ci_u32_e32 v13, vcc_lo, 0, v14, vcc_lo
	s_delay_alu instid0(VALU_DEP_2) | instskip(NEXT) | instid1(VALU_DEP_2)
	v_add_co_u32 v11, vcc_lo, v12, v11
	v_add_co_ci_u32_e32 v11, vcc_lo, v13, v16, vcc_lo
	v_add_co_ci_u32_e32 v12, vcc_lo, 0, v17, vcc_lo
	v_add_co_u32 v9, vcc_lo, v9, v15
	v_add_co_ci_u32_e32 v10, vcc_lo, v10, v15, vcc_lo
	s_delay_alu instid0(VALU_DEP_4) | instskip(NEXT) | instid1(VALU_DEP_4)
	v_add_co_u32 v7, vcc_lo, v11, v7
	v_add_co_ci_u32_e32 v11, vcc_lo, 0, v12, vcc_lo
	s_delay_alu instid0(VALU_DEP_4) | instskip(NEXT) | instid1(VALU_DEP_3)
	v_xor_b32_e32 v13, v9, v15
	v_add_co_u32 v3, vcc_lo, v3, v7
	s_delay_alu instid0(VALU_DEP_3) | instskip(SKIP_1) | instid1(VALU_DEP_3)
	v_add_co_ci_u32_e32 v14, vcc_lo, v6, v11, vcc_lo
	v_xor_b32_e32 v16, v10, v15
	v_mul_hi_u32 v17, v13, v3
	s_delay_alu instid0(VALU_DEP_3) | instskip(NEXT) | instid1(VALU_DEP_3)
	v_mad_u64_u32 v[6:7], null, v13, v14, 0
	v_mad_u64_u32 v[9:10], null, v16, v3, 0
	;; [unrolled: 1-line block ×3, first 2 shown]
	s_delay_alu instid0(VALU_DEP_3) | instskip(NEXT) | instid1(VALU_DEP_4)
	v_add_co_u32 v3, vcc_lo, v17, v6
	v_add_co_ci_u32_e32 v6, vcc_lo, 0, v7, vcc_lo
	s_delay_alu instid0(VALU_DEP_2) | instskip(NEXT) | instid1(VALU_DEP_2)
	v_add_co_u32 v3, vcc_lo, v3, v9
	v_add_co_ci_u32_e32 v3, vcc_lo, v6, v10, vcc_lo
	v_add_co_ci_u32_e32 v6, vcc_lo, 0, v12, vcc_lo
	s_delay_alu instid0(VALU_DEP_2) | instskip(NEXT) | instid1(VALU_DEP_2)
	v_add_co_u32 v3, vcc_lo, v3, v11
	v_add_co_ci_u32_e32 v9, vcc_lo, 0, v6, vcc_lo
	s_delay_alu instid0(VALU_DEP_2) | instskip(SKIP_1) | instid1(VALU_DEP_3)
	v_mul_lo_u32 v10, s21, v3
	v_mad_u64_u32 v[6:7], null, s20, v3, 0
	v_mul_lo_u32 v3, s20, v9
	s_delay_alu instid0(VALU_DEP_2) | instskip(NEXT) | instid1(VALU_DEP_2)
	v_sub_co_u32 v6, vcc_lo, v13, v6
	v_add3_u32 v3, v7, v3, v10
	s_delay_alu instid0(VALU_DEP_1) | instskip(NEXT) | instid1(VALU_DEP_1)
	v_sub_nc_u32_e32 v7, v16, v3
	v_subrev_co_ci_u32_e64 v7, s0, s21, v7, vcc_lo
	v_sub_co_ci_u32_e32 v3, vcc_lo, v16, v3, vcc_lo
	v_sub_co_u32 v9, vcc_lo, v6, s20
	s_delay_alu instid0(VALU_DEP_1) | instskip(SKIP_3) | instid1(VALU_DEP_3)
	v_subrev_co_ci_u32_e64 v10, s0, 0, v7, vcc_lo
	v_cmp_le_u32_e64 s0, s20, v6
	v_subrev_co_ci_u32_e32 v7, vcc_lo, s21, v7, vcc_lo
	v_cmp_le_u32_e32 vcc_lo, s21, v3
	v_cndmask_b32_e64 v11, 0, -1, s0
	v_cmp_le_u32_e64 s0, s20, v9
	v_cndmask_b32_e64 v14, 0, -1, vcc_lo
	v_cmp_eq_u32_e32 vcc_lo, s21, v10
	s_delay_alu instid0(VALU_DEP_3) | instskip(SKIP_1) | instid1(VALU_DEP_1)
	v_cndmask_b32_e64 v12, 0, -1, s0
	v_cmp_le_u32_e64 s0, s21, v10
	v_cndmask_b32_e64 v13, 0, -1, s0
	v_cmp_eq_u32_e64 s0, s21, v3
	s_delay_alu instid0(VALU_DEP_2) | instskip(SKIP_2) | instid1(VALU_DEP_3)
	v_cndmask_b32_e32 v12, v13, v12, vcc_lo
	v_sub_co_u32 v13, vcc_lo, v9, s20
	v_subrev_co_ci_u32_e32 v7, vcc_lo, 0, v7, vcc_lo
	v_cmp_ne_u32_e32 vcc_lo, 0, v12
	v_cndmask_b32_e64 v11, v14, v11, s0
	s_delay_alu instid0(VALU_DEP_3) | instskip(SKIP_1) | instid1(VALU_DEP_3)
	v_cndmask_b32_e32 v7, v10, v7, vcc_lo
	v_cndmask_b32_e32 v9, v9, v13, vcc_lo
	v_cmp_ne_u32_e32 vcc_lo, 0, v11
	s_delay_alu instid0(VALU_DEP_2) | instskip(NEXT) | instid1(VALU_DEP_1)
	v_dual_cndmask_b32 v6, v6, v9 :: v_dual_cndmask_b32 v3, v3, v7
                                        ; implicit-def: $vgpr9
	v_xor_b32_e32 v6, v6, v15
	s_delay_alu instid0(VALU_DEP_2) | instskip(NEXT) | instid1(VALU_DEP_2)
	v_xor_b32_e32 v3, v3, v15
	v_sub_co_u32 v6, vcc_lo, v6, v15
	s_delay_alu instid0(VALU_DEP_2)
	v_sub_co_ci_u32_e32 v7, vcc_lo, v3, v15, vcc_lo
.LBB54_10:                              ;   in Loop: Header=BB54_3 Depth=1
	s_and_not1_saveexec_b32 s0, s1
	s_cbranch_execz .LBB54_12
; %bb.11:                               ;   in Loop: Header=BB54_3 Depth=1
	v_cvt_f32_u32_e32 v3, s10
	v_mov_b32_e32 v7, v2
	s_delay_alu instid0(VALU_DEP_2) | instskip(SKIP_2) | instid1(VALU_DEP_1)
	v_rcp_iflag_f32_e32 v3, v3
	s_waitcnt_depctr 0xfff
	v_mul_f32_e32 v3, 0x4f7ffffe, v3
	v_cvt_u32_f32_e32 v3, v3
	s_delay_alu instid0(VALU_DEP_1) | instskip(NEXT) | instid1(VALU_DEP_1)
	v_mul_lo_u32 v6, s26, v3
	v_mul_hi_u32 v6, v3, v6
	s_delay_alu instid0(VALU_DEP_1) | instskip(NEXT) | instid1(VALU_DEP_1)
	v_add_nc_u32_e32 v3, v3, v6
	v_mul_hi_u32 v3, v9, v3
	s_delay_alu instid0(VALU_DEP_1) | instskip(NEXT) | instid1(VALU_DEP_1)
	v_mul_lo_u32 v3, v3, s10
	v_sub_nc_u32_e32 v3, v9, v3
	s_delay_alu instid0(VALU_DEP_1) | instskip(SKIP_1) | instid1(VALU_DEP_2)
	v_subrev_nc_u32_e32 v6, s10, v3
	v_cmp_le_u32_e32 vcc_lo, s10, v3
	v_cndmask_b32_e32 v3, v3, v6, vcc_lo
	s_delay_alu instid0(VALU_DEP_1) | instskip(SKIP_1) | instid1(VALU_DEP_2)
	v_subrev_nc_u32_e32 v6, s10, v3
	v_cmp_le_u32_e32 vcc_lo, s10, v3
	v_cndmask_b32_e32 v6, v3, v6, vcc_lo
.LBB54_12:                              ;   in Loop: Header=BB54_3 Depth=1
	s_or_b32 exec_lo, exec_lo, s0
	s_delay_alu instid0(VALU_DEP_1) | instskip(NEXT) | instid1(VALU_DEP_1)
	v_ashrrev_i32_e32 v3, 31, v7
	v_and_b32_e32 v9, s10, v3
	v_and_b32_e32 v3, s11, v3
	s_delay_alu instid0(VALU_DEP_2) | instskip(NEXT) | instid1(VALU_DEP_2)
	v_add_co_u32 v6, vcc_lo, v9, v6
	v_add_co_ci_u32_e32 v7, vcc_lo, v3, v7, vcc_lo
	s_delay_alu instid0(VALU_DEP_2) | instskip(NEXT) | instid1(VALU_DEP_2)
	v_sub_co_u32 v3, vcc_lo, s10, v6
	v_sub_co_ci_u32_e32 v9, vcc_lo, s11, v7, vcc_lo
	v_cmp_gt_i64_e32 vcc_lo, s[4:5], v[6:7]
	s_delay_alu instid0(VALU_DEP_2)
	v_dual_cndmask_b32 v6, v3, v6 :: v_dual_cndmask_b32 v7, v9, v7
.LBB54_13:                              ;   in Loop: Header=BB54_3 Depth=1
	v_mul_lo_u32 v1, v1, s4
	v_mul_lo_u32 v3, v0, s5
	v_mad_u64_u32 v[9:10], null, v0, s4, 0
	s_delay_alu instid0(VALU_DEP_4) | instskip(SKIP_1) | instid1(VALU_DEP_2)
	v_lshlrev_b64 v[6:7], 1, v[6:7]
	s_mov_b32 s17, 0
	v_add3_u32 v10, v10, v3, v1
	s_delay_alu instid0(VALU_DEP_1) | instskip(SKIP_2) | instid1(VALU_DEP_2)
	v_lshlrev_b64 v[0:1], 1, v[9:10]
	v_lshlrev_b64 v[9:10], 1, v[4:5]
	s_waitcnt lgkmcnt(0)
	v_add_co_u32 v0, vcc_lo, s12, v0
	s_delay_alu instid0(VALU_DEP_3) | instskip(NEXT) | instid1(VALU_DEP_2)
	v_add_co_ci_u32_e32 v1, vcc_lo, s13, v1, vcc_lo
	v_add_co_u32 v11, vcc_lo, v0, v6
	s_delay_alu instid0(VALU_DEP_2) | instskip(SKIP_2) | instid1(VALU_DEP_4)
	v_add_co_ci_u32_e32 v1, vcc_lo, v1, v7, vcc_lo
	v_add_co_u32 v6, vcc_lo, s14, v9
	v_add_co_ci_u32_e32 v7, vcc_lo, s15, v10, vcc_lo
	v_and_b32_e32 v0, -3, v11
	global_load_u16 v3, v[6:7], off
	global_load_b32 v7, v[0:1], off
	v_dual_mov_b32 v10, v2 :: v_dual_and_b32 v9, 2, v11
	s_delay_alu instid0(VALU_DEP_1) | instskip(NEXT) | instid1(VALU_DEP_2)
	v_cmp_ne_u32_e64 s0, 0, v9
	v_cmp_eq_u64_e32 vcc_lo, 0, v[9:10]
	s_set_inst_prefetch_distance 0x1
	s_branch .LBB54_15
	.p2align	6
.LBB54_14:                              ;   in Loop: Header=BB54_15 Depth=2
	s_or_b32 exec_lo, exec_lo, s1
	global_atomic_cmpswap_b32 v6, v[0:1], v[6:7], off glc
	s_waitcnt vmcnt(0)
	v_cmp_eq_u32_e64 s1, v7, v6
	v_mov_b32_e32 v7, v6
	s_delay_alu instid0(VALU_DEP_2) | instskip(NEXT) | instid1(SALU_CYCLE_1)
	s_or_b32 s17, s1, s17
	s_and_not1_b32 exec_lo, exec_lo, s17
	s_cbranch_execz .LBB54_2
.LBB54_15:                              ;   Parent Loop BB54_3 Depth=1
                                        ; =>  This Inner Loop Header: Depth=2
	s_waitcnt vmcnt(0)
	v_lshrrev_b32_e32 v6, 16, v7
	s_delay_alu instid0(VALU_DEP_1) | instskip(NEXT) | instid1(VALU_DEP_1)
	v_cndmask_b32_e32 v6, v6, v7, vcc_lo
	v_add_f16_e32 v6, v3, v6
	s_delay_alu instid0(VALU_DEP_1) | instskip(SKIP_1) | instid1(SALU_CYCLE_1)
	v_and_b32_e32 v9, 0xffff, v6
	s_and_saveexec_b32 s1, s0
	s_xor_b32 s1, exec_lo, s1
; %bb.16:                               ;   in Loop: Header=BB54_15 Depth=2
	v_and_b32_e32 v6, 0xffff, v7
	s_delay_alu instid0(VALU_DEP_1)
	v_lshl_or_b32 v6, v9, 16, v6
                                        ; implicit-def: $vgpr9
; %bb.17:                               ;   in Loop: Header=BB54_15 Depth=2
	s_and_not1_saveexec_b32 s1, s1
	s_cbranch_execz .LBB54_14
; %bb.18:                               ;   in Loop: Header=BB54_15 Depth=2
	v_and_or_b32 v6, 0xffff0000, v7, v9
	s_branch .LBB54_14
.LBB54_19:
	s_endpgm
	.section	.rodata,"a",@progbits
	.p2align	6, 0x0
	.amdhsa_kernel _ZN2at6native12_GLOBAL__N_130reflection_pad1d_backward_flatIN3c104HalfEEEvPT_PKS5_llll
		.amdhsa_group_segment_fixed_size 0
		.amdhsa_private_segment_fixed_size 0
		.amdhsa_kernarg_size 304
		.amdhsa_user_sgpr_count 15
		.amdhsa_user_sgpr_dispatch_ptr 0
		.amdhsa_user_sgpr_queue_ptr 0
		.amdhsa_user_sgpr_kernarg_segment_ptr 1
		.amdhsa_user_sgpr_dispatch_id 0
		.amdhsa_user_sgpr_private_segment_size 0
		.amdhsa_wavefront_size32 1
		.amdhsa_uses_dynamic_stack 0
		.amdhsa_enable_private_segment 0
		.amdhsa_system_sgpr_workgroup_id_x 1
		.amdhsa_system_sgpr_workgroup_id_y 0
		.amdhsa_system_sgpr_workgroup_id_z 0
		.amdhsa_system_sgpr_workgroup_info 0
		.amdhsa_system_vgpr_workitem_id 0
		.amdhsa_next_free_vgpr 18
		.amdhsa_next_free_sgpr 27
		.amdhsa_reserve_vcc 1
		.amdhsa_float_round_mode_32 0
		.amdhsa_float_round_mode_16_64 0
		.amdhsa_float_denorm_mode_32 3
		.amdhsa_float_denorm_mode_16_64 3
		.amdhsa_dx10_clamp 1
		.amdhsa_ieee_mode 1
		.amdhsa_fp16_overflow 0
		.amdhsa_workgroup_processor_mode 1
		.amdhsa_memory_ordered 1
		.amdhsa_forward_progress 0
		.amdhsa_shared_vgpr_count 0
		.amdhsa_exception_fp_ieee_invalid_op 0
		.amdhsa_exception_fp_denorm_src 0
		.amdhsa_exception_fp_ieee_div_zero 0
		.amdhsa_exception_fp_ieee_overflow 0
		.amdhsa_exception_fp_ieee_underflow 0
		.amdhsa_exception_fp_ieee_inexact 0
		.amdhsa_exception_int_div_zero 0
	.end_amdhsa_kernel
	.section	.text._ZN2at6native12_GLOBAL__N_130reflection_pad1d_backward_flatIN3c104HalfEEEvPT_PKS5_llll,"axG",@progbits,_ZN2at6native12_GLOBAL__N_130reflection_pad1d_backward_flatIN3c104HalfEEEvPT_PKS5_llll,comdat
.Lfunc_end54:
	.size	_ZN2at6native12_GLOBAL__N_130reflection_pad1d_backward_flatIN3c104HalfEEEvPT_PKS5_llll, .Lfunc_end54-_ZN2at6native12_GLOBAL__N_130reflection_pad1d_backward_flatIN3c104HalfEEEvPT_PKS5_llll
                                        ; -- End function
	.section	.AMDGPU.csdata,"",@progbits
; Kernel info:
; codeLenInByte = 2596
; NumSgprs: 29
; NumVgprs: 18
; ScratchSize: 0
; MemoryBound: 0
; FloatMode: 240
; IeeeMode: 1
; LDSByteSize: 0 bytes/workgroup (compile time only)
; SGPRBlocks: 3
; VGPRBlocks: 2
; NumSGPRsForWavesPerEU: 29
; NumVGPRsForWavesPerEU: 18
; Occupancy: 16
; WaveLimiterHint : 0
; COMPUTE_PGM_RSRC2:SCRATCH_EN: 0
; COMPUTE_PGM_RSRC2:USER_SGPR: 15
; COMPUTE_PGM_RSRC2:TRAP_HANDLER: 0
; COMPUTE_PGM_RSRC2:TGID_X_EN: 1
; COMPUTE_PGM_RSRC2:TGID_Y_EN: 0
; COMPUTE_PGM_RSRC2:TGID_Z_EN: 0
; COMPUTE_PGM_RSRC2:TIDIG_COMP_CNT: 0
	.section	.text._ZN2at6native12_GLOBAL__N_136reflection_pad1d_backward_out_kernelIN3c108BFloat16EEEvPT_PKS5_lll,"axG",@progbits,_ZN2at6native12_GLOBAL__N_136reflection_pad1d_backward_out_kernelIN3c108BFloat16EEEvPT_PKS5_lll,comdat
	.globl	_ZN2at6native12_GLOBAL__N_136reflection_pad1d_backward_out_kernelIN3c108BFloat16EEEvPT_PKS5_lll ; -- Begin function _ZN2at6native12_GLOBAL__N_136reflection_pad1d_backward_out_kernelIN3c108BFloat16EEEvPT_PKS5_lll
	.p2align	8
	.type	_ZN2at6native12_GLOBAL__N_136reflection_pad1d_backward_out_kernelIN3c108BFloat16EEEvPT_PKS5_lll,@function
_ZN2at6native12_GLOBAL__N_136reflection_pad1d_backward_out_kernelIN3c108BFloat16EEEvPT_PKS5_lll: ; @_ZN2at6native12_GLOBAL__N_136reflection_pad1d_backward_out_kernelIN3c108BFloat16EEEvPT_PKS5_lll
; %bb.0:
	s_clause 0x2
	s_load_b32 s12, s[0:1], 0x34
	s_load_b256 s[4:11], s[0:1], 0x0
	s_load_b64 s[16:17], s[0:1], 0x20
	v_mov_b32_e32 v1, 0
	s_add_u32 s2, s0, 40
	s_addc_u32 s3, s1, 0
	s_waitcnt lgkmcnt(0)
	s_and_b32 s0, s12, 0xffff
	s_add_u32 s12, s10, s8
	v_mad_u64_u32 v[2:3], null, s0, s13, v[0:1]
	s_addc_u32 s13, s11, s9
	s_add_u32 s0, s12, s16
	s_addc_u32 s1, s13, s17
	s_mov_b32 s16, exec_lo
	s_delay_alu instid0(VALU_DEP_1)
	v_cmpx_gt_i64_e64 s[0:1], v[2:3]
	s_cbranch_execz .LBB55_7
; %bb.1:
	s_load_b32 s16, s[2:3], 0x4
	v_sub_co_u32 v0, vcc_lo, v2, s12
	v_subrev_co_ci_u32_e32 v4, vcc_lo, s13, v3, vcc_lo
	v_sub_co_u32 v5, vcc_lo, v2, s10
	v_subrev_co_ci_u32_e32 v6, vcc_lo, s11, v3, vcc_lo
	s_delay_alu instid0(VALU_DEP_4) | instskip(NEXT) | instid1(VALU_DEP_4)
	v_add_co_u32 v0, vcc_lo, v0, 1
	v_add_co_ci_u32_e32 v4, vcc_lo, 0, v4, vcc_lo
	s_sub_u32 s2, 0, s10
	s_subb_u32 s3, 0, s11
	v_cmp_gt_i64_e64 s17, s[10:11], 0
	s_delay_alu instid0(VALU_DEP_2)
	v_ashrrev_i32_e32 v7, 31, v4
	v_ashrrev_i32_e32 v8, 31, v6
	s_waitcnt lgkmcnt(0)
	s_mul_i32 s15, s16, s15
	v_cmp_gt_i64_e64 s16, s[2:3], 0
	s_add_i32 s14, s15, s14
	v_xor_b32_e32 v0, v0, v7
	s_mul_i32 s9, s14, s9
	s_mul_hi_u32 s15, s14, s8
	s_mul_i32 s1, s1, s14
	s_mul_hi_u32 s18, s0, s14
	v_xor_b32_e32 v4, v4, v7
	s_add_i32 s9, s15, s9
	s_add_i32 s1, s18, s1
	s_and_b32 s15, s16, exec_lo
	s_cselect_b32 s15, s3, 0
	s_cselect_b32 s16, s2, 0
	s_and_b32 s2, s17, exec_lo
	v_sub_co_u32 v0, vcc_lo, v0, v7
	s_cselect_b32 s3, s11, 0
	s_cselect_b32 s2, s10, 0
	v_sub_co_ci_u32_e32 v4, vcc_lo, v4, v7, vcc_lo
	s_not_b64 s[2:3], s[2:3]
	s_add_u32 s10, s12, s10
	s_addc_u32 s11, s13, s11
	v_add_co_u32 v0, vcc_lo, v2, v0
	s_add_u32 s2, s10, s2
	v_xor_b32_e32 v9, v6, v8
	v_xor_b32_e32 v6, v5, v8
	s_addc_u32 s3, s11, s3
	v_add_co_ci_u32_e32 v5, vcc_lo, v3, v4, vcc_lo
	s_add_u32 s2, s2, s16
	s_addc_u32 s3, s3, s15
	v_sub_co_u32 v4, vcc_lo, s2, v0
	s_delay_alu instid0(VALU_DEP_2) | instskip(SKIP_2) | instid1(VALU_DEP_3)
	v_sub_co_ci_u32_e32 v5, vcc_lo, s3, v5, vcc_lo
	v_sub_co_u32 v6, vcc_lo, v6, v8
	v_sub_co_ci_u32_e32 v7, vcc_lo, v9, v8, vcc_lo
	v_lshlrev_b64 v[4:5], 1, v[4:5]
	s_mul_i32 s8, s14, s8
	s_mul_i32 s0, s0, s14
	s_delay_alu instid0(VALU_DEP_2)
	v_lshlrev_b64 v[6:7], 1, v[6:7]
	v_lshlrev_b64 v[2:3], 1, v[2:3]
	s_lshl_b64 s[2:3], s[8:9], 1
	v_add_co_u32 v0, vcc_lo, s4, v4
	v_add_co_ci_u32_e32 v4, vcc_lo, s5, v5, vcc_lo
	s_lshl_b64 s[0:1], s[0:1], 1
	s_delay_alu instid0(VALU_DEP_2) | instskip(NEXT) | instid1(VALU_DEP_2)
	v_add_co_u32 v0, vcc_lo, v0, v6
	v_add_co_ci_u32_e32 v6, vcc_lo, v4, v7, vcc_lo
	s_add_u32 s0, s6, s0
	s_delay_alu instid0(VALU_DEP_2) | instskip(SKIP_2) | instid1(VALU_DEP_1)
	v_add_co_u32 v0, vcc_lo, v0, s2
	s_addc_u32 s1, s7, s1
	v_add_co_u32 v4, s0, s0, v2
	v_add_co_ci_u32_e64 v5, s0, s1, v3, s0
	v_add_co_ci_u32_e32 v3, vcc_lo, s3, v6, vcc_lo
	v_and_b32_e32 v2, -3, v0
	global_load_u16 v4, v[4:5], off
	global_load_b32 v5, v[2:3], off
	v_and_b32_e32 v0, 2, v0
	s_mov_b32 s2, 0
	s_delay_alu instid0(VALU_DEP_1)
	v_cmp_eq_u64_e32 vcc_lo, 0, v[0:1]
	v_cmp_ne_u32_e64 s0, 0, v0
	s_waitcnt vmcnt(1)
	v_lshlrev_b32_e32 v0, 16, v4
	s_set_inst_prefetch_distance 0x1
	s_branch .LBB55_3
	.p2align	6
.LBB55_2:                               ;   in Loop: Header=BB55_3 Depth=1
	s_or_b32 exec_lo, exec_lo, s1
	global_atomic_cmpswap_b32 v1, v[2:3], v[4:5], off glc
	s_waitcnt vmcnt(0)
	v_cmp_eq_u32_e64 s1, v5, v1
	v_mov_b32_e32 v5, v1
	s_delay_alu instid0(VALU_DEP_2) | instskip(NEXT) | instid1(SALU_CYCLE_1)
	s_or_b32 s2, s1, s2
	s_and_not1_b32 exec_lo, exec_lo, s2
	s_cbranch_execz .LBB55_7
.LBB55_3:                               ; =>This Inner Loop Header: Depth=1
	s_waitcnt vmcnt(0)
	v_lshrrev_b32_e32 v1, 16, v5
	s_delay_alu instid0(VALU_DEP_1) | instskip(NEXT) | instid1(VALU_DEP_1)
	v_cndmask_b32_e32 v1, v1, v5, vcc_lo
	v_lshlrev_b32_e32 v1, 16, v1
	s_delay_alu instid0(VALU_DEP_1) | instskip(NEXT) | instid1(VALU_DEP_1)
	v_add_f32_e32 v1, v0, v1
	v_bfe_u32 v4, v1, 16, 1
	v_cmp_o_f32_e64 s1, v1, v1
	s_delay_alu instid0(VALU_DEP_2) | instskip(NEXT) | instid1(VALU_DEP_1)
	v_add3_u32 v4, v1, v4, 0x7fff
	v_lshrrev_b32_e32 v4, 16, v4
	s_delay_alu instid0(VALU_DEP_1) | instskip(SKIP_1) | instid1(SALU_CYCLE_1)
	v_cndmask_b32_e64 v1, 0x7fc0, v4, s1
	s_and_saveexec_b32 s1, s0
	s_xor_b32 s1, exec_lo, s1
; %bb.4:                                ;   in Loop: Header=BB55_3 Depth=1
	v_and_b32_e32 v4, 0xffff, v5
	s_delay_alu instid0(VALU_DEP_1)
	v_lshl_or_b32 v4, v1, 16, v4
                                        ; implicit-def: $vgpr1
; %bb.5:                                ;   in Loop: Header=BB55_3 Depth=1
	s_and_not1_saveexec_b32 s1, s1
	s_cbranch_execz .LBB55_2
; %bb.6:                                ;   in Loop: Header=BB55_3 Depth=1
	v_and_or_b32 v4, 0xffff0000, v5, v1
	s_branch .LBB55_2
.LBB55_7:
	s_set_inst_prefetch_distance 0x2
	s_endpgm
	.section	.rodata,"a",@progbits
	.p2align	6, 0x0
	.amdhsa_kernel _ZN2at6native12_GLOBAL__N_136reflection_pad1d_backward_out_kernelIN3c108BFloat16EEEvPT_PKS5_lll
		.amdhsa_group_segment_fixed_size 0
		.amdhsa_private_segment_fixed_size 0
		.amdhsa_kernarg_size 296
		.amdhsa_user_sgpr_count 13
		.amdhsa_user_sgpr_dispatch_ptr 0
		.amdhsa_user_sgpr_queue_ptr 0
		.amdhsa_user_sgpr_kernarg_segment_ptr 1
		.amdhsa_user_sgpr_dispatch_id 0
		.amdhsa_user_sgpr_private_segment_size 0
		.amdhsa_wavefront_size32 1
		.amdhsa_uses_dynamic_stack 0
		.amdhsa_enable_private_segment 0
		.amdhsa_system_sgpr_workgroup_id_x 1
		.amdhsa_system_sgpr_workgroup_id_y 1
		.amdhsa_system_sgpr_workgroup_id_z 1
		.amdhsa_system_sgpr_workgroup_info 0
		.amdhsa_system_vgpr_workitem_id 0
		.amdhsa_next_free_vgpr 10
		.amdhsa_next_free_sgpr 19
		.amdhsa_reserve_vcc 1
		.amdhsa_float_round_mode_32 0
		.amdhsa_float_round_mode_16_64 0
		.amdhsa_float_denorm_mode_32 3
		.amdhsa_float_denorm_mode_16_64 3
		.amdhsa_dx10_clamp 1
		.amdhsa_ieee_mode 1
		.amdhsa_fp16_overflow 0
		.amdhsa_workgroup_processor_mode 1
		.amdhsa_memory_ordered 1
		.amdhsa_forward_progress 0
		.amdhsa_shared_vgpr_count 0
		.amdhsa_exception_fp_ieee_invalid_op 0
		.amdhsa_exception_fp_denorm_src 0
		.amdhsa_exception_fp_ieee_div_zero 0
		.amdhsa_exception_fp_ieee_overflow 0
		.amdhsa_exception_fp_ieee_underflow 0
		.amdhsa_exception_fp_ieee_inexact 0
		.amdhsa_exception_int_div_zero 0
	.end_amdhsa_kernel
	.section	.text._ZN2at6native12_GLOBAL__N_136reflection_pad1d_backward_out_kernelIN3c108BFloat16EEEvPT_PKS5_lll,"axG",@progbits,_ZN2at6native12_GLOBAL__N_136reflection_pad1d_backward_out_kernelIN3c108BFloat16EEEvPT_PKS5_lll,comdat
.Lfunc_end55:
	.size	_ZN2at6native12_GLOBAL__N_136reflection_pad1d_backward_out_kernelIN3c108BFloat16EEEvPT_PKS5_lll, .Lfunc_end55-_ZN2at6native12_GLOBAL__N_136reflection_pad1d_backward_out_kernelIN3c108BFloat16EEEvPT_PKS5_lll
                                        ; -- End function
	.section	.AMDGPU.csdata,"",@progbits
; Kernel info:
; codeLenInByte = 692
; NumSgprs: 21
; NumVgprs: 10
; ScratchSize: 0
; MemoryBound: 0
; FloatMode: 240
; IeeeMode: 1
; LDSByteSize: 0 bytes/workgroup (compile time only)
; SGPRBlocks: 2
; VGPRBlocks: 1
; NumSGPRsForWavesPerEU: 21
; NumVGPRsForWavesPerEU: 10
; Occupancy: 16
; WaveLimiterHint : 0
; COMPUTE_PGM_RSRC2:SCRATCH_EN: 0
; COMPUTE_PGM_RSRC2:USER_SGPR: 13
; COMPUTE_PGM_RSRC2:TRAP_HANDLER: 0
; COMPUTE_PGM_RSRC2:TGID_X_EN: 1
; COMPUTE_PGM_RSRC2:TGID_Y_EN: 1
; COMPUTE_PGM_RSRC2:TGID_Z_EN: 1
; COMPUTE_PGM_RSRC2:TIDIG_COMP_CNT: 0
	.section	.text._ZN2at6native12_GLOBAL__N_130reflection_pad1d_backward_flatIN3c108BFloat16EEEvPT_PKS5_llll,"axG",@progbits,_ZN2at6native12_GLOBAL__N_130reflection_pad1d_backward_flatIN3c108BFloat16EEEvPT_PKS5_llll,comdat
	.globl	_ZN2at6native12_GLOBAL__N_130reflection_pad1d_backward_flatIN3c108BFloat16EEEvPT_PKS5_llll ; -- Begin function _ZN2at6native12_GLOBAL__N_130reflection_pad1d_backward_flatIN3c108BFloat16EEEvPT_PKS5_llll
	.p2align	8
	.type	_ZN2at6native12_GLOBAL__N_130reflection_pad1d_backward_flatIN3c108BFloat16EEEvPT_PKS5_llll,@function
_ZN2at6native12_GLOBAL__N_130reflection_pad1d_backward_flatIN3c108BFloat16EEEvPT_PKS5_llll: ; @_ZN2at6native12_GLOBAL__N_130reflection_pad1d_backward_flatIN3c108BFloat16EEEvPT_PKS5_llll
; %bb.0:
	s_clause 0x1
	s_load_b32 s2, s[0:1], 0x3c
	s_load_b256 s[4:11], s[0:1], 0x10
	v_mov_b32_e32 v2, 0
	s_add_u32 s12, s0, 48
	s_addc_u32 s13, s1, 0
	s_mov_b32 s22, 0
	s_delay_alu instid0(VALU_DEP_1) | instskip(SKIP_3) | instid1(VALU_DEP_1)
	v_mov_b32_e32 v1, v2
	s_waitcnt lgkmcnt(0)
	s_and_b32 s16, s2, 0xffff
	s_mul_i32 s2, s10, s9
	v_mad_u64_u32 v[4:5], null, s16, s15, v[0:1]
	s_mul_hi_u32 s3, s10, s8
	s_delay_alu instid0(SALU_CYCLE_1) | instskip(SKIP_1) | instid1(SALU_CYCLE_1)
	s_add_i32 s2, s3, s2
	s_mul_i32 s3, s11, s8
	s_add_i32 s3, s2, s3
	s_mul_i32 s2, s10, s8
	s_mov_b32 s10, exec_lo
	s_delay_alu instid0(VALU_DEP_1)
	v_cmpx_gt_i64_e64 s[2:3], v[4:5]
	s_cbranch_execz .LBB56_19
; %bb.1:
	v_cvt_f32_u32_e32 v0, s8
	s_lshl_b64 s[10:11], s[4:5], 1
	s_load_b32 s17, s[12:13], 0x0
	s_add_u32 s10, s10, -2
	s_addc_u32 s11, s11, -1
	v_rcp_iflag_f32_e32 v0, v0
	s_sub_i32 s12, 0, s8
	v_cmp_gt_i64_e64 s25, s[10:11], 0
	s_ashr_i32 s18, s11, 31
	s_sub_i32 s26, 0, s10
	s_waitcnt_depctr 0xfff
	v_mul_f32_e32 v0, 0x4f7ffffe, v0
	s_delay_alu instid0(VALU_DEP_1)
	v_cvt_u32_f32_e32 v0, v0
	s_waitcnt lgkmcnt(0)
	s_mul_hi_u32 s23, s16, s17
	s_mul_i32 s24, s16, s17
	s_ashr_i32 s16, s9, 31
	v_mul_lo_u32 v1, s12, v0
	s_load_b128 s[12:15], s[0:1], 0x0
	s_delay_alu instid0(VALU_DEP_1) | instskip(NEXT) | instid1(VALU_DEP_1)
	v_mul_hi_u32 v1, v0, v1
	v_add_nc_u32_e32 v8, v0, v1
	s_branch .LBB56_3
.LBB56_2:                               ;   in Loop: Header=BB56_3 Depth=1
	s_set_inst_prefetch_distance 0x2
	s_or_b32 exec_lo, exec_lo, s17
	v_add_co_u32 v4, vcc_lo, v4, s24
	v_add_co_ci_u32_e32 v5, vcc_lo, s23, v5, vcc_lo
	s_delay_alu instid0(VALU_DEP_1) | instskip(SKIP_1) | instid1(SALU_CYCLE_1)
	v_cmp_le_i64_e32 vcc_lo, s[2:3], v[4:5]
	s_or_b32 s22, vcc_lo, s22
	s_and_not1_b32 exec_lo, exec_lo, s22
	s_cbranch_execz .LBB56_19
.LBB56_3:                               ; =>This Loop Header: Depth=1
                                        ;     Child Loop BB56_15 Depth 2
	v_or_b32_e32 v3, s9, v5
                                        ; implicit-def: $vgpr0_vgpr1
	s_mov_b32 s0, exec_lo
	s_delay_alu instid0(VALU_DEP_1)
	v_cmpx_ne_u64_e32 0, v[2:3]
	s_xor_b32 s1, exec_lo, s0
	s_cbranch_execz .LBB56_5
; %bb.4:                                ;   in Loop: Header=BB56_3 Depth=1
	s_add_u32 s20, s8, s16
	s_mov_b32 s17, s16
	s_addc_u32 s21, s9, s16
	s_delay_alu instid0(SALU_CYCLE_1) | instskip(NEXT) | instid1(SALU_CYCLE_1)
	s_xor_b64 s[20:21], s[20:21], s[16:17]
	v_cvt_f32_u32_e32 v0, s20
	v_cvt_f32_u32_e32 v1, s21
	s_sub_u32 s0, 0, s20
	s_subb_u32 s17, 0, s21
	s_delay_alu instid0(VALU_DEP_1) | instskip(NEXT) | instid1(VALU_DEP_1)
	v_fmac_f32_e32 v0, 0x4f800000, v1
	v_rcp_f32_e32 v0, v0
	s_waitcnt_depctr 0xfff
	v_mul_f32_e32 v0, 0x5f7ffffc, v0
	s_delay_alu instid0(VALU_DEP_1) | instskip(NEXT) | instid1(VALU_DEP_1)
	v_mul_f32_e32 v1, 0x2f800000, v0
	v_trunc_f32_e32 v1, v1
	s_delay_alu instid0(VALU_DEP_1) | instskip(SKIP_1) | instid1(VALU_DEP_2)
	v_fmac_f32_e32 v0, 0xcf800000, v1
	v_cvt_u32_f32_e32 v1, v1
	v_cvt_u32_f32_e32 v0, v0
	s_delay_alu instid0(VALU_DEP_2) | instskip(NEXT) | instid1(VALU_DEP_2)
	v_mul_lo_u32 v3, s0, v1
	v_mul_hi_u32 v6, s0, v0
	v_mul_lo_u32 v7, s17, v0
	s_delay_alu instid0(VALU_DEP_2) | instskip(SKIP_1) | instid1(VALU_DEP_2)
	v_add_nc_u32_e32 v3, v6, v3
	v_mul_lo_u32 v6, s0, v0
	v_add_nc_u32_e32 v3, v3, v7
	s_delay_alu instid0(VALU_DEP_2) | instskip(NEXT) | instid1(VALU_DEP_2)
	v_mul_hi_u32 v7, v0, v6
	v_mul_lo_u32 v9, v0, v3
	v_mul_hi_u32 v10, v0, v3
	v_mul_hi_u32 v11, v1, v6
	v_mul_lo_u32 v6, v1, v6
	v_mul_hi_u32 v12, v1, v3
	v_mul_lo_u32 v3, v1, v3
	v_add_co_u32 v7, vcc_lo, v7, v9
	v_add_co_ci_u32_e32 v9, vcc_lo, 0, v10, vcc_lo
	s_delay_alu instid0(VALU_DEP_2) | instskip(NEXT) | instid1(VALU_DEP_2)
	v_add_co_u32 v6, vcc_lo, v7, v6
	v_add_co_ci_u32_e32 v6, vcc_lo, v9, v11, vcc_lo
	v_add_co_ci_u32_e32 v7, vcc_lo, 0, v12, vcc_lo
	v_ashrrev_i32_e32 v11, 31, v5
	s_delay_alu instid0(VALU_DEP_3) | instskip(NEXT) | instid1(VALU_DEP_3)
	v_add_co_u32 v3, vcc_lo, v6, v3
	v_add_co_ci_u32_e32 v6, vcc_lo, 0, v7, vcc_lo
	s_delay_alu instid0(VALU_DEP_2) | instskip(NEXT) | instid1(VALU_DEP_2)
	v_add_co_u32 v0, vcc_lo, v0, v3
	v_add_co_ci_u32_e32 v1, vcc_lo, v1, v6, vcc_lo
	s_delay_alu instid0(VALU_DEP_2) | instskip(SKIP_1) | instid1(VALU_DEP_3)
	v_mul_hi_u32 v3, s0, v0
	v_mul_lo_u32 v7, s17, v0
	v_mul_lo_u32 v6, s0, v1
	s_delay_alu instid0(VALU_DEP_1) | instskip(SKIP_1) | instid1(VALU_DEP_2)
	v_add_nc_u32_e32 v3, v3, v6
	v_mul_lo_u32 v6, s0, v0
	v_add_nc_u32_e32 v3, v3, v7
	s_delay_alu instid0(VALU_DEP_2) | instskip(NEXT) | instid1(VALU_DEP_2)
	v_mul_hi_u32 v7, v0, v6
	v_mul_lo_u32 v9, v0, v3
	v_mul_hi_u32 v10, v0, v3
	v_mul_hi_u32 v12, v1, v6
	v_mul_lo_u32 v6, v1, v6
	v_mul_hi_u32 v13, v1, v3
	v_mul_lo_u32 v3, v1, v3
	v_add_co_u32 v7, vcc_lo, v7, v9
	v_add_co_ci_u32_e32 v9, vcc_lo, 0, v10, vcc_lo
	s_delay_alu instid0(VALU_DEP_2) | instskip(NEXT) | instid1(VALU_DEP_2)
	v_add_co_u32 v6, vcc_lo, v7, v6
	v_add_co_ci_u32_e32 v6, vcc_lo, v9, v12, vcc_lo
	v_add_co_ci_u32_e32 v7, vcc_lo, 0, v13, vcc_lo
	v_add_co_u32 v9, vcc_lo, v4, v11
	v_add_co_ci_u32_e32 v10, vcc_lo, v5, v11, vcc_lo
	s_delay_alu instid0(VALU_DEP_4) | instskip(NEXT) | instid1(VALU_DEP_4)
	v_add_co_u32 v3, vcc_lo, v6, v3
	v_add_co_ci_u32_e32 v6, vcc_lo, 0, v7, vcc_lo
	s_delay_alu instid0(VALU_DEP_4) | instskip(NEXT) | instid1(VALU_DEP_3)
	v_xor_b32_e32 v12, v9, v11
	v_add_co_u32 v3, vcc_lo, v0, v3
	s_delay_alu instid0(VALU_DEP_3) | instskip(SKIP_1) | instid1(VALU_DEP_3)
	v_add_co_ci_u32_e32 v13, vcc_lo, v1, v6, vcc_lo
	v_xor_b32_e32 v14, v10, v11
	v_mul_hi_u32 v15, v12, v3
	s_delay_alu instid0(VALU_DEP_3) | instskip(NEXT) | instid1(VALU_DEP_3)
	v_mad_u64_u32 v[0:1], null, v12, v13, 0
	v_mad_u64_u32 v[6:7], null, v14, v3, 0
	;; [unrolled: 1-line block ×3, first 2 shown]
	s_delay_alu instid0(VALU_DEP_3) | instskip(NEXT) | instid1(VALU_DEP_4)
	v_add_co_u32 v0, vcc_lo, v15, v0
	v_add_co_ci_u32_e32 v1, vcc_lo, 0, v1, vcc_lo
	s_delay_alu instid0(VALU_DEP_2) | instskip(NEXT) | instid1(VALU_DEP_2)
	v_add_co_u32 v0, vcc_lo, v0, v6
	v_add_co_ci_u32_e32 v0, vcc_lo, v1, v7, vcc_lo
	v_add_co_ci_u32_e32 v1, vcc_lo, 0, v10, vcc_lo
	s_delay_alu instid0(VALU_DEP_2) | instskip(NEXT) | instid1(VALU_DEP_2)
	v_add_co_u32 v3, vcc_lo, v0, v9
	v_add_co_ci_u32_e32 v6, vcc_lo, 0, v1, vcc_lo
	s_delay_alu instid0(VALU_DEP_2) | instskip(SKIP_1) | instid1(VALU_DEP_3)
	v_mul_lo_u32 v7, s21, v3
	v_mad_u64_u32 v[0:1], null, s20, v3, 0
	v_mul_lo_u32 v9, s20, v6
	s_delay_alu instid0(VALU_DEP_2) | instskip(NEXT) | instid1(VALU_DEP_2)
	v_sub_co_u32 v0, vcc_lo, v12, v0
	v_add3_u32 v1, v1, v9, v7
	s_delay_alu instid0(VALU_DEP_1) | instskip(NEXT) | instid1(VALU_DEP_1)
	v_sub_nc_u32_e32 v7, v14, v1
	v_subrev_co_ci_u32_e64 v7, s0, s21, v7, vcc_lo
	v_add_co_u32 v9, s0, v3, 2
	s_delay_alu instid0(VALU_DEP_1) | instskip(SKIP_3) | instid1(VALU_DEP_3)
	v_add_co_ci_u32_e64 v10, s0, 0, v6, s0
	v_sub_co_u32 v12, s0, v0, s20
	v_sub_co_ci_u32_e32 v1, vcc_lo, v14, v1, vcc_lo
	v_subrev_co_ci_u32_e64 v7, s0, 0, v7, s0
	v_cmp_le_u32_e32 vcc_lo, s20, v12
	s_delay_alu instid0(VALU_DEP_3) | instskip(SKIP_1) | instid1(VALU_DEP_4)
	v_cmp_eq_u32_e64 s0, s21, v1
	v_cndmask_b32_e64 v12, 0, -1, vcc_lo
	v_cmp_le_u32_e32 vcc_lo, s21, v7
	v_cndmask_b32_e64 v13, 0, -1, vcc_lo
	v_cmp_le_u32_e32 vcc_lo, s20, v0
	;; [unrolled: 2-line block ×3, first 2 shown]
	v_cndmask_b32_e64 v14, 0, -1, vcc_lo
	v_cmp_eq_u32_e32 vcc_lo, s21, v7
	s_delay_alu instid0(VALU_DEP_2) | instskip(SKIP_3) | instid1(VALU_DEP_3)
	v_cndmask_b32_e64 v0, v14, v0, s0
	v_cndmask_b32_e32 v7, v13, v12, vcc_lo
	v_add_co_u32 v12, vcc_lo, v3, 1
	v_add_co_ci_u32_e32 v13, vcc_lo, 0, v6, vcc_lo
	v_cmp_ne_u32_e32 vcc_lo, 0, v7
	s_delay_alu instid0(VALU_DEP_2) | instskip(NEXT) | instid1(VALU_DEP_4)
	v_cndmask_b32_e32 v1, v13, v10, vcc_lo
	v_cndmask_b32_e32 v7, v12, v9, vcc_lo
	v_cmp_ne_u32_e32 vcc_lo, 0, v0
	v_xor_b32_e32 v9, s16, v11
	s_delay_alu instid0(VALU_DEP_3) | instskip(NEXT) | instid1(VALU_DEP_1)
	v_dual_cndmask_b32 v0, v6, v1 :: v_dual_cndmask_b32 v1, v3, v7
	v_xor_b32_e32 v3, v0, v9
	s_delay_alu instid0(VALU_DEP_2) | instskip(NEXT) | instid1(VALU_DEP_1)
	v_xor_b32_e32 v1, v1, v9
	v_sub_co_u32 v0, vcc_lo, v1, v9
	s_delay_alu instid0(VALU_DEP_3)
	v_sub_co_ci_u32_e32 v1, vcc_lo, v3, v9, vcc_lo
.LBB56_5:                               ;   in Loop: Header=BB56_3 Depth=1
	s_and_not1_saveexec_b32 s0, s1
; %bb.6:                                ;   in Loop: Header=BB56_3 Depth=1
	v_mul_hi_u32 v0, v4, v8
	s_delay_alu instid0(VALU_DEP_1) | instskip(SKIP_1) | instid1(VALU_DEP_2)
	v_mul_lo_u32 v1, v0, s8
	v_add_nc_u32_e32 v3, 1, v0
	v_sub_nc_u32_e32 v1, v4, v1
	s_delay_alu instid0(VALU_DEP_1) | instskip(SKIP_1) | instid1(VALU_DEP_2)
	v_subrev_nc_u32_e32 v6, s8, v1
	v_cmp_le_u32_e32 vcc_lo, s8, v1
	v_dual_cndmask_b32 v1, v1, v6 :: v_dual_cndmask_b32 v0, v0, v3
	s_delay_alu instid0(VALU_DEP_1) | instskip(NEXT) | instid1(VALU_DEP_2)
	v_cmp_le_u32_e32 vcc_lo, s8, v1
	v_add_nc_u32_e32 v3, 1, v0
	s_delay_alu instid0(VALU_DEP_1)
	v_dual_mov_b32 v1, v2 :: v_dual_cndmask_b32 v0, v0, v3
; %bb.7:                                ;   in Loop: Header=BB56_3 Depth=1
	s_or_b32 exec_lo, exec_lo, s0
	v_mov_b32_e32 v6, 0
	v_mov_b32_e32 v7, 0
	s_and_not1_b32 vcc_lo, exec_lo, s25
	s_cbranch_vccnz .LBB56_13
; %bb.8:                                ;   in Loop: Header=BB56_3 Depth=1
	v_mad_u64_u32 v[6:7], null, v0, s8, s[6:7]
	v_mul_lo_u32 v3, v0, s9
	v_mul_lo_u32 v9, v1, s8
	s_mov_b32 s0, exec_lo
	s_delay_alu instid0(VALU_DEP_1) | instskip(NEXT) | instid1(VALU_DEP_4)
	v_add3_u32 v3, v9, v7, v3
	v_sub_co_u32 v9, vcc_lo, v4, v6
                                        ; implicit-def: $vgpr6_vgpr7
	s_delay_alu instid0(VALU_DEP_2) | instskip(NEXT) | instid1(VALU_DEP_1)
	v_sub_co_ci_u32_e32 v10, vcc_lo, v5, v3, vcc_lo
	v_or_b32_e32 v3, s11, v10
	s_delay_alu instid0(VALU_DEP_1)
	v_cmpx_ne_u64_e32 0, v[2:3]
	s_xor_b32 s1, exec_lo, s0
	s_cbranch_execz .LBB56_10
; %bb.9:                                ;   in Loop: Header=BB56_3 Depth=1
	s_add_u32 s20, s10, s18
	s_mov_b32 s19, s18
	s_addc_u32 s21, s11, s18
	s_delay_alu instid0(SALU_CYCLE_1) | instskip(NEXT) | instid1(SALU_CYCLE_1)
	s_xor_b64 s[20:21], s[20:21], s[18:19]
	v_cvt_f32_u32_e32 v3, s20
	v_cvt_f32_u32_e32 v6, s21
	s_sub_u32 s0, 0, s20
	s_subb_u32 s17, 0, s21
	s_delay_alu instid0(VALU_DEP_1) | instskip(NEXT) | instid1(VALU_DEP_1)
	v_fmac_f32_e32 v3, 0x4f800000, v6
	v_rcp_f32_e32 v3, v3
	s_waitcnt_depctr 0xfff
	v_mul_f32_e32 v3, 0x5f7ffffc, v3
	s_delay_alu instid0(VALU_DEP_1) | instskip(NEXT) | instid1(VALU_DEP_1)
	v_mul_f32_e32 v6, 0x2f800000, v3
	v_trunc_f32_e32 v6, v6
	s_delay_alu instid0(VALU_DEP_1) | instskip(SKIP_1) | instid1(VALU_DEP_2)
	v_fmac_f32_e32 v3, 0xcf800000, v6
	v_cvt_u32_f32_e32 v6, v6
	v_cvt_u32_f32_e32 v3, v3
	s_delay_alu instid0(VALU_DEP_2) | instskip(NEXT) | instid1(VALU_DEP_2)
	v_mul_lo_u32 v7, s0, v6
	v_mul_hi_u32 v11, s0, v3
	v_mul_lo_u32 v12, s17, v3
	s_delay_alu instid0(VALU_DEP_2) | instskip(SKIP_1) | instid1(VALU_DEP_2)
	v_add_nc_u32_e32 v7, v11, v7
	v_mul_lo_u32 v11, s0, v3
	v_add_nc_u32_e32 v7, v7, v12
	s_delay_alu instid0(VALU_DEP_2) | instskip(NEXT) | instid1(VALU_DEP_2)
	v_mul_hi_u32 v12, v3, v11
	v_mul_lo_u32 v13, v3, v7
	v_mul_hi_u32 v14, v3, v7
	v_mul_hi_u32 v15, v6, v11
	v_mul_lo_u32 v11, v6, v11
	v_mul_hi_u32 v16, v6, v7
	v_mul_lo_u32 v7, v6, v7
	v_add_co_u32 v12, vcc_lo, v12, v13
	v_add_co_ci_u32_e32 v13, vcc_lo, 0, v14, vcc_lo
	s_delay_alu instid0(VALU_DEP_2) | instskip(NEXT) | instid1(VALU_DEP_2)
	v_add_co_u32 v11, vcc_lo, v12, v11
	v_add_co_ci_u32_e32 v11, vcc_lo, v13, v15, vcc_lo
	v_add_co_ci_u32_e32 v12, vcc_lo, 0, v16, vcc_lo
	v_ashrrev_i32_e32 v15, 31, v10
	s_delay_alu instid0(VALU_DEP_3) | instskip(NEXT) | instid1(VALU_DEP_3)
	v_add_co_u32 v7, vcc_lo, v11, v7
	v_add_co_ci_u32_e32 v11, vcc_lo, 0, v12, vcc_lo
	s_delay_alu instid0(VALU_DEP_2) | instskip(NEXT) | instid1(VALU_DEP_2)
	v_add_co_u32 v3, vcc_lo, v3, v7
	v_add_co_ci_u32_e32 v6, vcc_lo, v6, v11, vcc_lo
	s_delay_alu instid0(VALU_DEP_2) | instskip(SKIP_1) | instid1(VALU_DEP_3)
	v_mul_hi_u32 v7, s0, v3
	v_mul_lo_u32 v12, s17, v3
	v_mul_lo_u32 v11, s0, v6
	s_delay_alu instid0(VALU_DEP_1) | instskip(SKIP_1) | instid1(VALU_DEP_2)
	v_add_nc_u32_e32 v7, v7, v11
	v_mul_lo_u32 v11, s0, v3
	v_add_nc_u32_e32 v7, v7, v12
	s_delay_alu instid0(VALU_DEP_2) | instskip(NEXT) | instid1(VALU_DEP_2)
	v_mul_hi_u32 v12, v3, v11
	v_mul_lo_u32 v13, v3, v7
	v_mul_hi_u32 v14, v3, v7
	v_mul_hi_u32 v16, v6, v11
	v_mul_lo_u32 v11, v6, v11
	v_mul_hi_u32 v17, v6, v7
	v_mul_lo_u32 v7, v6, v7
	v_add_co_u32 v12, vcc_lo, v12, v13
	v_add_co_ci_u32_e32 v13, vcc_lo, 0, v14, vcc_lo
	s_delay_alu instid0(VALU_DEP_2) | instskip(NEXT) | instid1(VALU_DEP_2)
	v_add_co_u32 v11, vcc_lo, v12, v11
	v_add_co_ci_u32_e32 v11, vcc_lo, v13, v16, vcc_lo
	v_add_co_ci_u32_e32 v12, vcc_lo, 0, v17, vcc_lo
	v_add_co_u32 v9, vcc_lo, v9, v15
	v_add_co_ci_u32_e32 v10, vcc_lo, v10, v15, vcc_lo
	s_delay_alu instid0(VALU_DEP_4) | instskip(NEXT) | instid1(VALU_DEP_4)
	v_add_co_u32 v7, vcc_lo, v11, v7
	v_add_co_ci_u32_e32 v11, vcc_lo, 0, v12, vcc_lo
	s_delay_alu instid0(VALU_DEP_4) | instskip(NEXT) | instid1(VALU_DEP_3)
	v_xor_b32_e32 v13, v9, v15
	v_add_co_u32 v3, vcc_lo, v3, v7
	s_delay_alu instid0(VALU_DEP_3) | instskip(SKIP_1) | instid1(VALU_DEP_3)
	v_add_co_ci_u32_e32 v14, vcc_lo, v6, v11, vcc_lo
	v_xor_b32_e32 v16, v10, v15
	v_mul_hi_u32 v17, v13, v3
	s_delay_alu instid0(VALU_DEP_3) | instskip(NEXT) | instid1(VALU_DEP_3)
	v_mad_u64_u32 v[6:7], null, v13, v14, 0
	v_mad_u64_u32 v[9:10], null, v16, v3, 0
	;; [unrolled: 1-line block ×3, first 2 shown]
	s_delay_alu instid0(VALU_DEP_3) | instskip(NEXT) | instid1(VALU_DEP_4)
	v_add_co_u32 v3, vcc_lo, v17, v6
	v_add_co_ci_u32_e32 v6, vcc_lo, 0, v7, vcc_lo
	s_delay_alu instid0(VALU_DEP_2) | instskip(NEXT) | instid1(VALU_DEP_2)
	v_add_co_u32 v3, vcc_lo, v3, v9
	v_add_co_ci_u32_e32 v3, vcc_lo, v6, v10, vcc_lo
	v_add_co_ci_u32_e32 v6, vcc_lo, 0, v12, vcc_lo
	s_delay_alu instid0(VALU_DEP_2) | instskip(NEXT) | instid1(VALU_DEP_2)
	v_add_co_u32 v3, vcc_lo, v3, v11
	v_add_co_ci_u32_e32 v9, vcc_lo, 0, v6, vcc_lo
	s_delay_alu instid0(VALU_DEP_2) | instskip(SKIP_1) | instid1(VALU_DEP_3)
	v_mul_lo_u32 v10, s21, v3
	v_mad_u64_u32 v[6:7], null, s20, v3, 0
	v_mul_lo_u32 v3, s20, v9
	s_delay_alu instid0(VALU_DEP_2) | instskip(NEXT) | instid1(VALU_DEP_2)
	v_sub_co_u32 v6, vcc_lo, v13, v6
	v_add3_u32 v3, v7, v3, v10
	s_delay_alu instid0(VALU_DEP_1) | instskip(NEXT) | instid1(VALU_DEP_1)
	v_sub_nc_u32_e32 v7, v16, v3
	v_subrev_co_ci_u32_e64 v7, s0, s21, v7, vcc_lo
	v_sub_co_ci_u32_e32 v3, vcc_lo, v16, v3, vcc_lo
	v_sub_co_u32 v9, vcc_lo, v6, s20
	s_delay_alu instid0(VALU_DEP_1) | instskip(SKIP_3) | instid1(VALU_DEP_3)
	v_subrev_co_ci_u32_e64 v10, s0, 0, v7, vcc_lo
	v_cmp_le_u32_e64 s0, s20, v6
	v_subrev_co_ci_u32_e32 v7, vcc_lo, s21, v7, vcc_lo
	v_cmp_le_u32_e32 vcc_lo, s21, v3
	v_cndmask_b32_e64 v11, 0, -1, s0
	v_cmp_le_u32_e64 s0, s20, v9
	v_cndmask_b32_e64 v14, 0, -1, vcc_lo
	v_cmp_eq_u32_e32 vcc_lo, s21, v10
	s_delay_alu instid0(VALU_DEP_3) | instskip(SKIP_1) | instid1(VALU_DEP_1)
	v_cndmask_b32_e64 v12, 0, -1, s0
	v_cmp_le_u32_e64 s0, s21, v10
	v_cndmask_b32_e64 v13, 0, -1, s0
	v_cmp_eq_u32_e64 s0, s21, v3
	s_delay_alu instid0(VALU_DEP_2) | instskip(SKIP_2) | instid1(VALU_DEP_3)
	v_cndmask_b32_e32 v12, v13, v12, vcc_lo
	v_sub_co_u32 v13, vcc_lo, v9, s20
	v_subrev_co_ci_u32_e32 v7, vcc_lo, 0, v7, vcc_lo
	v_cmp_ne_u32_e32 vcc_lo, 0, v12
	v_cndmask_b32_e64 v11, v14, v11, s0
	s_delay_alu instid0(VALU_DEP_3) | instskip(SKIP_1) | instid1(VALU_DEP_3)
	v_cndmask_b32_e32 v7, v10, v7, vcc_lo
	v_cndmask_b32_e32 v9, v9, v13, vcc_lo
	v_cmp_ne_u32_e32 vcc_lo, 0, v11
	s_delay_alu instid0(VALU_DEP_2) | instskip(NEXT) | instid1(VALU_DEP_1)
	v_dual_cndmask_b32 v6, v6, v9 :: v_dual_cndmask_b32 v3, v3, v7
                                        ; implicit-def: $vgpr9
	v_xor_b32_e32 v6, v6, v15
	s_delay_alu instid0(VALU_DEP_2) | instskip(NEXT) | instid1(VALU_DEP_2)
	v_xor_b32_e32 v3, v3, v15
	v_sub_co_u32 v6, vcc_lo, v6, v15
	s_delay_alu instid0(VALU_DEP_2)
	v_sub_co_ci_u32_e32 v7, vcc_lo, v3, v15, vcc_lo
.LBB56_10:                              ;   in Loop: Header=BB56_3 Depth=1
	s_and_not1_saveexec_b32 s0, s1
	s_cbranch_execz .LBB56_12
; %bb.11:                               ;   in Loop: Header=BB56_3 Depth=1
	v_cvt_f32_u32_e32 v3, s10
	v_mov_b32_e32 v7, v2
	s_delay_alu instid0(VALU_DEP_2) | instskip(SKIP_2) | instid1(VALU_DEP_1)
	v_rcp_iflag_f32_e32 v3, v3
	s_waitcnt_depctr 0xfff
	v_mul_f32_e32 v3, 0x4f7ffffe, v3
	v_cvt_u32_f32_e32 v3, v3
	s_delay_alu instid0(VALU_DEP_1) | instskip(NEXT) | instid1(VALU_DEP_1)
	v_mul_lo_u32 v6, s26, v3
	v_mul_hi_u32 v6, v3, v6
	s_delay_alu instid0(VALU_DEP_1) | instskip(NEXT) | instid1(VALU_DEP_1)
	v_add_nc_u32_e32 v3, v3, v6
	v_mul_hi_u32 v3, v9, v3
	s_delay_alu instid0(VALU_DEP_1) | instskip(NEXT) | instid1(VALU_DEP_1)
	v_mul_lo_u32 v3, v3, s10
	v_sub_nc_u32_e32 v3, v9, v3
	s_delay_alu instid0(VALU_DEP_1) | instskip(SKIP_1) | instid1(VALU_DEP_2)
	v_subrev_nc_u32_e32 v6, s10, v3
	v_cmp_le_u32_e32 vcc_lo, s10, v3
	v_cndmask_b32_e32 v3, v3, v6, vcc_lo
	s_delay_alu instid0(VALU_DEP_1) | instskip(SKIP_1) | instid1(VALU_DEP_2)
	v_subrev_nc_u32_e32 v6, s10, v3
	v_cmp_le_u32_e32 vcc_lo, s10, v3
	v_cndmask_b32_e32 v6, v3, v6, vcc_lo
.LBB56_12:                              ;   in Loop: Header=BB56_3 Depth=1
	s_or_b32 exec_lo, exec_lo, s0
	s_delay_alu instid0(VALU_DEP_1) | instskip(NEXT) | instid1(VALU_DEP_1)
	v_ashrrev_i32_e32 v3, 31, v7
	v_and_b32_e32 v9, s10, v3
	v_and_b32_e32 v3, s11, v3
	s_delay_alu instid0(VALU_DEP_2) | instskip(NEXT) | instid1(VALU_DEP_2)
	v_add_co_u32 v6, vcc_lo, v9, v6
	v_add_co_ci_u32_e32 v7, vcc_lo, v3, v7, vcc_lo
	s_delay_alu instid0(VALU_DEP_2) | instskip(NEXT) | instid1(VALU_DEP_2)
	v_sub_co_u32 v3, vcc_lo, s10, v6
	v_sub_co_ci_u32_e32 v9, vcc_lo, s11, v7, vcc_lo
	v_cmp_gt_i64_e32 vcc_lo, s[4:5], v[6:7]
	s_delay_alu instid0(VALU_DEP_2)
	v_dual_cndmask_b32 v6, v3, v6 :: v_dual_cndmask_b32 v7, v9, v7
.LBB56_13:                              ;   in Loop: Header=BB56_3 Depth=1
	v_mul_lo_u32 v1, v1, s4
	v_mul_lo_u32 v3, v0, s5
	v_mad_u64_u32 v[9:10], null, v0, s4, 0
	s_delay_alu instid0(VALU_DEP_4) | instskip(SKIP_1) | instid1(VALU_DEP_2)
	v_lshlrev_b64 v[6:7], 1, v[6:7]
	s_mov_b32 s17, 0
	v_add3_u32 v10, v10, v3, v1
	s_delay_alu instid0(VALU_DEP_1) | instskip(SKIP_2) | instid1(VALU_DEP_2)
	v_lshlrev_b64 v[0:1], 1, v[9:10]
	v_lshlrev_b64 v[9:10], 1, v[4:5]
	s_waitcnt lgkmcnt(0)
	v_add_co_u32 v0, vcc_lo, s12, v0
	s_delay_alu instid0(VALU_DEP_3) | instskip(NEXT) | instid1(VALU_DEP_3)
	v_add_co_ci_u32_e32 v1, vcc_lo, s13, v1, vcc_lo
	v_add_co_u32 v9, s0, s14, v9
	s_delay_alu instid0(VALU_DEP_3) | instskip(SKIP_1) | instid1(VALU_DEP_4)
	v_add_co_u32 v3, vcc_lo, v0, v6
	v_add_co_ci_u32_e64 v10, s0, s15, v10, s0
	v_add_co_ci_u32_e32 v1, vcc_lo, v1, v7, vcc_lo
	s_delay_alu instid0(VALU_DEP_3) | instskip(SKIP_3) | instid1(VALU_DEP_1)
	v_and_b32_e32 v0, -3, v3
	global_load_u16 v6, v[9:10], off
	global_load_b32 v7, v[0:1], off
	v_dual_mov_b32 v10, v2 :: v_dual_and_b32 v9, 2, v3
	v_cmp_ne_u32_e64 s0, 0, v9
	s_delay_alu instid0(VALU_DEP_2)
	v_cmp_eq_u64_e32 vcc_lo, 0, v[9:10]
	s_waitcnt vmcnt(1)
	v_lshlrev_b32_e32 v3, 16, v6
	s_set_inst_prefetch_distance 0x1
	s_branch .LBB56_15
	.p2align	6
.LBB56_14:                              ;   in Loop: Header=BB56_15 Depth=2
	s_or_b32 exec_lo, exec_lo, s1
	global_atomic_cmpswap_b32 v6, v[0:1], v[6:7], off glc
	s_waitcnt vmcnt(0)
	v_cmp_eq_u32_e64 s1, v7, v6
	v_mov_b32_e32 v7, v6
	s_delay_alu instid0(VALU_DEP_2) | instskip(NEXT) | instid1(SALU_CYCLE_1)
	s_or_b32 s17, s1, s17
	s_and_not1_b32 exec_lo, exec_lo, s17
	s_cbranch_execz .LBB56_2
.LBB56_15:                              ;   Parent Loop BB56_3 Depth=1
                                        ; =>  This Inner Loop Header: Depth=2
	s_waitcnt vmcnt(0)
	v_lshrrev_b32_e32 v6, 16, v7
	s_delay_alu instid0(VALU_DEP_1) | instskip(NEXT) | instid1(VALU_DEP_1)
	v_cndmask_b32_e32 v6, v6, v7, vcc_lo
	v_lshlrev_b32_e32 v6, 16, v6
	s_delay_alu instid0(VALU_DEP_1) | instskip(NEXT) | instid1(VALU_DEP_1)
	v_add_f32_e32 v6, v3, v6
	v_bfe_u32 v9, v6, 16, 1
	v_cmp_o_f32_e64 s1, v6, v6
	s_delay_alu instid0(VALU_DEP_2) | instskip(NEXT) | instid1(VALU_DEP_1)
	v_add3_u32 v9, v6, v9, 0x7fff
	v_lshrrev_b32_e32 v9, 16, v9
	s_delay_alu instid0(VALU_DEP_1) | instskip(SKIP_1) | instid1(SALU_CYCLE_1)
	v_cndmask_b32_e64 v9, 0x7fc0, v9, s1
	s_and_saveexec_b32 s1, s0
	s_xor_b32 s1, exec_lo, s1
; %bb.16:                               ;   in Loop: Header=BB56_15 Depth=2
	v_and_b32_e32 v6, 0xffff, v7
	s_delay_alu instid0(VALU_DEP_1)
	v_lshl_or_b32 v6, v9, 16, v6
                                        ; implicit-def: $vgpr9
; %bb.17:                               ;   in Loop: Header=BB56_15 Depth=2
	s_and_not1_saveexec_b32 s1, s1
	s_cbranch_execz .LBB56_14
; %bb.18:                               ;   in Loop: Header=BB56_15 Depth=2
	v_and_or_b32 v6, 0xffff0000, v7, v9
	s_branch .LBB56_14
.LBB56_19:
	s_endpgm
	.section	.rodata,"a",@progbits
	.p2align	6, 0x0
	.amdhsa_kernel _ZN2at6native12_GLOBAL__N_130reflection_pad1d_backward_flatIN3c108BFloat16EEEvPT_PKS5_llll
		.amdhsa_group_segment_fixed_size 0
		.amdhsa_private_segment_fixed_size 0
		.amdhsa_kernarg_size 304
		.amdhsa_user_sgpr_count 15
		.amdhsa_user_sgpr_dispatch_ptr 0
		.amdhsa_user_sgpr_queue_ptr 0
		.amdhsa_user_sgpr_kernarg_segment_ptr 1
		.amdhsa_user_sgpr_dispatch_id 0
		.amdhsa_user_sgpr_private_segment_size 0
		.amdhsa_wavefront_size32 1
		.amdhsa_uses_dynamic_stack 0
		.amdhsa_enable_private_segment 0
		.amdhsa_system_sgpr_workgroup_id_x 1
		.amdhsa_system_sgpr_workgroup_id_y 0
		.amdhsa_system_sgpr_workgroup_id_z 0
		.amdhsa_system_sgpr_workgroup_info 0
		.amdhsa_system_vgpr_workitem_id 0
		.amdhsa_next_free_vgpr 18
		.amdhsa_next_free_sgpr 27
		.amdhsa_reserve_vcc 1
		.amdhsa_float_round_mode_32 0
		.amdhsa_float_round_mode_16_64 0
		.amdhsa_float_denorm_mode_32 3
		.amdhsa_float_denorm_mode_16_64 3
		.amdhsa_dx10_clamp 1
		.amdhsa_ieee_mode 1
		.amdhsa_fp16_overflow 0
		.amdhsa_workgroup_processor_mode 1
		.amdhsa_memory_ordered 1
		.amdhsa_forward_progress 0
		.amdhsa_shared_vgpr_count 0
		.amdhsa_exception_fp_ieee_invalid_op 0
		.amdhsa_exception_fp_denorm_src 0
		.amdhsa_exception_fp_ieee_div_zero 0
		.amdhsa_exception_fp_ieee_overflow 0
		.amdhsa_exception_fp_ieee_underflow 0
		.amdhsa_exception_fp_ieee_inexact 0
		.amdhsa_exception_int_div_zero 0
	.end_amdhsa_kernel
	.section	.text._ZN2at6native12_GLOBAL__N_130reflection_pad1d_backward_flatIN3c108BFloat16EEEvPT_PKS5_llll,"axG",@progbits,_ZN2at6native12_GLOBAL__N_130reflection_pad1d_backward_flatIN3c108BFloat16EEEvPT_PKS5_llll,comdat
.Lfunc_end56:
	.size	_ZN2at6native12_GLOBAL__N_130reflection_pad1d_backward_flatIN3c108BFloat16EEEvPT_PKS5_llll, .Lfunc_end56-_ZN2at6native12_GLOBAL__N_130reflection_pad1d_backward_flatIN3c108BFloat16EEEvPT_PKS5_llll
                                        ; -- End function
	.section	.AMDGPU.csdata,"",@progbits
; Kernel info:
; codeLenInByte = 2660
; NumSgprs: 29
; NumVgprs: 18
; ScratchSize: 0
; MemoryBound: 0
; FloatMode: 240
; IeeeMode: 1
; LDSByteSize: 0 bytes/workgroup (compile time only)
; SGPRBlocks: 3
; VGPRBlocks: 2
; NumSGPRsForWavesPerEU: 29
; NumVGPRsForWavesPerEU: 18
; Occupancy: 16
; WaveLimiterHint : 0
; COMPUTE_PGM_RSRC2:SCRATCH_EN: 0
; COMPUTE_PGM_RSRC2:USER_SGPR: 15
; COMPUTE_PGM_RSRC2:TRAP_HANDLER: 0
; COMPUTE_PGM_RSRC2:TGID_X_EN: 1
; COMPUTE_PGM_RSRC2:TGID_Y_EN: 0
; COMPUTE_PGM_RSRC2:TGID_Z_EN: 0
; COMPUTE_PGM_RSRC2:TIDIG_COMP_CNT: 0
	.section	.text._ZN2at6native12_GLOBAL__N_127reflection_pad3d_out_kernelIhEEvN5torch10headeronly6detail27GenericPackedTensorAccessorINS5_14TensorAccessorIN3c108ArrayRefIlEEKT_Lm4ENS4_16DefaultPtrTraitsElEENS_6detail16IndexBoundsCheckILm5ElEESC_Lm5ESD_lEENS6_INS7_ISA_SB_Lm4ESD_lEESH_SB_Lm5ESD_lEElllll,"axG",@progbits,_ZN2at6native12_GLOBAL__N_127reflection_pad3d_out_kernelIhEEvN5torch10headeronly6detail27GenericPackedTensorAccessorINS5_14TensorAccessorIN3c108ArrayRefIlEEKT_Lm4ENS4_16DefaultPtrTraitsElEENS_6detail16IndexBoundsCheckILm5ElEESC_Lm5ESD_lEENS6_INS7_ISA_SB_Lm4ESD_lEESH_SB_Lm5ESD_lEElllll,comdat
	.globl	_ZN2at6native12_GLOBAL__N_127reflection_pad3d_out_kernelIhEEvN5torch10headeronly6detail27GenericPackedTensorAccessorINS5_14TensorAccessorIN3c108ArrayRefIlEEKT_Lm4ENS4_16DefaultPtrTraitsElEENS_6detail16IndexBoundsCheckILm5ElEESC_Lm5ESD_lEENS6_INS7_ISA_SB_Lm4ESD_lEESH_SB_Lm5ESD_lEElllll ; -- Begin function _ZN2at6native12_GLOBAL__N_127reflection_pad3d_out_kernelIhEEvN5torch10headeronly6detail27GenericPackedTensorAccessorINS5_14TensorAccessorIN3c108ArrayRefIlEEKT_Lm4ENS4_16DefaultPtrTraitsElEENS_6detail16IndexBoundsCheckILm5ElEESC_Lm5ESD_lEENS6_INS7_ISA_SB_Lm4ESD_lEESH_SB_Lm5ESD_lEElllll
	.p2align	8
	.type	_ZN2at6native12_GLOBAL__N_127reflection_pad3d_out_kernelIhEEvN5torch10headeronly6detail27GenericPackedTensorAccessorINS5_14TensorAccessorIN3c108ArrayRefIlEEKT_Lm4ENS4_16DefaultPtrTraitsElEENS_6detail16IndexBoundsCheckILm5ElEESC_Lm5ESD_lEENS6_INS7_ISA_SB_Lm4ESD_lEESH_SB_Lm5ESD_lEElllll,@function
_ZN2at6native12_GLOBAL__N_127reflection_pad3d_out_kernelIhEEvN5torch10headeronly6detail27GenericPackedTensorAccessorINS5_14TensorAccessorIN3c108ArrayRefIlEEKT_Lm4ENS4_16DefaultPtrTraitsElEENS_6detail16IndexBoundsCheckILm5ElEESC_Lm5ESD_lEENS6_INS7_ISA_SB_Lm4ESD_lEESH_SB_Lm5ESD_lEElllll: ; @_ZN2at6native12_GLOBAL__N_127reflection_pad3d_out_kernelIhEEvN5torch10headeronly6detail27GenericPackedTensorAccessorINS5_14TensorAccessorIN3c108ArrayRefIlEEKT_Lm4ENS4_16DefaultPtrTraitsElEENS_6detail16IndexBoundsCheckILm5ElEESC_Lm5ESD_lEENS6_INS7_ISA_SB_Lm4ESD_lEESH_SB_Lm5ESD_lEElllll
; %bb.0:
	s_clause 0x2
	s_load_b32 s2, s[0:1], 0xe4
	s_load_b128 s[16:19], s[0:1], 0x70
	s_load_b64 s[34:35], s[0:1], 0x80
	v_mov_b32_e32 v4, 0
	s_delay_alu instid0(VALU_DEP_1)
	v_mov_b32_e32 v1, v4
	s_waitcnt lgkmcnt(0)
	s_and_b32 s2, s2, 0xffff
	s_mul_i32 s4, s34, s19
	s_mul_hi_u32 s5, s34, s18
	s_mul_i32 s6, s35, s18
	s_mul_i32 s3, s34, s18
	v_mad_u64_u32 v[2:3], null, s2, s13, v[0:1]
	s_add_i32 s20, s5, s4
	s_mul_i32 s2, s3, s17
	s_mul_hi_u32 s4, s3, s16
	s_add_i32 s20, s20, s6
	s_add_i32 s2, s4, s2
	s_mul_i32 s4, s20, s16
	s_delay_alu instid0(SALU_CYCLE_1)
	s_add_i32 s5, s2, s4
	s_mul_i32 s4, s3, s16
	s_mov_b32 s2, exec_lo
	v_cmpx_gt_i64_e64 s[4:5], v[2:3]
	s_cbranch_execz .LBB57_14
; %bb.1:
	v_or_b32_e32 v5, s35, v3
	s_delay_alu instid0(VALU_DEP_1) | instskip(SKIP_1) | instid1(SALU_CYCLE_1)
	v_cmp_ne_u64_e32 vcc_lo, 0, v[4:5]
                                        ; implicit-def: $vgpr4_vgpr5
	s_and_saveexec_b32 s2, vcc_lo
	s_xor_b32 s8, exec_lo, s2
	s_cbranch_execz .LBB57_3
; %bb.2:
	s_ashr_i32 s4, s35, 31
	s_delay_alu instid0(SALU_CYCLE_1) | instskip(SKIP_2) | instid1(SALU_CYCLE_1)
	s_add_u32 s6, s34, s4
	s_mov_b32 s5, s4
	s_addc_u32 s7, s35, s4
	s_xor_b64 s[6:7], s[6:7], s[4:5]
	s_delay_alu instid0(SALU_CYCLE_1) | instskip(SKIP_3) | instid1(VALU_DEP_1)
	v_cvt_f32_u32_e32 v0, s6
	v_cvt_f32_u32_e32 v1, s7
	s_sub_u32 s2, 0, s6
	s_subb_u32 s5, 0, s7
	v_fmamk_f32 v0, v1, 0x4f800000, v0
	s_delay_alu instid0(VALU_DEP_1) | instskip(SKIP_2) | instid1(VALU_DEP_1)
	v_rcp_f32_e32 v0, v0
	s_waitcnt_depctr 0xfff
	v_mul_f32_e32 v0, 0x5f7ffffc, v0
	v_mul_f32_e32 v1, 0x2f800000, v0
	s_delay_alu instid0(VALU_DEP_1) | instskip(NEXT) | instid1(VALU_DEP_1)
	v_trunc_f32_e32 v1, v1
	v_fmamk_f32 v0, v1, 0xcf800000, v0
	v_cvt_u32_f32_e32 v1, v1
	s_delay_alu instid0(VALU_DEP_2) | instskip(NEXT) | instid1(VALU_DEP_2)
	v_cvt_u32_f32_e32 v0, v0
	v_mul_lo_u32 v4, s2, v1
	s_delay_alu instid0(VALU_DEP_2) | instskip(SKIP_1) | instid1(VALU_DEP_2)
	v_mul_hi_u32 v5, s2, v0
	v_mul_lo_u32 v6, s5, v0
	v_add_nc_u32_e32 v4, v5, v4
	v_mul_lo_u32 v5, s2, v0
	s_delay_alu instid0(VALU_DEP_2) | instskip(NEXT) | instid1(VALU_DEP_2)
	v_add_nc_u32_e32 v4, v4, v6
	v_mul_hi_u32 v6, v0, v5
	s_delay_alu instid0(VALU_DEP_2)
	v_mul_lo_u32 v7, v0, v4
	v_mul_hi_u32 v8, v0, v4
	v_mul_hi_u32 v9, v1, v5
	v_mul_lo_u32 v5, v1, v5
	v_mul_hi_u32 v10, v1, v4
	v_mul_lo_u32 v4, v1, v4
	v_add_co_u32 v6, vcc_lo, v6, v7
	v_add_co_ci_u32_e32 v7, vcc_lo, 0, v8, vcc_lo
	s_delay_alu instid0(VALU_DEP_2) | instskip(NEXT) | instid1(VALU_DEP_2)
	v_add_co_u32 v5, vcc_lo, v6, v5
	v_add_co_ci_u32_e32 v5, vcc_lo, v7, v9, vcc_lo
	v_add_co_ci_u32_e32 v6, vcc_lo, 0, v10, vcc_lo
	v_ashrrev_i32_e32 v9, 31, v3
	s_delay_alu instid0(VALU_DEP_3) | instskip(NEXT) | instid1(VALU_DEP_3)
	v_add_co_u32 v4, vcc_lo, v5, v4
	v_add_co_ci_u32_e32 v5, vcc_lo, 0, v6, vcc_lo
	s_delay_alu instid0(VALU_DEP_2) | instskip(NEXT) | instid1(VALU_DEP_2)
	v_add_co_u32 v0, vcc_lo, v0, v4
	v_add_co_ci_u32_e32 v1, vcc_lo, v1, v5, vcc_lo
	s_delay_alu instid0(VALU_DEP_2) | instskip(SKIP_1) | instid1(VALU_DEP_3)
	v_mul_hi_u32 v4, s2, v0
	v_mul_lo_u32 v6, s5, v0
	v_mul_lo_u32 v5, s2, v1
	s_delay_alu instid0(VALU_DEP_1) | instskip(SKIP_1) | instid1(VALU_DEP_2)
	v_add_nc_u32_e32 v4, v4, v5
	v_mul_lo_u32 v5, s2, v0
	v_add_nc_u32_e32 v4, v4, v6
	s_delay_alu instid0(VALU_DEP_2) | instskip(NEXT) | instid1(VALU_DEP_2)
	v_mul_hi_u32 v6, v0, v5
	v_mul_lo_u32 v7, v0, v4
	v_mul_hi_u32 v8, v0, v4
	v_mul_hi_u32 v10, v1, v5
	v_mul_lo_u32 v5, v1, v5
	v_mul_hi_u32 v11, v1, v4
	v_mul_lo_u32 v4, v1, v4
	v_add_co_u32 v6, vcc_lo, v6, v7
	v_add_co_ci_u32_e32 v7, vcc_lo, 0, v8, vcc_lo
	s_delay_alu instid0(VALU_DEP_2) | instskip(NEXT) | instid1(VALU_DEP_2)
	v_add_co_u32 v5, vcc_lo, v6, v5
	v_add_co_ci_u32_e32 v5, vcc_lo, v7, v10, vcc_lo
	v_add_co_ci_u32_e32 v6, vcc_lo, 0, v11, vcc_lo
	v_add_co_u32 v7, vcc_lo, v2, v9
	v_add_co_ci_u32_e32 v8, vcc_lo, v3, v9, vcc_lo
	s_delay_alu instid0(VALU_DEP_4) | instskip(NEXT) | instid1(VALU_DEP_4)
	v_add_co_u32 v4, vcc_lo, v5, v4
	v_add_co_ci_u32_e32 v5, vcc_lo, 0, v6, vcc_lo
	s_delay_alu instid0(VALU_DEP_4) | instskip(NEXT) | instid1(VALU_DEP_3)
	v_xor_b32_e32 v10, v7, v9
	v_add_co_u32 v6, vcc_lo, v0, v4
	s_delay_alu instid0(VALU_DEP_3) | instskip(SKIP_1) | instid1(VALU_DEP_3)
	v_add_co_ci_u32_e32 v11, vcc_lo, v1, v5, vcc_lo
	v_xor_b32_e32 v8, v8, v9
	v_mul_hi_u32 v12, v10, v6
	s_delay_alu instid0(VALU_DEP_3) | instskip(NEXT) | instid1(VALU_DEP_3)
	v_mad_u64_u32 v[0:1], null, v10, v11, 0
	v_mad_u64_u32 v[4:5], null, v8, v6, 0
	;; [unrolled: 1-line block ×3, first 2 shown]
	s_delay_alu instid0(VALU_DEP_3) | instskip(NEXT) | instid1(VALU_DEP_4)
	v_add_co_u32 v0, vcc_lo, v12, v0
	v_add_co_ci_u32_e32 v1, vcc_lo, 0, v1, vcc_lo
	s_delay_alu instid0(VALU_DEP_2) | instskip(NEXT) | instid1(VALU_DEP_2)
	v_add_co_u32 v0, vcc_lo, v0, v4
	v_add_co_ci_u32_e32 v0, vcc_lo, v1, v5, vcc_lo
	v_add_co_ci_u32_e32 v1, vcc_lo, 0, v7, vcc_lo
	s_delay_alu instid0(VALU_DEP_2) | instskip(NEXT) | instid1(VALU_DEP_2)
	v_add_co_u32 v4, vcc_lo, v0, v6
	v_add_co_ci_u32_e32 v5, vcc_lo, 0, v1, vcc_lo
	s_delay_alu instid0(VALU_DEP_2) | instskip(SKIP_1) | instid1(VALU_DEP_3)
	v_mul_lo_u32 v6, s7, v4
	v_mad_u64_u32 v[0:1], null, s6, v4, 0
	v_mul_lo_u32 v7, s6, v5
	s_delay_alu instid0(VALU_DEP_2) | instskip(NEXT) | instid1(VALU_DEP_2)
	v_sub_co_u32 v0, vcc_lo, v10, v0
	v_add3_u32 v1, v1, v7, v6
	s_delay_alu instid0(VALU_DEP_1) | instskip(NEXT) | instid1(VALU_DEP_1)
	v_sub_nc_u32_e32 v6, v8, v1
	v_subrev_co_ci_u32_e64 v6, s2, s7, v6, vcc_lo
	v_add_co_u32 v7, s2, v4, 2
	s_delay_alu instid0(VALU_DEP_1) | instskip(SKIP_3) | instid1(VALU_DEP_3)
	v_add_co_ci_u32_e64 v10, s2, 0, v5, s2
	v_sub_co_u32 v11, s2, v0, s6
	v_sub_co_ci_u32_e32 v1, vcc_lo, v8, v1, vcc_lo
	v_subrev_co_ci_u32_e64 v6, s2, 0, v6, s2
	v_cmp_le_u32_e32 vcc_lo, s6, v11
	s_delay_alu instid0(VALU_DEP_3) | instskip(SKIP_1) | instid1(VALU_DEP_4)
	v_cmp_eq_u32_e64 s2, s7, v1
	v_cndmask_b32_e64 v8, 0, -1, vcc_lo
	v_cmp_le_u32_e32 vcc_lo, s7, v6
	v_cndmask_b32_e64 v11, 0, -1, vcc_lo
	v_cmp_le_u32_e32 vcc_lo, s6, v0
	;; [unrolled: 2-line block ×3, first 2 shown]
	v_cndmask_b32_e64 v12, 0, -1, vcc_lo
	v_cmp_eq_u32_e32 vcc_lo, s7, v6
	s_delay_alu instid0(VALU_DEP_2) | instskip(SKIP_3) | instid1(VALU_DEP_3)
	v_cndmask_b32_e64 v0, v12, v0, s2
	v_cndmask_b32_e32 v6, v11, v8, vcc_lo
	v_add_co_u32 v8, vcc_lo, v4, 1
	v_add_co_ci_u32_e32 v11, vcc_lo, 0, v5, vcc_lo
	v_cmp_ne_u32_e32 vcc_lo, 0, v6
	s_delay_alu instid0(VALU_DEP_2) | instskip(SKIP_2) | instid1(VALU_DEP_3)
	v_dual_cndmask_b32 v1, v11, v10 :: v_dual_cndmask_b32 v6, v8, v7
	v_cmp_ne_u32_e32 vcc_lo, 0, v0
	v_xor_b32_e32 v0, s4, v9
	v_dual_cndmask_b32 v4, v4, v6 :: v_dual_cndmask_b32 v1, v5, v1
	s_delay_alu instid0(VALU_DEP_1) | instskip(NEXT) | instid1(VALU_DEP_2)
	v_xor_b32_e32 v4, v4, v0
	v_xor_b32_e32 v1, v1, v0
	s_delay_alu instid0(VALU_DEP_2) | instskip(NEXT) | instid1(VALU_DEP_2)
	v_sub_co_u32 v4, vcc_lo, v4, v0
	v_sub_co_ci_u32_e32 v5, vcc_lo, v1, v0, vcc_lo
.LBB57_3:
	s_and_not1_saveexec_b32 s2, s8
	s_cbranch_execz .LBB57_5
; %bb.4:
	v_cvt_f32_u32_e32 v0, s34
	s_sub_i32 s4, 0, s34
	s_delay_alu instid0(VALU_DEP_1) | instskip(SKIP_2) | instid1(VALU_DEP_1)
	v_rcp_iflag_f32_e32 v0, v0
	s_waitcnt_depctr 0xfff
	v_mul_f32_e32 v0, 0x4f7ffffe, v0
	v_cvt_u32_f32_e32 v0, v0
	s_delay_alu instid0(VALU_DEP_1) | instskip(NEXT) | instid1(VALU_DEP_1)
	v_mul_lo_u32 v1, s4, v0
	v_mul_hi_u32 v1, v0, v1
	s_delay_alu instid0(VALU_DEP_1) | instskip(NEXT) | instid1(VALU_DEP_1)
	v_add_nc_u32_e32 v0, v0, v1
	v_mul_hi_u32 v0, v2, v0
	s_delay_alu instid0(VALU_DEP_1) | instskip(SKIP_1) | instid1(VALU_DEP_2)
	v_mul_lo_u32 v1, v0, s34
	v_add_nc_u32_e32 v4, 1, v0
	v_sub_nc_u32_e32 v1, v2, v1
	s_delay_alu instid0(VALU_DEP_1) | instskip(SKIP_1) | instid1(VALU_DEP_2)
	v_subrev_nc_u32_e32 v5, s34, v1
	v_cmp_le_u32_e32 vcc_lo, s34, v1
	v_cndmask_b32_e32 v1, v1, v5, vcc_lo
	v_dual_mov_b32 v5, 0 :: v_dual_cndmask_b32 v0, v0, v4
	s_delay_alu instid0(VALU_DEP_2) | instskip(NEXT) | instid1(VALU_DEP_2)
	v_cmp_le_u32_e32 vcc_lo, s34, v1
	v_add_nc_u32_e32 v4, 1, v0
	s_delay_alu instid0(VALU_DEP_1)
	v_cndmask_b32_e32 v4, v0, v4, vcc_lo
.LBB57_5:
	s_or_b32 exec_lo, exec_lo, s2
	s_delay_alu instid0(VALU_DEP_1) | instskip(SKIP_1) | instid1(VALU_DEP_1)
	v_or_b32_e32 v1, s19, v5
	v_mov_b32_e32 v0, 0
	v_cmp_ne_u64_e32 vcc_lo, 0, v[0:1]
                                        ; implicit-def: $vgpr0_vgpr1
	s_and_saveexec_b32 s2, vcc_lo
	s_delay_alu instid0(SALU_CYCLE_1)
	s_xor_b32 s6, exec_lo, s2
	s_cbranch_execz .LBB57_7
; %bb.6:
	s_ashr_i32 s4, s19, 31
	s_delay_alu instid0(SALU_CYCLE_1) | instskip(SKIP_2) | instid1(SALU_CYCLE_1)
	s_add_u32 s8, s18, s4
	s_mov_b32 s5, s4
	s_addc_u32 s9, s19, s4
	s_xor_b64 s[4:5], s[8:9], s[4:5]
	s_delay_alu instid0(SALU_CYCLE_1) | instskip(SKIP_3) | instid1(VALU_DEP_1)
	v_cvt_f32_u32_e32 v0, s4
	v_cvt_f32_u32_e32 v1, s5
	s_sub_u32 s2, 0, s4
	s_subb_u32 s7, 0, s5
	v_fmamk_f32 v0, v1, 0x4f800000, v0
	s_delay_alu instid0(VALU_DEP_1) | instskip(SKIP_2) | instid1(VALU_DEP_1)
	v_rcp_f32_e32 v0, v0
	s_waitcnt_depctr 0xfff
	v_mul_f32_e32 v0, 0x5f7ffffc, v0
	v_mul_f32_e32 v1, 0x2f800000, v0
	s_delay_alu instid0(VALU_DEP_1) | instskip(NEXT) | instid1(VALU_DEP_1)
	v_trunc_f32_e32 v1, v1
	v_fmamk_f32 v0, v1, 0xcf800000, v0
	v_cvt_u32_f32_e32 v1, v1
	s_delay_alu instid0(VALU_DEP_2) | instskip(NEXT) | instid1(VALU_DEP_2)
	v_cvt_u32_f32_e32 v0, v0
	v_mul_lo_u32 v6, s2, v1
	s_delay_alu instid0(VALU_DEP_2) | instskip(SKIP_1) | instid1(VALU_DEP_2)
	v_mul_hi_u32 v7, s2, v0
	v_mul_lo_u32 v8, s7, v0
	v_add_nc_u32_e32 v6, v7, v6
	v_mul_lo_u32 v7, s2, v0
	s_delay_alu instid0(VALU_DEP_2) | instskip(NEXT) | instid1(VALU_DEP_2)
	v_add_nc_u32_e32 v6, v6, v8
	v_mul_hi_u32 v8, v0, v7
	s_delay_alu instid0(VALU_DEP_2)
	v_mul_lo_u32 v9, v0, v6
	v_mul_hi_u32 v10, v0, v6
	v_mul_hi_u32 v11, v1, v7
	v_mul_lo_u32 v7, v1, v7
	v_mul_hi_u32 v12, v1, v6
	v_mul_lo_u32 v6, v1, v6
	v_add_co_u32 v8, vcc_lo, v8, v9
	v_add_co_ci_u32_e32 v9, vcc_lo, 0, v10, vcc_lo
	s_delay_alu instid0(VALU_DEP_2) | instskip(NEXT) | instid1(VALU_DEP_2)
	v_add_co_u32 v7, vcc_lo, v8, v7
	v_add_co_ci_u32_e32 v7, vcc_lo, v9, v11, vcc_lo
	v_add_co_ci_u32_e32 v8, vcc_lo, 0, v12, vcc_lo
	v_ashrrev_i32_e32 v11, 31, v5
	s_delay_alu instid0(VALU_DEP_3) | instskip(NEXT) | instid1(VALU_DEP_3)
	v_add_co_u32 v6, vcc_lo, v7, v6
	v_add_co_ci_u32_e32 v7, vcc_lo, 0, v8, vcc_lo
	s_delay_alu instid0(VALU_DEP_2) | instskip(NEXT) | instid1(VALU_DEP_2)
	v_add_co_u32 v0, vcc_lo, v0, v6
	v_add_co_ci_u32_e32 v1, vcc_lo, v1, v7, vcc_lo
	s_delay_alu instid0(VALU_DEP_2) | instskip(SKIP_1) | instid1(VALU_DEP_3)
	v_mul_hi_u32 v6, s2, v0
	v_mul_lo_u32 v8, s7, v0
	v_mul_lo_u32 v7, s2, v1
	s_delay_alu instid0(VALU_DEP_1) | instskip(SKIP_1) | instid1(VALU_DEP_2)
	v_add_nc_u32_e32 v6, v6, v7
	v_mul_lo_u32 v7, s2, v0
	v_add_nc_u32_e32 v6, v6, v8
	s_delay_alu instid0(VALU_DEP_2) | instskip(NEXT) | instid1(VALU_DEP_2)
	v_mul_hi_u32 v8, v0, v7
	v_mul_lo_u32 v9, v0, v6
	v_mul_hi_u32 v10, v0, v6
	v_mul_hi_u32 v12, v1, v7
	v_mul_lo_u32 v7, v1, v7
	v_mul_hi_u32 v13, v1, v6
	v_mul_lo_u32 v6, v1, v6
	v_add_co_u32 v8, vcc_lo, v8, v9
	v_add_co_ci_u32_e32 v9, vcc_lo, 0, v10, vcc_lo
	s_delay_alu instid0(VALU_DEP_2) | instskip(NEXT) | instid1(VALU_DEP_2)
	v_add_co_u32 v7, vcc_lo, v8, v7
	v_add_co_ci_u32_e32 v7, vcc_lo, v9, v12, vcc_lo
	v_add_co_ci_u32_e32 v8, vcc_lo, 0, v13, vcc_lo
	v_add_co_u32 v9, vcc_lo, v4, v11
	v_add_co_ci_u32_e32 v10, vcc_lo, v5, v11, vcc_lo
	s_delay_alu instid0(VALU_DEP_4) | instskip(NEXT) | instid1(VALU_DEP_4)
	v_add_co_u32 v6, vcc_lo, v7, v6
	v_add_co_ci_u32_e32 v7, vcc_lo, 0, v8, vcc_lo
	s_delay_alu instid0(VALU_DEP_4) | instskip(NEXT) | instid1(VALU_DEP_3)
	v_xor_b32_e32 v12, v9, v11
	v_add_co_u32 v8, vcc_lo, v0, v6
	s_delay_alu instid0(VALU_DEP_3) | instskip(SKIP_1) | instid1(VALU_DEP_3)
	v_add_co_ci_u32_e32 v13, vcc_lo, v1, v7, vcc_lo
	v_xor_b32_e32 v10, v10, v11
	v_mul_hi_u32 v14, v12, v8
	s_delay_alu instid0(VALU_DEP_3) | instskip(NEXT) | instid1(VALU_DEP_3)
	v_mad_u64_u32 v[0:1], null, v12, v13, 0
	v_mad_u64_u32 v[6:7], null, v10, v8, 0
	;; [unrolled: 1-line block ×3, first 2 shown]
	s_delay_alu instid0(VALU_DEP_3) | instskip(NEXT) | instid1(VALU_DEP_4)
	v_add_co_u32 v0, vcc_lo, v14, v0
	v_add_co_ci_u32_e32 v1, vcc_lo, 0, v1, vcc_lo
	s_delay_alu instid0(VALU_DEP_2) | instskip(NEXT) | instid1(VALU_DEP_2)
	v_add_co_u32 v0, vcc_lo, v0, v6
	v_add_co_ci_u32_e32 v0, vcc_lo, v1, v7, vcc_lo
	v_add_co_ci_u32_e32 v1, vcc_lo, 0, v9, vcc_lo
	s_delay_alu instid0(VALU_DEP_2) | instskip(NEXT) | instid1(VALU_DEP_2)
	v_add_co_u32 v6, vcc_lo, v0, v8
	v_add_co_ci_u32_e32 v7, vcc_lo, 0, v1, vcc_lo
	s_delay_alu instid0(VALU_DEP_2) | instskip(SKIP_1) | instid1(VALU_DEP_3)
	v_mul_lo_u32 v8, s5, v6
	v_mad_u64_u32 v[0:1], null, s4, v6, 0
	v_mul_lo_u32 v6, s4, v7
	s_delay_alu instid0(VALU_DEP_2) | instskip(NEXT) | instid1(VALU_DEP_2)
	v_sub_co_u32 v0, vcc_lo, v12, v0
	v_add3_u32 v1, v1, v6, v8
	s_delay_alu instid0(VALU_DEP_1) | instskip(NEXT) | instid1(VALU_DEP_1)
	v_sub_nc_u32_e32 v6, v10, v1
	v_subrev_co_ci_u32_e64 v6, s2, s5, v6, vcc_lo
	v_sub_co_ci_u32_e32 v1, vcc_lo, v10, v1, vcc_lo
	v_sub_co_u32 v7, vcc_lo, v0, s4
	s_delay_alu instid0(VALU_DEP_1) | instskip(SKIP_3) | instid1(VALU_DEP_3)
	v_subrev_co_ci_u32_e64 v8, s2, 0, v6, vcc_lo
	v_cmp_le_u32_e64 s2, s4, v0
	v_subrev_co_ci_u32_e32 v6, vcc_lo, s5, v6, vcc_lo
	v_cmp_le_u32_e32 vcc_lo, s5, v1
	v_cndmask_b32_e64 v9, 0, -1, s2
	v_cmp_le_u32_e64 s2, s4, v7
	v_cndmask_b32_e64 v13, 0, -1, vcc_lo
	v_cmp_eq_u32_e32 vcc_lo, s5, v8
	s_delay_alu instid0(VALU_DEP_3) | instskip(SKIP_1) | instid1(VALU_DEP_1)
	v_cndmask_b32_e64 v10, 0, -1, s2
	v_cmp_le_u32_e64 s2, s5, v8
	v_cndmask_b32_e64 v12, 0, -1, s2
	v_cmp_eq_u32_e64 s2, s5, v1
	s_delay_alu instid0(VALU_DEP_2) | instskip(SKIP_2) | instid1(VALU_DEP_3)
	v_cndmask_b32_e32 v10, v12, v10, vcc_lo
	v_sub_co_u32 v12, vcc_lo, v7, s4
	v_subrev_co_ci_u32_e32 v6, vcc_lo, 0, v6, vcc_lo
	v_cmp_ne_u32_e32 vcc_lo, 0, v10
	v_cndmask_b32_e64 v9, v13, v9, s2
	s_delay_alu instid0(VALU_DEP_3) | instskip(NEXT) | instid1(VALU_DEP_2)
	v_dual_cndmask_b32 v6, v8, v6 :: v_dual_cndmask_b32 v7, v7, v12
	v_cmp_ne_u32_e32 vcc_lo, 0, v9
	s_delay_alu instid0(VALU_DEP_2) | instskip(NEXT) | instid1(VALU_DEP_1)
	v_dual_cndmask_b32 v0, v0, v7 :: v_dual_cndmask_b32 v1, v1, v6
	v_xor_b32_e32 v0, v0, v11
	s_delay_alu instid0(VALU_DEP_2) | instskip(NEXT) | instid1(VALU_DEP_2)
	v_xor_b32_e32 v1, v1, v11
	v_sub_co_u32 v0, vcc_lo, v0, v11
	s_delay_alu instid0(VALU_DEP_2)
	v_sub_co_ci_u32_e32 v1, vcc_lo, v1, v11, vcc_lo
.LBB57_7:
	s_or_saveexec_b32 s2, s6
	s_clause 0x1
	s_load_b64 s[12:13], s[0:1], 0xa8
	s_load_b256 s[4:11], s[0:1], 0x88
	s_xor_b32 exec_lo, exec_lo, s2
	s_cbranch_execz .LBB57_9
; %bb.8:
	v_cvt_f32_u32_e32 v0, s18
	s_sub_i32 s16, 0, s18
	s_delay_alu instid0(VALU_DEP_1) | instskip(SKIP_2) | instid1(VALU_DEP_1)
	v_rcp_iflag_f32_e32 v0, v0
	s_waitcnt_depctr 0xfff
	v_mul_f32_e32 v0, 0x4f7ffffe, v0
	v_cvt_u32_f32_e32 v0, v0
	s_delay_alu instid0(VALU_DEP_1) | instskip(NEXT) | instid1(VALU_DEP_1)
	v_mul_lo_u32 v1, s16, v0
	v_mul_hi_u32 v1, v0, v1
	s_delay_alu instid0(VALU_DEP_1) | instskip(NEXT) | instid1(VALU_DEP_1)
	v_add_nc_u32_e32 v0, v0, v1
	v_mul_hi_u32 v0, v4, v0
	s_delay_alu instid0(VALU_DEP_1) | instskip(NEXT) | instid1(VALU_DEP_1)
	v_mul_lo_u32 v0, v0, s18
	v_sub_nc_u32_e32 v0, v4, v0
	s_delay_alu instid0(VALU_DEP_1) | instskip(SKIP_1) | instid1(VALU_DEP_2)
	v_subrev_nc_u32_e32 v1, s18, v0
	v_cmp_le_u32_e32 vcc_lo, s18, v0
	v_cndmask_b32_e32 v0, v0, v1, vcc_lo
	s_delay_alu instid0(VALU_DEP_1) | instskip(SKIP_1) | instid1(VALU_DEP_2)
	v_subrev_nc_u32_e32 v1, s18, v0
	v_cmp_le_u32_e32 vcc_lo, s18, v0
	v_dual_cndmask_b32 v0, v0, v1 :: v_dual_mov_b32 v1, 0
.LBB57_9:
	s_or_b32 exec_lo, exec_lo, s2
	s_clause 0x1
	s_load_b64 s[44:45], s[0:1], 0x58
	s_load_b64 s[46:47], s[0:1], 0x0
	v_or_b32_e32 v7, s20, v3
	v_mov_b32_e32 v6, 0
	s_delay_alu instid0(VALU_DEP_1) | instskip(SKIP_1) | instid1(SALU_CYCLE_1)
	v_cmp_ne_u64_e32 vcc_lo, 0, v[6:7]
                                        ; implicit-def: $vgpr6_vgpr7
	s_and_saveexec_b32 s2, vcc_lo
	s_xor_b32 s21, exec_lo, s2
	s_cbranch_execz .LBB57_11
; %bb.10:
	s_ashr_i32 s16, s20, 31
	s_delay_alu instid0(SALU_CYCLE_1) | instskip(SKIP_2) | instid1(SALU_CYCLE_1)
	s_add_u32 s18, s3, s16
	s_mov_b32 s17, s16
	s_addc_u32 s19, s20, s16
	s_xor_b64 s[18:19], s[18:19], s[16:17]
	s_delay_alu instid0(SALU_CYCLE_1) | instskip(SKIP_3) | instid1(VALU_DEP_1)
	v_cvt_f32_u32_e32 v6, s18
	v_cvt_f32_u32_e32 v7, s19
	s_sub_u32 s2, 0, s18
	s_subb_u32 s17, 0, s19
	v_fmamk_f32 v6, v7, 0x4f800000, v6
	s_delay_alu instid0(VALU_DEP_1) | instskip(SKIP_2) | instid1(VALU_DEP_1)
	v_rcp_f32_e32 v6, v6
	s_waitcnt_depctr 0xfff
	v_mul_f32_e32 v6, 0x5f7ffffc, v6
	v_mul_f32_e32 v7, 0x2f800000, v6
	s_delay_alu instid0(VALU_DEP_1) | instskip(NEXT) | instid1(VALU_DEP_1)
	v_trunc_f32_e32 v7, v7
	v_fmamk_f32 v6, v7, 0xcf800000, v6
	v_cvt_u32_f32_e32 v7, v7
	s_delay_alu instid0(VALU_DEP_2) | instskip(NEXT) | instid1(VALU_DEP_2)
	v_cvt_u32_f32_e32 v6, v6
	v_mul_lo_u32 v8, s2, v7
	s_delay_alu instid0(VALU_DEP_2) | instskip(SKIP_1) | instid1(VALU_DEP_2)
	v_mul_hi_u32 v9, s2, v6
	v_mul_lo_u32 v10, s17, v6
	v_add_nc_u32_e32 v8, v9, v8
	v_mul_lo_u32 v9, s2, v6
	s_delay_alu instid0(VALU_DEP_2) | instskip(NEXT) | instid1(VALU_DEP_2)
	v_add_nc_u32_e32 v8, v8, v10
	v_mul_hi_u32 v10, v6, v9
	s_delay_alu instid0(VALU_DEP_2)
	v_mul_lo_u32 v11, v6, v8
	v_mul_hi_u32 v12, v6, v8
	v_mul_hi_u32 v13, v7, v9
	v_mul_lo_u32 v9, v7, v9
	v_mul_hi_u32 v14, v7, v8
	v_mul_lo_u32 v8, v7, v8
	v_add_co_u32 v10, vcc_lo, v10, v11
	v_add_co_ci_u32_e32 v11, vcc_lo, 0, v12, vcc_lo
	s_delay_alu instid0(VALU_DEP_2) | instskip(NEXT) | instid1(VALU_DEP_2)
	v_add_co_u32 v9, vcc_lo, v10, v9
	v_add_co_ci_u32_e32 v9, vcc_lo, v11, v13, vcc_lo
	v_add_co_ci_u32_e32 v10, vcc_lo, 0, v14, vcc_lo
	v_ashrrev_i32_e32 v13, 31, v3
	s_delay_alu instid0(VALU_DEP_3) | instskip(NEXT) | instid1(VALU_DEP_3)
	v_add_co_u32 v8, vcc_lo, v9, v8
	v_add_co_ci_u32_e32 v9, vcc_lo, 0, v10, vcc_lo
	s_delay_alu instid0(VALU_DEP_2) | instskip(NEXT) | instid1(VALU_DEP_2)
	v_add_co_u32 v6, vcc_lo, v6, v8
	v_add_co_ci_u32_e32 v7, vcc_lo, v7, v9, vcc_lo
	s_delay_alu instid0(VALU_DEP_2) | instskip(SKIP_1) | instid1(VALU_DEP_3)
	v_mul_hi_u32 v8, s2, v6
	v_mul_lo_u32 v10, s17, v6
	v_mul_lo_u32 v9, s2, v7
	s_delay_alu instid0(VALU_DEP_1) | instskip(SKIP_1) | instid1(VALU_DEP_2)
	v_add_nc_u32_e32 v8, v8, v9
	v_mul_lo_u32 v9, s2, v6
	v_add_nc_u32_e32 v8, v8, v10
	s_delay_alu instid0(VALU_DEP_2) | instskip(NEXT) | instid1(VALU_DEP_2)
	v_mul_hi_u32 v10, v6, v9
	v_mul_lo_u32 v11, v6, v8
	v_mul_hi_u32 v12, v6, v8
	v_mul_hi_u32 v14, v7, v9
	v_mul_lo_u32 v9, v7, v9
	v_mul_hi_u32 v15, v7, v8
	v_mul_lo_u32 v8, v7, v8
	v_add_co_u32 v10, vcc_lo, v10, v11
	v_add_co_ci_u32_e32 v11, vcc_lo, 0, v12, vcc_lo
	s_delay_alu instid0(VALU_DEP_2) | instskip(NEXT) | instid1(VALU_DEP_2)
	v_add_co_u32 v9, vcc_lo, v10, v9
	v_add_co_ci_u32_e32 v9, vcc_lo, v11, v14, vcc_lo
	v_add_co_ci_u32_e32 v10, vcc_lo, 0, v15, vcc_lo
	v_add_co_u32 v11, vcc_lo, v2, v13
	v_add_co_ci_u32_e32 v12, vcc_lo, v3, v13, vcc_lo
	s_delay_alu instid0(VALU_DEP_4) | instskip(NEXT) | instid1(VALU_DEP_4)
	v_add_co_u32 v8, vcc_lo, v9, v8
	v_add_co_ci_u32_e32 v9, vcc_lo, 0, v10, vcc_lo
	s_delay_alu instid0(VALU_DEP_4) | instskip(NEXT) | instid1(VALU_DEP_3)
	v_xor_b32_e32 v14, v11, v13
	v_add_co_u32 v10, vcc_lo, v6, v8
	s_delay_alu instid0(VALU_DEP_3) | instskip(SKIP_1) | instid1(VALU_DEP_3)
	v_add_co_ci_u32_e32 v15, vcc_lo, v7, v9, vcc_lo
	v_xor_b32_e32 v12, v12, v13
	v_mul_hi_u32 v16, v14, v10
	s_delay_alu instid0(VALU_DEP_3) | instskip(NEXT) | instid1(VALU_DEP_3)
	v_mad_u64_u32 v[6:7], null, v14, v15, 0
	v_mad_u64_u32 v[8:9], null, v12, v10, 0
	;; [unrolled: 1-line block ×3, first 2 shown]
	s_delay_alu instid0(VALU_DEP_3) | instskip(NEXT) | instid1(VALU_DEP_4)
	v_add_co_u32 v6, vcc_lo, v16, v6
	v_add_co_ci_u32_e32 v7, vcc_lo, 0, v7, vcc_lo
	s_delay_alu instid0(VALU_DEP_2) | instskip(NEXT) | instid1(VALU_DEP_2)
	v_add_co_u32 v6, vcc_lo, v6, v8
	v_add_co_ci_u32_e32 v6, vcc_lo, v7, v9, vcc_lo
	v_add_co_ci_u32_e32 v7, vcc_lo, 0, v11, vcc_lo
	s_delay_alu instid0(VALU_DEP_2) | instskip(NEXT) | instid1(VALU_DEP_2)
	v_add_co_u32 v8, vcc_lo, v6, v10
	v_add_co_ci_u32_e32 v9, vcc_lo, 0, v7, vcc_lo
	s_delay_alu instid0(VALU_DEP_2) | instskip(SKIP_1) | instid1(VALU_DEP_3)
	v_mul_lo_u32 v10, s19, v8
	v_mad_u64_u32 v[6:7], null, s18, v8, 0
	v_mul_lo_u32 v11, s18, v9
	s_delay_alu instid0(VALU_DEP_2) | instskip(NEXT) | instid1(VALU_DEP_2)
	v_sub_co_u32 v6, vcc_lo, v14, v6
	v_add3_u32 v7, v7, v11, v10
	s_delay_alu instid0(VALU_DEP_1) | instskip(NEXT) | instid1(VALU_DEP_1)
	v_sub_nc_u32_e32 v10, v12, v7
	v_subrev_co_ci_u32_e64 v10, s2, s19, v10, vcc_lo
	v_add_co_u32 v11, s2, v8, 2
	s_delay_alu instid0(VALU_DEP_1) | instskip(SKIP_3) | instid1(VALU_DEP_3)
	v_add_co_ci_u32_e64 v14, s2, 0, v9, s2
	v_sub_co_u32 v15, s2, v6, s18
	v_sub_co_ci_u32_e32 v7, vcc_lo, v12, v7, vcc_lo
	v_subrev_co_ci_u32_e64 v10, s2, 0, v10, s2
	v_cmp_le_u32_e32 vcc_lo, s18, v15
	s_delay_alu instid0(VALU_DEP_3) | instskip(SKIP_1) | instid1(VALU_DEP_4)
	v_cmp_eq_u32_e64 s2, s19, v7
	v_cndmask_b32_e64 v12, 0, -1, vcc_lo
	v_cmp_le_u32_e32 vcc_lo, s19, v10
	v_cndmask_b32_e64 v15, 0, -1, vcc_lo
	v_cmp_le_u32_e32 vcc_lo, s18, v6
	;; [unrolled: 2-line block ×3, first 2 shown]
	v_cndmask_b32_e64 v16, 0, -1, vcc_lo
	v_cmp_eq_u32_e32 vcc_lo, s19, v10
	s_delay_alu instid0(VALU_DEP_2) | instskip(SKIP_3) | instid1(VALU_DEP_3)
	v_cndmask_b32_e64 v6, v16, v6, s2
	v_cndmask_b32_e32 v10, v15, v12, vcc_lo
	v_add_co_u32 v12, vcc_lo, v8, 1
	v_add_co_ci_u32_e32 v15, vcc_lo, 0, v9, vcc_lo
	v_cmp_ne_u32_e32 vcc_lo, 0, v10
	s_delay_alu instid0(VALU_DEP_2) | instskip(SKIP_2) | instid1(VALU_DEP_3)
	v_dual_cndmask_b32 v7, v15, v14 :: v_dual_cndmask_b32 v10, v12, v11
	v_cmp_ne_u32_e32 vcc_lo, 0, v6
	v_xor_b32_e32 v11, s16, v13
	v_dual_cndmask_b32 v6, v9, v7 :: v_dual_cndmask_b32 v7, v8, v10
	s_delay_alu instid0(VALU_DEP_1) | instskip(NEXT) | instid1(VALU_DEP_2)
	v_xor_b32_e32 v8, v6, v11
	v_xor_b32_e32 v7, v7, v11
	s_delay_alu instid0(VALU_DEP_1) | instskip(NEXT) | instid1(VALU_DEP_3)
	v_sub_co_u32 v6, vcc_lo, v7, v11
	v_sub_co_ci_u32_e32 v7, vcc_lo, v8, v11, vcc_lo
.LBB57_11:
	s_or_saveexec_b32 s2, s21
	s_load_b512 s[16:31], s[0:1], 0x18
	s_xor_b32 exec_lo, exec_lo, s2
	s_cbranch_execz .LBB57_13
; %bb.12:
	v_cvt_f32_u32_e32 v6, s3
	s_sub_i32 s33, 0, s3
	s_delay_alu instid0(VALU_DEP_1) | instskip(SKIP_2) | instid1(VALU_DEP_1)
	v_rcp_iflag_f32_e32 v6, v6
	s_waitcnt_depctr 0xfff
	v_mul_f32_e32 v6, 0x4f7ffffe, v6
	v_cvt_u32_f32_e32 v6, v6
	s_delay_alu instid0(VALU_DEP_1) | instskip(NEXT) | instid1(VALU_DEP_1)
	v_mul_lo_u32 v7, s33, v6
	v_mul_hi_u32 v7, v6, v7
	s_delay_alu instid0(VALU_DEP_1) | instskip(NEXT) | instid1(VALU_DEP_1)
	v_add_nc_u32_e32 v6, v6, v7
	v_mul_hi_u32 v6, v2, v6
	s_delay_alu instid0(VALU_DEP_1) | instskip(SKIP_1) | instid1(VALU_DEP_2)
	v_mul_lo_u32 v7, v6, s3
	v_add_nc_u32_e32 v8, 1, v6
	v_sub_nc_u32_e32 v7, v2, v7
	s_delay_alu instid0(VALU_DEP_1) | instskip(SKIP_1) | instid1(VALU_DEP_2)
	v_subrev_nc_u32_e32 v9, s3, v7
	v_cmp_le_u32_e32 vcc_lo, s3, v7
	v_dual_cndmask_b32 v7, v7, v9 :: v_dual_cndmask_b32 v6, v6, v8
	s_delay_alu instid0(VALU_DEP_1) | instskip(NEXT) | instid1(VALU_DEP_2)
	v_cmp_le_u32_e32 vcc_lo, s3, v7
	v_dual_mov_b32 v7, 0 :: v_dual_add_nc_u32 v8, 1, v6
	s_delay_alu instid0(VALU_DEP_1)
	v_cndmask_b32_e32 v6, v6, v8, vcc_lo
.LBB57_13:
	s_or_b32 exec_lo, exec_lo, s2
	s_load_b256 s[36:43], s[0:1], 0xb0
	v_mul_lo_u32 v5, v5, s34
	v_mul_lo_u32 v10, v4, s35
	v_mad_u64_u32 v[8:9], null, v4, s34, 0
	s_load_b64 s[0:1], s[0:1], 0xd0
	s_delay_alu instid0(VALU_DEP_1) | instskip(NEXT) | instid1(VALU_DEP_2)
	v_add3_u32 v4, v9, v10, v5
	v_sub_co_u32 v8, vcc_lo, v2, v8
	s_delay_alu instid0(VALU_DEP_2)
	v_sub_co_ci_u32_e32 v9, vcc_lo, v3, v4, vcc_lo
	s_waitcnt lgkmcnt(0)
	s_sub_u32 s2, 0, s36
	s_subb_u32 s3, 0, s37
	s_sub_u32 s34, 0, s38
	v_cmp_gt_i64_e64 s50, s[2:3], 0
	s_subb_u32 s35, 0, s39
	v_cmp_gt_i64_e64 s33, s[36:37], 0
	s_sub_u32 s48, 0, s40
	s_subb_u32 s49, 0, s41
	v_cmp_gt_i64_e64 s54, s[34:35], 0
	v_cmp_gt_i64_e64 s52, s[38:39], 0
	;; [unrolled: 1-line block ×4, first 2 shown]
	s_and_b32 s50, s50, exec_lo
	s_cselect_b32 s56, s3, 0
	s_cselect_b32 s57, s2, 0
	s_and_b32 s2, s33, exec_lo
	s_cselect_b32 s51, s37, 0
	s_cselect_b32 s50, s36, 0
	;; [unrolled: 3-line block ×5, first 2 shown]
	s_and_b32 s2, s53, exec_lo
	v_sub_co_u32 v2, vcc_lo, v8, s36
	s_cselect_b32 s3, s41, 0
	s_cselect_b32 s2, s40, 0
	s_add_u32 s48, s20, s36
	v_subrev_co_ci_u32_e32 v3, vcc_lo, s37, v9, vcc_lo
	s_addc_u32 s49, s21, s37
	v_sub_co_u32 v4, vcc_lo, v8, s48
	v_subrev_co_ci_u32_e32 v5, vcc_lo, s49, v9, vcc_lo
	s_lshl_b64 s[36:37], s[36:37], 1
	s_not_b64 s[48:49], s[50:51]
	v_ashrrev_i32_e32 v10, 31, v3
	s_add_u32 s36, s36, s48
	s_addc_u32 s37, s37, s49
	v_add_co_u32 v4, vcc_lo, v4, 1
	s_add_u32 s36, s36, s57
	s_addc_u32 s37, s37, s56
	v_add_co_ci_u32_e32 v5, vcc_lo, 0, v5, vcc_lo
	s_add_u32 s36, s36, s20
	v_xor_b32_e32 v12, v2, v10
	s_addc_u32 s37, s37, s21
	v_sub_co_u32 v2, vcc_lo, v0, s38
	s_add_u32 s20, s18, s38
	v_xor_b32_e32 v11, v3, v10
	v_subrev_co_ci_u32_e32 v3, vcc_lo, s39, v1, vcc_lo
	s_addc_u32 s21, s19, s39
	v_sub_co_u32 v14, vcc_lo, v0, s20
	v_subrev_co_ci_u32_e32 v15, vcc_lo, s21, v1, vcc_lo
	s_delay_alu instid0(VALU_DEP_3) | instskip(NEXT) | instid1(VALU_DEP_3)
	v_ashrrev_i32_e32 v16, 31, v3
	v_add_co_u32 v14, vcc_lo, v14, 1
	s_delay_alu instid0(VALU_DEP_3) | instskip(NEXT) | instid1(VALU_DEP_3)
	v_add_co_ci_u32_e32 v15, vcc_lo, 0, v15, vcc_lo
	v_xor_b32_e32 v2, v2, v16
	v_xor_b32_e32 v3, v3, v16
	s_lshl_b64 s[20:21], s[38:39], 1
	s_delay_alu instid0(VALU_DEP_3) | instskip(SKIP_3) | instid1(VALU_DEP_3)
	v_ashrrev_i32_e32 v17, 31, v15
	s_not_b64 s[34:35], s[34:35]
	v_sub_co_u32 v18, vcc_lo, v2, v16
	v_sub_co_ci_u32_e32 v16, vcc_lo, v3, v16, vcc_lo
	v_xor_b32_e32 v2, v14, v17
	v_xor_b32_e32 v3, v15, v17
	s_add_u32 s20, s20, s34
	s_addc_u32 s21, s21, s35
	s_add_u32 s20, s20, s54
	v_sub_co_u32 v2, vcc_lo, v2, v17
	v_sub_co_ci_u32_e32 v3, vcc_lo, v3, v17, vcc_lo
	v_sub_co_u32 v14, vcc_lo, v6, s40
	s_addc_u32 s21, s21, s33
	s_add_u32 s18, s20, s18
	v_subrev_co_ci_u32_e32 v15, vcc_lo, s41, v7, vcc_lo
	s_addc_u32 s19, s21, s19
	v_add_co_u32 v2, vcc_lo, v0, v2
	s_add_u32 s20, s16, s40
	v_add_co_ci_u32_e32 v3, vcc_lo, v1, v3, vcc_lo
	s_addc_u32 s21, s17, s41
	v_sub_co_u32 v19, vcc_lo, v6, s20
	v_subrev_co_ci_u32_e32 v20, vcc_lo, s21, v7, vcc_lo
	v_ashrrev_i32_e32 v17, 31, v15
	s_delay_alu instid0(VALU_DEP_3) | instskip(NEXT) | instid1(VALU_DEP_3)
	v_add_co_u32 v19, vcc_lo, v19, 1
	v_add_co_ci_u32_e32 v20, vcc_lo, 0, v20, vcc_lo
	v_sub_co_u32 v21, vcc_lo, s18, v2
	s_delay_alu instid0(VALU_DEP_4) | instskip(SKIP_1) | instid1(VALU_DEP_4)
	v_xor_b32_e32 v14, v14, v17
	v_sub_co_ci_u32_e32 v22, vcc_lo, s19, v3, vcc_lo
	v_ashrrev_i32_e32 v3, 31, v20
	v_xor_b32_e32 v2, v15, v17
	s_delay_alu instid0(VALU_DEP_4) | instskip(SKIP_1) | instid1(VALU_DEP_3)
	v_sub_co_u32 v14, vcc_lo, v14, v17
	s_lshl_b64 s[18:19], s[40:41], 1
	v_xor_b32_e32 v15, v19, v3
	s_not_b64 s[2:3], s[2:3]
	v_sub_co_ci_u32_e32 v2, vcc_lo, v2, v17, vcc_lo
	v_xor_b32_e32 v17, v20, v3
	s_add_u32 s2, s18, s2
	s_addc_u32 s3, s19, s3
	v_sub_co_u32 v15, vcc_lo, v15, v3
	s_add_u32 s2, s2, s55
	s_addc_u32 s3, s3, s52
	v_sub_co_ci_u32_e32 v3, vcc_lo, v17, v3, vcc_lo
	s_add_u32 s2, s2, s16
	s_addc_u32 s3, s3, s17
	s_add_u32 s14, s14, s42
	v_add_co_u32 v15, vcc_lo, v6, v15
	s_addc_u32 s16, 0, s43
	s_add_u32 s15, s15, s0
	v_add_co_ci_u32_e32 v3, vcc_lo, v7, v3, vcc_lo
	s_addc_u32 s17, 0, s1
	s_mul_hi_u32 s1, s22, s15
	s_mul_i32 s0, s22, s17
	v_sub_co_u32 v15, vcc_lo, s2, v15
	s_add_i32 s0, s1, s0
	s_mul_i32 s1, s23, s15
	v_sub_co_ci_u32_e32 v3, vcc_lo, s3, v3, vcc_lo
	s_mul_i32 s2, s22, s15
	s_add_i32 s0, s0, s1
	v_ashrrev_i32_e32 v13, 31, v5
	s_add_u32 s1, s46, s2
	s_mul_i32 s2, s24, s16
	s_mul_hi_u32 s3, s24, s14
	v_add_co_u32 v14, vcc_lo, v15, v14
	s_addc_u32 s18, s47, s0
	s_add_i32 s0, s3, s2
	s_mul_i32 s2, s25, s14
	v_add_co_ci_u32_e32 v15, vcc_lo, v3, v2, vcc_lo
	s_mul_i32 s3, s24, s14
	s_add_i32 s2, s0, s2
	v_xor_b32_e32 v4, v4, v13
	s_add_u32 s0, s1, s3
	s_addc_u32 s1, s18, s2
	v_xor_b32_e32 v5, v5, v13
	v_mad_u64_u32 v[2:3], null, v14, s26, s[0:1]
	v_mul_lo_u32 v14, v14, s27
	v_mul_lo_u32 v15, v15, s26
	v_sub_co_u32 v4, vcc_lo, v4, v13
	v_sub_co_ci_u32_e32 v5, vcc_lo, v5, v13, vcc_lo
	v_add_co_u32 v13, vcc_lo, v21, v18
	v_add_co_ci_u32_e32 v16, vcc_lo, v22, v16, vcc_lo
	v_add3_u32 v3, v15, v3, v14
	v_add_co_u32 v14, vcc_lo, v8, v4
	v_add_co_ci_u32_e32 v15, vcc_lo, v9, v5, vcc_lo
	v_sub_co_u32 v12, vcc_lo, v12, v10
	s_delay_alu instid0(VALU_DEP_4)
	v_mad_u64_u32 v[4:5], null, v13, s28, v[2:3]
	v_mul_lo_u32 v2, v13, s29
	v_mul_lo_u32 v3, v16, s28
	v_sub_co_ci_u32_e32 v10, vcc_lo, v11, v10, vcc_lo
	v_sub_co_u32 v11, vcc_lo, s36, v14
	v_sub_co_ci_u32_e32 v13, vcc_lo, s37, v15, vcc_lo
	s_mul_i32 s0, s4, s17
	s_delay_alu instid0(VALU_DEP_2) | instskip(SKIP_1) | instid1(VALU_DEP_3)
	v_add_co_u32 v11, vcc_lo, v11, v12
	v_add3_u32 v5, v3, v5, v2
	v_add_co_ci_u32_e32 v10, vcc_lo, v13, v10, vcc_lo
	s_mul_hi_u32 s1, s4, s15
	s_mul_i32 s2, s4, s15
	s_delay_alu instid0(VALU_DEP_2)
	v_mad_u64_u32 v[2:3], null, v11, s30, v[4:5]
	v_mul_lo_u32 v4, v11, s31
	v_mul_lo_u32 v5, v10, s30
	s_add_i32 s0, s1, s0
	s_mul_i32 s1, s5, s15
	s_mul_hi_u32 s3, s6, s14
	s_add_i32 s0, s0, s1
	s_add_u32 s1, s44, s2
	s_mul_i32 s2, s6, s16
	s_addc_u32 s4, s45, s0
	v_add3_u32 v3, v5, v3, v4
	s_add_i32 s0, s3, s2
	s_mul_i32 s2, s7, s14
	s_mul_i32 s3, s6, s14
	s_add_i32 s2, s0, s2
	global_load_u8 v10, v[2:3], off
	s_add_u32 s0, s1, s3
	s_addc_u32 s1, s4, s2
	v_mul_lo_u32 v4, v6, s9
	v_mad_u64_u32 v[2:3], null, v6, s8, s[0:1]
	v_mul_lo_u32 v5, v7, s8
	v_mul_lo_u32 v1, v1, s10
	s_delay_alu instid0(VALU_DEP_2) | instskip(NEXT) | instid1(VALU_DEP_1)
	v_add3_u32 v3, v5, v3, v4
	v_mad_u64_u32 v[4:5], null, v0, s10, v[2:3]
	v_mul_lo_u32 v0, v0, s11
	v_mul_lo_u32 v2, v8, s13
	;; [unrolled: 1-line block ×3, first 2 shown]
	s_delay_alu instid0(VALU_DEP_3) | instskip(NEXT) | instid1(VALU_DEP_1)
	v_add3_u32 v5, v1, v5, v0
	v_mad_u64_u32 v[0:1], null, v8, s12, v[4:5]
	s_delay_alu instid0(VALU_DEP_1)
	v_add3_u32 v1, v3, v1, v2
	s_waitcnt vmcnt(0)
	global_store_b8 v[0:1], v10, off
.LBB57_14:
	s_nop 0
	s_sendmsg sendmsg(MSG_DEALLOC_VGPRS)
	s_endpgm
	.section	.rodata,"a",@progbits
	.p2align	6, 0x0
	.amdhsa_kernel _ZN2at6native12_GLOBAL__N_127reflection_pad3d_out_kernelIhEEvN5torch10headeronly6detail27GenericPackedTensorAccessorINS5_14TensorAccessorIN3c108ArrayRefIlEEKT_Lm4ENS4_16DefaultPtrTraitsElEENS_6detail16IndexBoundsCheckILm5ElEESC_Lm5ESD_lEENS6_INS7_ISA_SB_Lm4ESD_lEESH_SB_Lm5ESD_lEElllll
		.amdhsa_group_segment_fixed_size 0
		.amdhsa_private_segment_fixed_size 0
		.amdhsa_kernarg_size 472
		.amdhsa_user_sgpr_count 13
		.amdhsa_user_sgpr_dispatch_ptr 0
		.amdhsa_user_sgpr_queue_ptr 0
		.amdhsa_user_sgpr_kernarg_segment_ptr 1
		.amdhsa_user_sgpr_dispatch_id 0
		.amdhsa_user_sgpr_private_segment_size 0
		.amdhsa_wavefront_size32 1
		.amdhsa_uses_dynamic_stack 0
		.amdhsa_enable_private_segment 0
		.amdhsa_system_sgpr_workgroup_id_x 1
		.amdhsa_system_sgpr_workgroup_id_y 1
		.amdhsa_system_sgpr_workgroup_id_z 1
		.amdhsa_system_sgpr_workgroup_info 0
		.amdhsa_system_vgpr_workitem_id 0
		.amdhsa_next_free_vgpr 23
		.amdhsa_next_free_sgpr 58
		.amdhsa_reserve_vcc 1
		.amdhsa_float_round_mode_32 0
		.amdhsa_float_round_mode_16_64 0
		.amdhsa_float_denorm_mode_32 3
		.amdhsa_float_denorm_mode_16_64 3
		.amdhsa_dx10_clamp 1
		.amdhsa_ieee_mode 1
		.amdhsa_fp16_overflow 0
		.amdhsa_workgroup_processor_mode 1
		.amdhsa_memory_ordered 1
		.amdhsa_forward_progress 0
		.amdhsa_shared_vgpr_count 0
		.amdhsa_exception_fp_ieee_invalid_op 0
		.amdhsa_exception_fp_denorm_src 0
		.amdhsa_exception_fp_ieee_div_zero 0
		.amdhsa_exception_fp_ieee_overflow 0
		.amdhsa_exception_fp_ieee_underflow 0
		.amdhsa_exception_fp_ieee_inexact 0
		.amdhsa_exception_int_div_zero 0
	.end_amdhsa_kernel
	.section	.text._ZN2at6native12_GLOBAL__N_127reflection_pad3d_out_kernelIhEEvN5torch10headeronly6detail27GenericPackedTensorAccessorINS5_14TensorAccessorIN3c108ArrayRefIlEEKT_Lm4ENS4_16DefaultPtrTraitsElEENS_6detail16IndexBoundsCheckILm5ElEESC_Lm5ESD_lEENS6_INS7_ISA_SB_Lm4ESD_lEESH_SB_Lm5ESD_lEElllll,"axG",@progbits,_ZN2at6native12_GLOBAL__N_127reflection_pad3d_out_kernelIhEEvN5torch10headeronly6detail27GenericPackedTensorAccessorINS5_14TensorAccessorIN3c108ArrayRefIlEEKT_Lm4ENS4_16DefaultPtrTraitsElEENS_6detail16IndexBoundsCheckILm5ElEESC_Lm5ESD_lEENS6_INS7_ISA_SB_Lm4ESD_lEESH_SB_Lm5ESD_lEElllll,comdat
.Lfunc_end57:
	.size	_ZN2at6native12_GLOBAL__N_127reflection_pad3d_out_kernelIhEEvN5torch10headeronly6detail27GenericPackedTensorAccessorINS5_14TensorAccessorIN3c108ArrayRefIlEEKT_Lm4ENS4_16DefaultPtrTraitsElEENS_6detail16IndexBoundsCheckILm5ElEESC_Lm5ESD_lEENS6_INS7_ISA_SB_Lm4ESD_lEESH_SB_Lm5ESD_lEElllll, .Lfunc_end57-_ZN2at6native12_GLOBAL__N_127reflection_pad3d_out_kernelIhEEvN5torch10headeronly6detail27GenericPackedTensorAccessorINS5_14TensorAccessorIN3c108ArrayRefIlEEKT_Lm4ENS4_16DefaultPtrTraitsElEENS_6detail16IndexBoundsCheckILm5ElEESC_Lm5ESD_lEENS6_INS7_ISA_SB_Lm4ESD_lEESH_SB_Lm5ESD_lEElllll
                                        ; -- End function
	.section	.AMDGPU.csdata,"",@progbits
; Kernel info:
; codeLenInByte = 4272
; NumSgprs: 60
; NumVgprs: 23
; ScratchSize: 0
; MemoryBound: 0
; FloatMode: 240
; IeeeMode: 1
; LDSByteSize: 0 bytes/workgroup (compile time only)
; SGPRBlocks: 7
; VGPRBlocks: 2
; NumSGPRsForWavesPerEU: 60
; NumVGPRsForWavesPerEU: 23
; Occupancy: 16
; WaveLimiterHint : 0
; COMPUTE_PGM_RSRC2:SCRATCH_EN: 0
; COMPUTE_PGM_RSRC2:USER_SGPR: 13
; COMPUTE_PGM_RSRC2:TRAP_HANDLER: 0
; COMPUTE_PGM_RSRC2:TGID_X_EN: 1
; COMPUTE_PGM_RSRC2:TGID_Y_EN: 1
; COMPUTE_PGM_RSRC2:TGID_Z_EN: 1
; COMPUTE_PGM_RSRC2:TIDIG_COMP_CNT: 0
	.section	.text._ZN2at6native12_GLOBAL__N_127reflection_pad3d_out_kernelIaEEvN5torch10headeronly6detail27GenericPackedTensorAccessorINS5_14TensorAccessorIN3c108ArrayRefIlEEKT_Lm4ENS4_16DefaultPtrTraitsElEENS_6detail16IndexBoundsCheckILm5ElEESC_Lm5ESD_lEENS6_INS7_ISA_SB_Lm4ESD_lEESH_SB_Lm5ESD_lEElllll,"axG",@progbits,_ZN2at6native12_GLOBAL__N_127reflection_pad3d_out_kernelIaEEvN5torch10headeronly6detail27GenericPackedTensorAccessorINS5_14TensorAccessorIN3c108ArrayRefIlEEKT_Lm4ENS4_16DefaultPtrTraitsElEENS_6detail16IndexBoundsCheckILm5ElEESC_Lm5ESD_lEENS6_INS7_ISA_SB_Lm4ESD_lEESH_SB_Lm5ESD_lEElllll,comdat
	.globl	_ZN2at6native12_GLOBAL__N_127reflection_pad3d_out_kernelIaEEvN5torch10headeronly6detail27GenericPackedTensorAccessorINS5_14TensorAccessorIN3c108ArrayRefIlEEKT_Lm4ENS4_16DefaultPtrTraitsElEENS_6detail16IndexBoundsCheckILm5ElEESC_Lm5ESD_lEENS6_INS7_ISA_SB_Lm4ESD_lEESH_SB_Lm5ESD_lEElllll ; -- Begin function _ZN2at6native12_GLOBAL__N_127reflection_pad3d_out_kernelIaEEvN5torch10headeronly6detail27GenericPackedTensorAccessorINS5_14TensorAccessorIN3c108ArrayRefIlEEKT_Lm4ENS4_16DefaultPtrTraitsElEENS_6detail16IndexBoundsCheckILm5ElEESC_Lm5ESD_lEENS6_INS7_ISA_SB_Lm4ESD_lEESH_SB_Lm5ESD_lEElllll
	.p2align	8
	.type	_ZN2at6native12_GLOBAL__N_127reflection_pad3d_out_kernelIaEEvN5torch10headeronly6detail27GenericPackedTensorAccessorINS5_14TensorAccessorIN3c108ArrayRefIlEEKT_Lm4ENS4_16DefaultPtrTraitsElEENS_6detail16IndexBoundsCheckILm5ElEESC_Lm5ESD_lEENS6_INS7_ISA_SB_Lm4ESD_lEESH_SB_Lm5ESD_lEElllll,@function
_ZN2at6native12_GLOBAL__N_127reflection_pad3d_out_kernelIaEEvN5torch10headeronly6detail27GenericPackedTensorAccessorINS5_14TensorAccessorIN3c108ArrayRefIlEEKT_Lm4ENS4_16DefaultPtrTraitsElEENS_6detail16IndexBoundsCheckILm5ElEESC_Lm5ESD_lEENS6_INS7_ISA_SB_Lm4ESD_lEESH_SB_Lm5ESD_lEElllll: ; @_ZN2at6native12_GLOBAL__N_127reflection_pad3d_out_kernelIaEEvN5torch10headeronly6detail27GenericPackedTensorAccessorINS5_14TensorAccessorIN3c108ArrayRefIlEEKT_Lm4ENS4_16DefaultPtrTraitsElEENS_6detail16IndexBoundsCheckILm5ElEESC_Lm5ESD_lEENS6_INS7_ISA_SB_Lm4ESD_lEESH_SB_Lm5ESD_lEElllll
; %bb.0:
	s_clause 0x2
	s_load_b32 s2, s[0:1], 0xe4
	s_load_b128 s[16:19], s[0:1], 0x70
	s_load_b64 s[34:35], s[0:1], 0x80
	v_mov_b32_e32 v4, 0
	s_delay_alu instid0(VALU_DEP_1)
	v_mov_b32_e32 v1, v4
	s_waitcnt lgkmcnt(0)
	s_and_b32 s2, s2, 0xffff
	s_mul_i32 s4, s34, s19
	s_mul_hi_u32 s5, s34, s18
	s_mul_i32 s6, s35, s18
	s_mul_i32 s3, s34, s18
	v_mad_u64_u32 v[2:3], null, s2, s13, v[0:1]
	s_add_i32 s20, s5, s4
	s_mul_i32 s2, s3, s17
	s_mul_hi_u32 s4, s3, s16
	s_add_i32 s20, s20, s6
	s_add_i32 s2, s4, s2
	s_mul_i32 s4, s20, s16
	s_delay_alu instid0(SALU_CYCLE_1)
	s_add_i32 s5, s2, s4
	s_mul_i32 s4, s3, s16
	s_mov_b32 s2, exec_lo
	v_cmpx_gt_i64_e64 s[4:5], v[2:3]
	s_cbranch_execz .LBB58_14
; %bb.1:
	v_or_b32_e32 v5, s35, v3
	s_delay_alu instid0(VALU_DEP_1) | instskip(SKIP_1) | instid1(SALU_CYCLE_1)
	v_cmp_ne_u64_e32 vcc_lo, 0, v[4:5]
                                        ; implicit-def: $vgpr4_vgpr5
	s_and_saveexec_b32 s2, vcc_lo
	s_xor_b32 s8, exec_lo, s2
	s_cbranch_execz .LBB58_3
; %bb.2:
	s_ashr_i32 s4, s35, 31
	s_delay_alu instid0(SALU_CYCLE_1) | instskip(SKIP_2) | instid1(SALU_CYCLE_1)
	s_add_u32 s6, s34, s4
	s_mov_b32 s5, s4
	s_addc_u32 s7, s35, s4
	s_xor_b64 s[6:7], s[6:7], s[4:5]
	s_delay_alu instid0(SALU_CYCLE_1) | instskip(SKIP_3) | instid1(VALU_DEP_1)
	v_cvt_f32_u32_e32 v0, s6
	v_cvt_f32_u32_e32 v1, s7
	s_sub_u32 s2, 0, s6
	s_subb_u32 s5, 0, s7
	v_fmamk_f32 v0, v1, 0x4f800000, v0
	s_delay_alu instid0(VALU_DEP_1) | instskip(SKIP_2) | instid1(VALU_DEP_1)
	v_rcp_f32_e32 v0, v0
	s_waitcnt_depctr 0xfff
	v_mul_f32_e32 v0, 0x5f7ffffc, v0
	v_mul_f32_e32 v1, 0x2f800000, v0
	s_delay_alu instid0(VALU_DEP_1) | instskip(NEXT) | instid1(VALU_DEP_1)
	v_trunc_f32_e32 v1, v1
	v_fmamk_f32 v0, v1, 0xcf800000, v0
	v_cvt_u32_f32_e32 v1, v1
	s_delay_alu instid0(VALU_DEP_2) | instskip(NEXT) | instid1(VALU_DEP_2)
	v_cvt_u32_f32_e32 v0, v0
	v_mul_lo_u32 v4, s2, v1
	s_delay_alu instid0(VALU_DEP_2) | instskip(SKIP_1) | instid1(VALU_DEP_2)
	v_mul_hi_u32 v5, s2, v0
	v_mul_lo_u32 v6, s5, v0
	v_add_nc_u32_e32 v4, v5, v4
	v_mul_lo_u32 v5, s2, v0
	s_delay_alu instid0(VALU_DEP_2) | instskip(NEXT) | instid1(VALU_DEP_2)
	v_add_nc_u32_e32 v4, v4, v6
	v_mul_hi_u32 v6, v0, v5
	s_delay_alu instid0(VALU_DEP_2)
	v_mul_lo_u32 v7, v0, v4
	v_mul_hi_u32 v8, v0, v4
	v_mul_hi_u32 v9, v1, v5
	v_mul_lo_u32 v5, v1, v5
	v_mul_hi_u32 v10, v1, v4
	v_mul_lo_u32 v4, v1, v4
	v_add_co_u32 v6, vcc_lo, v6, v7
	v_add_co_ci_u32_e32 v7, vcc_lo, 0, v8, vcc_lo
	s_delay_alu instid0(VALU_DEP_2) | instskip(NEXT) | instid1(VALU_DEP_2)
	v_add_co_u32 v5, vcc_lo, v6, v5
	v_add_co_ci_u32_e32 v5, vcc_lo, v7, v9, vcc_lo
	v_add_co_ci_u32_e32 v6, vcc_lo, 0, v10, vcc_lo
	v_ashrrev_i32_e32 v9, 31, v3
	s_delay_alu instid0(VALU_DEP_3) | instskip(NEXT) | instid1(VALU_DEP_3)
	v_add_co_u32 v4, vcc_lo, v5, v4
	v_add_co_ci_u32_e32 v5, vcc_lo, 0, v6, vcc_lo
	s_delay_alu instid0(VALU_DEP_2) | instskip(NEXT) | instid1(VALU_DEP_2)
	v_add_co_u32 v0, vcc_lo, v0, v4
	v_add_co_ci_u32_e32 v1, vcc_lo, v1, v5, vcc_lo
	s_delay_alu instid0(VALU_DEP_2) | instskip(SKIP_1) | instid1(VALU_DEP_3)
	v_mul_hi_u32 v4, s2, v0
	v_mul_lo_u32 v6, s5, v0
	v_mul_lo_u32 v5, s2, v1
	s_delay_alu instid0(VALU_DEP_1) | instskip(SKIP_1) | instid1(VALU_DEP_2)
	v_add_nc_u32_e32 v4, v4, v5
	v_mul_lo_u32 v5, s2, v0
	v_add_nc_u32_e32 v4, v4, v6
	s_delay_alu instid0(VALU_DEP_2) | instskip(NEXT) | instid1(VALU_DEP_2)
	v_mul_hi_u32 v6, v0, v5
	v_mul_lo_u32 v7, v0, v4
	v_mul_hi_u32 v8, v0, v4
	v_mul_hi_u32 v10, v1, v5
	v_mul_lo_u32 v5, v1, v5
	v_mul_hi_u32 v11, v1, v4
	v_mul_lo_u32 v4, v1, v4
	v_add_co_u32 v6, vcc_lo, v6, v7
	v_add_co_ci_u32_e32 v7, vcc_lo, 0, v8, vcc_lo
	s_delay_alu instid0(VALU_DEP_2) | instskip(NEXT) | instid1(VALU_DEP_2)
	v_add_co_u32 v5, vcc_lo, v6, v5
	v_add_co_ci_u32_e32 v5, vcc_lo, v7, v10, vcc_lo
	v_add_co_ci_u32_e32 v6, vcc_lo, 0, v11, vcc_lo
	v_add_co_u32 v7, vcc_lo, v2, v9
	v_add_co_ci_u32_e32 v8, vcc_lo, v3, v9, vcc_lo
	s_delay_alu instid0(VALU_DEP_4) | instskip(NEXT) | instid1(VALU_DEP_4)
	v_add_co_u32 v4, vcc_lo, v5, v4
	v_add_co_ci_u32_e32 v5, vcc_lo, 0, v6, vcc_lo
	s_delay_alu instid0(VALU_DEP_4) | instskip(NEXT) | instid1(VALU_DEP_3)
	v_xor_b32_e32 v10, v7, v9
	v_add_co_u32 v6, vcc_lo, v0, v4
	s_delay_alu instid0(VALU_DEP_3) | instskip(SKIP_1) | instid1(VALU_DEP_3)
	v_add_co_ci_u32_e32 v11, vcc_lo, v1, v5, vcc_lo
	v_xor_b32_e32 v8, v8, v9
	v_mul_hi_u32 v12, v10, v6
	s_delay_alu instid0(VALU_DEP_3) | instskip(NEXT) | instid1(VALU_DEP_3)
	v_mad_u64_u32 v[0:1], null, v10, v11, 0
	v_mad_u64_u32 v[4:5], null, v8, v6, 0
	;; [unrolled: 1-line block ×3, first 2 shown]
	s_delay_alu instid0(VALU_DEP_3) | instskip(NEXT) | instid1(VALU_DEP_4)
	v_add_co_u32 v0, vcc_lo, v12, v0
	v_add_co_ci_u32_e32 v1, vcc_lo, 0, v1, vcc_lo
	s_delay_alu instid0(VALU_DEP_2) | instskip(NEXT) | instid1(VALU_DEP_2)
	v_add_co_u32 v0, vcc_lo, v0, v4
	v_add_co_ci_u32_e32 v0, vcc_lo, v1, v5, vcc_lo
	v_add_co_ci_u32_e32 v1, vcc_lo, 0, v7, vcc_lo
	s_delay_alu instid0(VALU_DEP_2) | instskip(NEXT) | instid1(VALU_DEP_2)
	v_add_co_u32 v4, vcc_lo, v0, v6
	v_add_co_ci_u32_e32 v5, vcc_lo, 0, v1, vcc_lo
	s_delay_alu instid0(VALU_DEP_2) | instskip(SKIP_1) | instid1(VALU_DEP_3)
	v_mul_lo_u32 v6, s7, v4
	v_mad_u64_u32 v[0:1], null, s6, v4, 0
	v_mul_lo_u32 v7, s6, v5
	s_delay_alu instid0(VALU_DEP_2) | instskip(NEXT) | instid1(VALU_DEP_2)
	v_sub_co_u32 v0, vcc_lo, v10, v0
	v_add3_u32 v1, v1, v7, v6
	s_delay_alu instid0(VALU_DEP_1) | instskip(NEXT) | instid1(VALU_DEP_1)
	v_sub_nc_u32_e32 v6, v8, v1
	v_subrev_co_ci_u32_e64 v6, s2, s7, v6, vcc_lo
	v_add_co_u32 v7, s2, v4, 2
	s_delay_alu instid0(VALU_DEP_1) | instskip(SKIP_3) | instid1(VALU_DEP_3)
	v_add_co_ci_u32_e64 v10, s2, 0, v5, s2
	v_sub_co_u32 v11, s2, v0, s6
	v_sub_co_ci_u32_e32 v1, vcc_lo, v8, v1, vcc_lo
	v_subrev_co_ci_u32_e64 v6, s2, 0, v6, s2
	v_cmp_le_u32_e32 vcc_lo, s6, v11
	s_delay_alu instid0(VALU_DEP_3) | instskip(SKIP_1) | instid1(VALU_DEP_4)
	v_cmp_eq_u32_e64 s2, s7, v1
	v_cndmask_b32_e64 v8, 0, -1, vcc_lo
	v_cmp_le_u32_e32 vcc_lo, s7, v6
	v_cndmask_b32_e64 v11, 0, -1, vcc_lo
	v_cmp_le_u32_e32 vcc_lo, s6, v0
	;; [unrolled: 2-line block ×3, first 2 shown]
	v_cndmask_b32_e64 v12, 0, -1, vcc_lo
	v_cmp_eq_u32_e32 vcc_lo, s7, v6
	s_delay_alu instid0(VALU_DEP_2) | instskip(SKIP_3) | instid1(VALU_DEP_3)
	v_cndmask_b32_e64 v0, v12, v0, s2
	v_cndmask_b32_e32 v6, v11, v8, vcc_lo
	v_add_co_u32 v8, vcc_lo, v4, 1
	v_add_co_ci_u32_e32 v11, vcc_lo, 0, v5, vcc_lo
	v_cmp_ne_u32_e32 vcc_lo, 0, v6
	s_delay_alu instid0(VALU_DEP_2) | instskip(SKIP_2) | instid1(VALU_DEP_3)
	v_dual_cndmask_b32 v1, v11, v10 :: v_dual_cndmask_b32 v6, v8, v7
	v_cmp_ne_u32_e32 vcc_lo, 0, v0
	v_xor_b32_e32 v0, s4, v9
	v_dual_cndmask_b32 v4, v4, v6 :: v_dual_cndmask_b32 v1, v5, v1
	s_delay_alu instid0(VALU_DEP_1) | instskip(NEXT) | instid1(VALU_DEP_2)
	v_xor_b32_e32 v4, v4, v0
	v_xor_b32_e32 v1, v1, v0
	s_delay_alu instid0(VALU_DEP_2) | instskip(NEXT) | instid1(VALU_DEP_2)
	v_sub_co_u32 v4, vcc_lo, v4, v0
	v_sub_co_ci_u32_e32 v5, vcc_lo, v1, v0, vcc_lo
.LBB58_3:
	s_and_not1_saveexec_b32 s2, s8
	s_cbranch_execz .LBB58_5
; %bb.4:
	v_cvt_f32_u32_e32 v0, s34
	s_sub_i32 s4, 0, s34
	s_delay_alu instid0(VALU_DEP_1) | instskip(SKIP_2) | instid1(VALU_DEP_1)
	v_rcp_iflag_f32_e32 v0, v0
	s_waitcnt_depctr 0xfff
	v_mul_f32_e32 v0, 0x4f7ffffe, v0
	v_cvt_u32_f32_e32 v0, v0
	s_delay_alu instid0(VALU_DEP_1) | instskip(NEXT) | instid1(VALU_DEP_1)
	v_mul_lo_u32 v1, s4, v0
	v_mul_hi_u32 v1, v0, v1
	s_delay_alu instid0(VALU_DEP_1) | instskip(NEXT) | instid1(VALU_DEP_1)
	v_add_nc_u32_e32 v0, v0, v1
	v_mul_hi_u32 v0, v2, v0
	s_delay_alu instid0(VALU_DEP_1) | instskip(SKIP_1) | instid1(VALU_DEP_2)
	v_mul_lo_u32 v1, v0, s34
	v_add_nc_u32_e32 v4, 1, v0
	v_sub_nc_u32_e32 v1, v2, v1
	s_delay_alu instid0(VALU_DEP_1) | instskip(SKIP_1) | instid1(VALU_DEP_2)
	v_subrev_nc_u32_e32 v5, s34, v1
	v_cmp_le_u32_e32 vcc_lo, s34, v1
	v_cndmask_b32_e32 v1, v1, v5, vcc_lo
	v_dual_mov_b32 v5, 0 :: v_dual_cndmask_b32 v0, v0, v4
	s_delay_alu instid0(VALU_DEP_2) | instskip(NEXT) | instid1(VALU_DEP_2)
	v_cmp_le_u32_e32 vcc_lo, s34, v1
	v_add_nc_u32_e32 v4, 1, v0
	s_delay_alu instid0(VALU_DEP_1)
	v_cndmask_b32_e32 v4, v0, v4, vcc_lo
.LBB58_5:
	s_or_b32 exec_lo, exec_lo, s2
	s_delay_alu instid0(VALU_DEP_1) | instskip(SKIP_1) | instid1(VALU_DEP_1)
	v_or_b32_e32 v1, s19, v5
	v_mov_b32_e32 v0, 0
	v_cmp_ne_u64_e32 vcc_lo, 0, v[0:1]
                                        ; implicit-def: $vgpr0_vgpr1
	s_and_saveexec_b32 s2, vcc_lo
	s_delay_alu instid0(SALU_CYCLE_1)
	s_xor_b32 s6, exec_lo, s2
	s_cbranch_execz .LBB58_7
; %bb.6:
	s_ashr_i32 s4, s19, 31
	s_delay_alu instid0(SALU_CYCLE_1) | instskip(SKIP_2) | instid1(SALU_CYCLE_1)
	s_add_u32 s8, s18, s4
	s_mov_b32 s5, s4
	s_addc_u32 s9, s19, s4
	s_xor_b64 s[4:5], s[8:9], s[4:5]
	s_delay_alu instid0(SALU_CYCLE_1) | instskip(SKIP_3) | instid1(VALU_DEP_1)
	v_cvt_f32_u32_e32 v0, s4
	v_cvt_f32_u32_e32 v1, s5
	s_sub_u32 s2, 0, s4
	s_subb_u32 s7, 0, s5
	v_fmamk_f32 v0, v1, 0x4f800000, v0
	s_delay_alu instid0(VALU_DEP_1) | instskip(SKIP_2) | instid1(VALU_DEP_1)
	v_rcp_f32_e32 v0, v0
	s_waitcnt_depctr 0xfff
	v_mul_f32_e32 v0, 0x5f7ffffc, v0
	v_mul_f32_e32 v1, 0x2f800000, v0
	s_delay_alu instid0(VALU_DEP_1) | instskip(NEXT) | instid1(VALU_DEP_1)
	v_trunc_f32_e32 v1, v1
	v_fmamk_f32 v0, v1, 0xcf800000, v0
	v_cvt_u32_f32_e32 v1, v1
	s_delay_alu instid0(VALU_DEP_2) | instskip(NEXT) | instid1(VALU_DEP_2)
	v_cvt_u32_f32_e32 v0, v0
	v_mul_lo_u32 v6, s2, v1
	s_delay_alu instid0(VALU_DEP_2) | instskip(SKIP_1) | instid1(VALU_DEP_2)
	v_mul_hi_u32 v7, s2, v0
	v_mul_lo_u32 v8, s7, v0
	v_add_nc_u32_e32 v6, v7, v6
	v_mul_lo_u32 v7, s2, v0
	s_delay_alu instid0(VALU_DEP_2) | instskip(NEXT) | instid1(VALU_DEP_2)
	v_add_nc_u32_e32 v6, v6, v8
	v_mul_hi_u32 v8, v0, v7
	s_delay_alu instid0(VALU_DEP_2)
	v_mul_lo_u32 v9, v0, v6
	v_mul_hi_u32 v10, v0, v6
	v_mul_hi_u32 v11, v1, v7
	v_mul_lo_u32 v7, v1, v7
	v_mul_hi_u32 v12, v1, v6
	v_mul_lo_u32 v6, v1, v6
	v_add_co_u32 v8, vcc_lo, v8, v9
	v_add_co_ci_u32_e32 v9, vcc_lo, 0, v10, vcc_lo
	s_delay_alu instid0(VALU_DEP_2) | instskip(NEXT) | instid1(VALU_DEP_2)
	v_add_co_u32 v7, vcc_lo, v8, v7
	v_add_co_ci_u32_e32 v7, vcc_lo, v9, v11, vcc_lo
	v_add_co_ci_u32_e32 v8, vcc_lo, 0, v12, vcc_lo
	v_ashrrev_i32_e32 v11, 31, v5
	s_delay_alu instid0(VALU_DEP_3) | instskip(NEXT) | instid1(VALU_DEP_3)
	v_add_co_u32 v6, vcc_lo, v7, v6
	v_add_co_ci_u32_e32 v7, vcc_lo, 0, v8, vcc_lo
	s_delay_alu instid0(VALU_DEP_2) | instskip(NEXT) | instid1(VALU_DEP_2)
	v_add_co_u32 v0, vcc_lo, v0, v6
	v_add_co_ci_u32_e32 v1, vcc_lo, v1, v7, vcc_lo
	s_delay_alu instid0(VALU_DEP_2) | instskip(SKIP_1) | instid1(VALU_DEP_3)
	v_mul_hi_u32 v6, s2, v0
	v_mul_lo_u32 v8, s7, v0
	v_mul_lo_u32 v7, s2, v1
	s_delay_alu instid0(VALU_DEP_1) | instskip(SKIP_1) | instid1(VALU_DEP_2)
	v_add_nc_u32_e32 v6, v6, v7
	v_mul_lo_u32 v7, s2, v0
	v_add_nc_u32_e32 v6, v6, v8
	s_delay_alu instid0(VALU_DEP_2) | instskip(NEXT) | instid1(VALU_DEP_2)
	v_mul_hi_u32 v8, v0, v7
	v_mul_lo_u32 v9, v0, v6
	v_mul_hi_u32 v10, v0, v6
	v_mul_hi_u32 v12, v1, v7
	v_mul_lo_u32 v7, v1, v7
	v_mul_hi_u32 v13, v1, v6
	v_mul_lo_u32 v6, v1, v6
	v_add_co_u32 v8, vcc_lo, v8, v9
	v_add_co_ci_u32_e32 v9, vcc_lo, 0, v10, vcc_lo
	s_delay_alu instid0(VALU_DEP_2) | instskip(NEXT) | instid1(VALU_DEP_2)
	v_add_co_u32 v7, vcc_lo, v8, v7
	v_add_co_ci_u32_e32 v7, vcc_lo, v9, v12, vcc_lo
	v_add_co_ci_u32_e32 v8, vcc_lo, 0, v13, vcc_lo
	v_add_co_u32 v9, vcc_lo, v4, v11
	v_add_co_ci_u32_e32 v10, vcc_lo, v5, v11, vcc_lo
	s_delay_alu instid0(VALU_DEP_4) | instskip(NEXT) | instid1(VALU_DEP_4)
	v_add_co_u32 v6, vcc_lo, v7, v6
	v_add_co_ci_u32_e32 v7, vcc_lo, 0, v8, vcc_lo
	s_delay_alu instid0(VALU_DEP_4) | instskip(NEXT) | instid1(VALU_DEP_3)
	v_xor_b32_e32 v12, v9, v11
	v_add_co_u32 v8, vcc_lo, v0, v6
	s_delay_alu instid0(VALU_DEP_3) | instskip(SKIP_1) | instid1(VALU_DEP_3)
	v_add_co_ci_u32_e32 v13, vcc_lo, v1, v7, vcc_lo
	v_xor_b32_e32 v10, v10, v11
	v_mul_hi_u32 v14, v12, v8
	s_delay_alu instid0(VALU_DEP_3) | instskip(NEXT) | instid1(VALU_DEP_3)
	v_mad_u64_u32 v[0:1], null, v12, v13, 0
	v_mad_u64_u32 v[6:7], null, v10, v8, 0
	;; [unrolled: 1-line block ×3, first 2 shown]
	s_delay_alu instid0(VALU_DEP_3) | instskip(NEXT) | instid1(VALU_DEP_4)
	v_add_co_u32 v0, vcc_lo, v14, v0
	v_add_co_ci_u32_e32 v1, vcc_lo, 0, v1, vcc_lo
	s_delay_alu instid0(VALU_DEP_2) | instskip(NEXT) | instid1(VALU_DEP_2)
	v_add_co_u32 v0, vcc_lo, v0, v6
	v_add_co_ci_u32_e32 v0, vcc_lo, v1, v7, vcc_lo
	v_add_co_ci_u32_e32 v1, vcc_lo, 0, v9, vcc_lo
	s_delay_alu instid0(VALU_DEP_2) | instskip(NEXT) | instid1(VALU_DEP_2)
	v_add_co_u32 v6, vcc_lo, v0, v8
	v_add_co_ci_u32_e32 v7, vcc_lo, 0, v1, vcc_lo
	s_delay_alu instid0(VALU_DEP_2) | instskip(SKIP_1) | instid1(VALU_DEP_3)
	v_mul_lo_u32 v8, s5, v6
	v_mad_u64_u32 v[0:1], null, s4, v6, 0
	v_mul_lo_u32 v6, s4, v7
	s_delay_alu instid0(VALU_DEP_2) | instskip(NEXT) | instid1(VALU_DEP_2)
	v_sub_co_u32 v0, vcc_lo, v12, v0
	v_add3_u32 v1, v1, v6, v8
	s_delay_alu instid0(VALU_DEP_1) | instskip(NEXT) | instid1(VALU_DEP_1)
	v_sub_nc_u32_e32 v6, v10, v1
	v_subrev_co_ci_u32_e64 v6, s2, s5, v6, vcc_lo
	v_sub_co_ci_u32_e32 v1, vcc_lo, v10, v1, vcc_lo
	v_sub_co_u32 v7, vcc_lo, v0, s4
	s_delay_alu instid0(VALU_DEP_1) | instskip(SKIP_3) | instid1(VALU_DEP_3)
	v_subrev_co_ci_u32_e64 v8, s2, 0, v6, vcc_lo
	v_cmp_le_u32_e64 s2, s4, v0
	v_subrev_co_ci_u32_e32 v6, vcc_lo, s5, v6, vcc_lo
	v_cmp_le_u32_e32 vcc_lo, s5, v1
	v_cndmask_b32_e64 v9, 0, -1, s2
	v_cmp_le_u32_e64 s2, s4, v7
	v_cndmask_b32_e64 v13, 0, -1, vcc_lo
	v_cmp_eq_u32_e32 vcc_lo, s5, v8
	s_delay_alu instid0(VALU_DEP_3) | instskip(SKIP_1) | instid1(VALU_DEP_1)
	v_cndmask_b32_e64 v10, 0, -1, s2
	v_cmp_le_u32_e64 s2, s5, v8
	v_cndmask_b32_e64 v12, 0, -1, s2
	v_cmp_eq_u32_e64 s2, s5, v1
	s_delay_alu instid0(VALU_DEP_2) | instskip(SKIP_2) | instid1(VALU_DEP_3)
	v_cndmask_b32_e32 v10, v12, v10, vcc_lo
	v_sub_co_u32 v12, vcc_lo, v7, s4
	v_subrev_co_ci_u32_e32 v6, vcc_lo, 0, v6, vcc_lo
	v_cmp_ne_u32_e32 vcc_lo, 0, v10
	v_cndmask_b32_e64 v9, v13, v9, s2
	s_delay_alu instid0(VALU_DEP_3) | instskip(NEXT) | instid1(VALU_DEP_2)
	v_dual_cndmask_b32 v6, v8, v6 :: v_dual_cndmask_b32 v7, v7, v12
	v_cmp_ne_u32_e32 vcc_lo, 0, v9
	s_delay_alu instid0(VALU_DEP_2) | instskip(NEXT) | instid1(VALU_DEP_1)
	v_dual_cndmask_b32 v0, v0, v7 :: v_dual_cndmask_b32 v1, v1, v6
	v_xor_b32_e32 v0, v0, v11
	s_delay_alu instid0(VALU_DEP_2) | instskip(NEXT) | instid1(VALU_DEP_2)
	v_xor_b32_e32 v1, v1, v11
	v_sub_co_u32 v0, vcc_lo, v0, v11
	s_delay_alu instid0(VALU_DEP_2)
	v_sub_co_ci_u32_e32 v1, vcc_lo, v1, v11, vcc_lo
.LBB58_7:
	s_or_saveexec_b32 s2, s6
	s_clause 0x1
	s_load_b64 s[12:13], s[0:1], 0xa8
	s_load_b256 s[4:11], s[0:1], 0x88
	s_xor_b32 exec_lo, exec_lo, s2
	s_cbranch_execz .LBB58_9
; %bb.8:
	v_cvt_f32_u32_e32 v0, s18
	s_sub_i32 s16, 0, s18
	s_delay_alu instid0(VALU_DEP_1) | instskip(SKIP_2) | instid1(VALU_DEP_1)
	v_rcp_iflag_f32_e32 v0, v0
	s_waitcnt_depctr 0xfff
	v_mul_f32_e32 v0, 0x4f7ffffe, v0
	v_cvt_u32_f32_e32 v0, v0
	s_delay_alu instid0(VALU_DEP_1) | instskip(NEXT) | instid1(VALU_DEP_1)
	v_mul_lo_u32 v1, s16, v0
	v_mul_hi_u32 v1, v0, v1
	s_delay_alu instid0(VALU_DEP_1) | instskip(NEXT) | instid1(VALU_DEP_1)
	v_add_nc_u32_e32 v0, v0, v1
	v_mul_hi_u32 v0, v4, v0
	s_delay_alu instid0(VALU_DEP_1) | instskip(NEXT) | instid1(VALU_DEP_1)
	v_mul_lo_u32 v0, v0, s18
	v_sub_nc_u32_e32 v0, v4, v0
	s_delay_alu instid0(VALU_DEP_1) | instskip(SKIP_1) | instid1(VALU_DEP_2)
	v_subrev_nc_u32_e32 v1, s18, v0
	v_cmp_le_u32_e32 vcc_lo, s18, v0
	v_cndmask_b32_e32 v0, v0, v1, vcc_lo
	s_delay_alu instid0(VALU_DEP_1) | instskip(SKIP_1) | instid1(VALU_DEP_2)
	v_subrev_nc_u32_e32 v1, s18, v0
	v_cmp_le_u32_e32 vcc_lo, s18, v0
	v_dual_cndmask_b32 v0, v0, v1 :: v_dual_mov_b32 v1, 0
.LBB58_9:
	s_or_b32 exec_lo, exec_lo, s2
	s_clause 0x1
	s_load_b64 s[44:45], s[0:1], 0x58
	s_load_b64 s[46:47], s[0:1], 0x0
	v_or_b32_e32 v7, s20, v3
	v_mov_b32_e32 v6, 0
	s_delay_alu instid0(VALU_DEP_1) | instskip(SKIP_1) | instid1(SALU_CYCLE_1)
	v_cmp_ne_u64_e32 vcc_lo, 0, v[6:7]
                                        ; implicit-def: $vgpr6_vgpr7
	s_and_saveexec_b32 s2, vcc_lo
	s_xor_b32 s21, exec_lo, s2
	s_cbranch_execz .LBB58_11
; %bb.10:
	s_ashr_i32 s16, s20, 31
	s_delay_alu instid0(SALU_CYCLE_1) | instskip(SKIP_2) | instid1(SALU_CYCLE_1)
	s_add_u32 s18, s3, s16
	s_mov_b32 s17, s16
	s_addc_u32 s19, s20, s16
	s_xor_b64 s[18:19], s[18:19], s[16:17]
	s_delay_alu instid0(SALU_CYCLE_1) | instskip(SKIP_3) | instid1(VALU_DEP_1)
	v_cvt_f32_u32_e32 v6, s18
	v_cvt_f32_u32_e32 v7, s19
	s_sub_u32 s2, 0, s18
	s_subb_u32 s17, 0, s19
	v_fmamk_f32 v6, v7, 0x4f800000, v6
	s_delay_alu instid0(VALU_DEP_1) | instskip(SKIP_2) | instid1(VALU_DEP_1)
	v_rcp_f32_e32 v6, v6
	s_waitcnt_depctr 0xfff
	v_mul_f32_e32 v6, 0x5f7ffffc, v6
	v_mul_f32_e32 v7, 0x2f800000, v6
	s_delay_alu instid0(VALU_DEP_1) | instskip(NEXT) | instid1(VALU_DEP_1)
	v_trunc_f32_e32 v7, v7
	v_fmamk_f32 v6, v7, 0xcf800000, v6
	v_cvt_u32_f32_e32 v7, v7
	s_delay_alu instid0(VALU_DEP_2) | instskip(NEXT) | instid1(VALU_DEP_2)
	v_cvt_u32_f32_e32 v6, v6
	v_mul_lo_u32 v8, s2, v7
	s_delay_alu instid0(VALU_DEP_2) | instskip(SKIP_1) | instid1(VALU_DEP_2)
	v_mul_hi_u32 v9, s2, v6
	v_mul_lo_u32 v10, s17, v6
	v_add_nc_u32_e32 v8, v9, v8
	v_mul_lo_u32 v9, s2, v6
	s_delay_alu instid0(VALU_DEP_2) | instskip(NEXT) | instid1(VALU_DEP_2)
	v_add_nc_u32_e32 v8, v8, v10
	v_mul_hi_u32 v10, v6, v9
	s_delay_alu instid0(VALU_DEP_2)
	v_mul_lo_u32 v11, v6, v8
	v_mul_hi_u32 v12, v6, v8
	v_mul_hi_u32 v13, v7, v9
	v_mul_lo_u32 v9, v7, v9
	v_mul_hi_u32 v14, v7, v8
	v_mul_lo_u32 v8, v7, v8
	v_add_co_u32 v10, vcc_lo, v10, v11
	v_add_co_ci_u32_e32 v11, vcc_lo, 0, v12, vcc_lo
	s_delay_alu instid0(VALU_DEP_2) | instskip(NEXT) | instid1(VALU_DEP_2)
	v_add_co_u32 v9, vcc_lo, v10, v9
	v_add_co_ci_u32_e32 v9, vcc_lo, v11, v13, vcc_lo
	v_add_co_ci_u32_e32 v10, vcc_lo, 0, v14, vcc_lo
	v_ashrrev_i32_e32 v13, 31, v3
	s_delay_alu instid0(VALU_DEP_3) | instskip(NEXT) | instid1(VALU_DEP_3)
	v_add_co_u32 v8, vcc_lo, v9, v8
	v_add_co_ci_u32_e32 v9, vcc_lo, 0, v10, vcc_lo
	s_delay_alu instid0(VALU_DEP_2) | instskip(NEXT) | instid1(VALU_DEP_2)
	v_add_co_u32 v6, vcc_lo, v6, v8
	v_add_co_ci_u32_e32 v7, vcc_lo, v7, v9, vcc_lo
	s_delay_alu instid0(VALU_DEP_2) | instskip(SKIP_1) | instid1(VALU_DEP_3)
	v_mul_hi_u32 v8, s2, v6
	v_mul_lo_u32 v10, s17, v6
	v_mul_lo_u32 v9, s2, v7
	s_delay_alu instid0(VALU_DEP_1) | instskip(SKIP_1) | instid1(VALU_DEP_2)
	v_add_nc_u32_e32 v8, v8, v9
	v_mul_lo_u32 v9, s2, v6
	v_add_nc_u32_e32 v8, v8, v10
	s_delay_alu instid0(VALU_DEP_2) | instskip(NEXT) | instid1(VALU_DEP_2)
	v_mul_hi_u32 v10, v6, v9
	v_mul_lo_u32 v11, v6, v8
	v_mul_hi_u32 v12, v6, v8
	v_mul_hi_u32 v14, v7, v9
	v_mul_lo_u32 v9, v7, v9
	v_mul_hi_u32 v15, v7, v8
	v_mul_lo_u32 v8, v7, v8
	v_add_co_u32 v10, vcc_lo, v10, v11
	v_add_co_ci_u32_e32 v11, vcc_lo, 0, v12, vcc_lo
	s_delay_alu instid0(VALU_DEP_2) | instskip(NEXT) | instid1(VALU_DEP_2)
	v_add_co_u32 v9, vcc_lo, v10, v9
	v_add_co_ci_u32_e32 v9, vcc_lo, v11, v14, vcc_lo
	v_add_co_ci_u32_e32 v10, vcc_lo, 0, v15, vcc_lo
	v_add_co_u32 v11, vcc_lo, v2, v13
	v_add_co_ci_u32_e32 v12, vcc_lo, v3, v13, vcc_lo
	s_delay_alu instid0(VALU_DEP_4) | instskip(NEXT) | instid1(VALU_DEP_4)
	v_add_co_u32 v8, vcc_lo, v9, v8
	v_add_co_ci_u32_e32 v9, vcc_lo, 0, v10, vcc_lo
	s_delay_alu instid0(VALU_DEP_4) | instskip(NEXT) | instid1(VALU_DEP_3)
	v_xor_b32_e32 v14, v11, v13
	v_add_co_u32 v10, vcc_lo, v6, v8
	s_delay_alu instid0(VALU_DEP_3) | instskip(SKIP_1) | instid1(VALU_DEP_3)
	v_add_co_ci_u32_e32 v15, vcc_lo, v7, v9, vcc_lo
	v_xor_b32_e32 v12, v12, v13
	v_mul_hi_u32 v16, v14, v10
	s_delay_alu instid0(VALU_DEP_3) | instskip(NEXT) | instid1(VALU_DEP_3)
	v_mad_u64_u32 v[6:7], null, v14, v15, 0
	v_mad_u64_u32 v[8:9], null, v12, v10, 0
	;; [unrolled: 1-line block ×3, first 2 shown]
	s_delay_alu instid0(VALU_DEP_3) | instskip(NEXT) | instid1(VALU_DEP_4)
	v_add_co_u32 v6, vcc_lo, v16, v6
	v_add_co_ci_u32_e32 v7, vcc_lo, 0, v7, vcc_lo
	s_delay_alu instid0(VALU_DEP_2) | instskip(NEXT) | instid1(VALU_DEP_2)
	v_add_co_u32 v6, vcc_lo, v6, v8
	v_add_co_ci_u32_e32 v6, vcc_lo, v7, v9, vcc_lo
	v_add_co_ci_u32_e32 v7, vcc_lo, 0, v11, vcc_lo
	s_delay_alu instid0(VALU_DEP_2) | instskip(NEXT) | instid1(VALU_DEP_2)
	v_add_co_u32 v8, vcc_lo, v6, v10
	v_add_co_ci_u32_e32 v9, vcc_lo, 0, v7, vcc_lo
	s_delay_alu instid0(VALU_DEP_2) | instskip(SKIP_1) | instid1(VALU_DEP_3)
	v_mul_lo_u32 v10, s19, v8
	v_mad_u64_u32 v[6:7], null, s18, v8, 0
	v_mul_lo_u32 v11, s18, v9
	s_delay_alu instid0(VALU_DEP_2) | instskip(NEXT) | instid1(VALU_DEP_2)
	v_sub_co_u32 v6, vcc_lo, v14, v6
	v_add3_u32 v7, v7, v11, v10
	s_delay_alu instid0(VALU_DEP_1) | instskip(NEXT) | instid1(VALU_DEP_1)
	v_sub_nc_u32_e32 v10, v12, v7
	v_subrev_co_ci_u32_e64 v10, s2, s19, v10, vcc_lo
	v_add_co_u32 v11, s2, v8, 2
	s_delay_alu instid0(VALU_DEP_1) | instskip(SKIP_3) | instid1(VALU_DEP_3)
	v_add_co_ci_u32_e64 v14, s2, 0, v9, s2
	v_sub_co_u32 v15, s2, v6, s18
	v_sub_co_ci_u32_e32 v7, vcc_lo, v12, v7, vcc_lo
	v_subrev_co_ci_u32_e64 v10, s2, 0, v10, s2
	v_cmp_le_u32_e32 vcc_lo, s18, v15
	s_delay_alu instid0(VALU_DEP_3) | instskip(SKIP_1) | instid1(VALU_DEP_4)
	v_cmp_eq_u32_e64 s2, s19, v7
	v_cndmask_b32_e64 v12, 0, -1, vcc_lo
	v_cmp_le_u32_e32 vcc_lo, s19, v10
	v_cndmask_b32_e64 v15, 0, -1, vcc_lo
	v_cmp_le_u32_e32 vcc_lo, s18, v6
	v_cndmask_b32_e64 v6, 0, -1, vcc_lo
	v_cmp_le_u32_e32 vcc_lo, s19, v7
	v_cndmask_b32_e64 v16, 0, -1, vcc_lo
	v_cmp_eq_u32_e32 vcc_lo, s19, v10
	s_delay_alu instid0(VALU_DEP_2) | instskip(SKIP_3) | instid1(VALU_DEP_3)
	v_cndmask_b32_e64 v6, v16, v6, s2
	v_cndmask_b32_e32 v10, v15, v12, vcc_lo
	v_add_co_u32 v12, vcc_lo, v8, 1
	v_add_co_ci_u32_e32 v15, vcc_lo, 0, v9, vcc_lo
	v_cmp_ne_u32_e32 vcc_lo, 0, v10
	s_delay_alu instid0(VALU_DEP_2) | instskip(SKIP_2) | instid1(VALU_DEP_3)
	v_dual_cndmask_b32 v7, v15, v14 :: v_dual_cndmask_b32 v10, v12, v11
	v_cmp_ne_u32_e32 vcc_lo, 0, v6
	v_xor_b32_e32 v11, s16, v13
	v_dual_cndmask_b32 v6, v9, v7 :: v_dual_cndmask_b32 v7, v8, v10
	s_delay_alu instid0(VALU_DEP_1) | instskip(NEXT) | instid1(VALU_DEP_2)
	v_xor_b32_e32 v8, v6, v11
	v_xor_b32_e32 v7, v7, v11
	s_delay_alu instid0(VALU_DEP_1) | instskip(NEXT) | instid1(VALU_DEP_3)
	v_sub_co_u32 v6, vcc_lo, v7, v11
	v_sub_co_ci_u32_e32 v7, vcc_lo, v8, v11, vcc_lo
.LBB58_11:
	s_or_saveexec_b32 s2, s21
	s_load_b512 s[16:31], s[0:1], 0x18
	s_xor_b32 exec_lo, exec_lo, s2
	s_cbranch_execz .LBB58_13
; %bb.12:
	v_cvt_f32_u32_e32 v6, s3
	s_sub_i32 s33, 0, s3
	s_delay_alu instid0(VALU_DEP_1) | instskip(SKIP_2) | instid1(VALU_DEP_1)
	v_rcp_iflag_f32_e32 v6, v6
	s_waitcnt_depctr 0xfff
	v_mul_f32_e32 v6, 0x4f7ffffe, v6
	v_cvt_u32_f32_e32 v6, v6
	s_delay_alu instid0(VALU_DEP_1) | instskip(NEXT) | instid1(VALU_DEP_1)
	v_mul_lo_u32 v7, s33, v6
	v_mul_hi_u32 v7, v6, v7
	s_delay_alu instid0(VALU_DEP_1) | instskip(NEXT) | instid1(VALU_DEP_1)
	v_add_nc_u32_e32 v6, v6, v7
	v_mul_hi_u32 v6, v2, v6
	s_delay_alu instid0(VALU_DEP_1) | instskip(SKIP_1) | instid1(VALU_DEP_2)
	v_mul_lo_u32 v7, v6, s3
	v_add_nc_u32_e32 v8, 1, v6
	v_sub_nc_u32_e32 v7, v2, v7
	s_delay_alu instid0(VALU_DEP_1) | instskip(SKIP_1) | instid1(VALU_DEP_2)
	v_subrev_nc_u32_e32 v9, s3, v7
	v_cmp_le_u32_e32 vcc_lo, s3, v7
	v_dual_cndmask_b32 v7, v7, v9 :: v_dual_cndmask_b32 v6, v6, v8
	s_delay_alu instid0(VALU_DEP_1) | instskip(NEXT) | instid1(VALU_DEP_2)
	v_cmp_le_u32_e32 vcc_lo, s3, v7
	v_dual_mov_b32 v7, 0 :: v_dual_add_nc_u32 v8, 1, v6
	s_delay_alu instid0(VALU_DEP_1)
	v_cndmask_b32_e32 v6, v6, v8, vcc_lo
.LBB58_13:
	s_or_b32 exec_lo, exec_lo, s2
	s_load_b256 s[36:43], s[0:1], 0xb0
	v_mul_lo_u32 v5, v5, s34
	v_mul_lo_u32 v10, v4, s35
	v_mad_u64_u32 v[8:9], null, v4, s34, 0
	s_load_b64 s[0:1], s[0:1], 0xd0
	s_delay_alu instid0(VALU_DEP_1) | instskip(NEXT) | instid1(VALU_DEP_2)
	v_add3_u32 v4, v9, v10, v5
	v_sub_co_u32 v8, vcc_lo, v2, v8
	s_delay_alu instid0(VALU_DEP_2)
	v_sub_co_ci_u32_e32 v9, vcc_lo, v3, v4, vcc_lo
	s_waitcnt lgkmcnt(0)
	s_sub_u32 s2, 0, s36
	s_subb_u32 s3, 0, s37
	s_sub_u32 s34, 0, s38
	v_cmp_gt_i64_e64 s50, s[2:3], 0
	s_subb_u32 s35, 0, s39
	v_cmp_gt_i64_e64 s33, s[36:37], 0
	s_sub_u32 s48, 0, s40
	s_subb_u32 s49, 0, s41
	v_cmp_gt_i64_e64 s54, s[34:35], 0
	v_cmp_gt_i64_e64 s52, s[38:39], 0
	;; [unrolled: 1-line block ×4, first 2 shown]
	s_and_b32 s50, s50, exec_lo
	s_cselect_b32 s56, s3, 0
	s_cselect_b32 s57, s2, 0
	s_and_b32 s2, s33, exec_lo
	s_cselect_b32 s51, s37, 0
	s_cselect_b32 s50, s36, 0
	;; [unrolled: 3-line block ×5, first 2 shown]
	s_and_b32 s2, s53, exec_lo
	v_sub_co_u32 v2, vcc_lo, v8, s36
	s_cselect_b32 s3, s41, 0
	s_cselect_b32 s2, s40, 0
	s_add_u32 s48, s20, s36
	v_subrev_co_ci_u32_e32 v3, vcc_lo, s37, v9, vcc_lo
	s_addc_u32 s49, s21, s37
	v_sub_co_u32 v4, vcc_lo, v8, s48
	v_subrev_co_ci_u32_e32 v5, vcc_lo, s49, v9, vcc_lo
	s_lshl_b64 s[36:37], s[36:37], 1
	s_not_b64 s[48:49], s[50:51]
	v_ashrrev_i32_e32 v10, 31, v3
	s_add_u32 s36, s36, s48
	s_addc_u32 s37, s37, s49
	v_add_co_u32 v4, vcc_lo, v4, 1
	s_add_u32 s36, s36, s57
	s_addc_u32 s37, s37, s56
	v_add_co_ci_u32_e32 v5, vcc_lo, 0, v5, vcc_lo
	s_add_u32 s36, s36, s20
	v_xor_b32_e32 v12, v2, v10
	s_addc_u32 s37, s37, s21
	v_sub_co_u32 v2, vcc_lo, v0, s38
	s_add_u32 s20, s18, s38
	v_xor_b32_e32 v11, v3, v10
	v_subrev_co_ci_u32_e32 v3, vcc_lo, s39, v1, vcc_lo
	s_addc_u32 s21, s19, s39
	v_sub_co_u32 v14, vcc_lo, v0, s20
	v_subrev_co_ci_u32_e32 v15, vcc_lo, s21, v1, vcc_lo
	s_delay_alu instid0(VALU_DEP_3) | instskip(NEXT) | instid1(VALU_DEP_3)
	v_ashrrev_i32_e32 v16, 31, v3
	v_add_co_u32 v14, vcc_lo, v14, 1
	s_delay_alu instid0(VALU_DEP_3) | instskip(NEXT) | instid1(VALU_DEP_3)
	v_add_co_ci_u32_e32 v15, vcc_lo, 0, v15, vcc_lo
	v_xor_b32_e32 v2, v2, v16
	v_xor_b32_e32 v3, v3, v16
	s_lshl_b64 s[20:21], s[38:39], 1
	s_delay_alu instid0(VALU_DEP_3) | instskip(SKIP_3) | instid1(VALU_DEP_3)
	v_ashrrev_i32_e32 v17, 31, v15
	s_not_b64 s[34:35], s[34:35]
	v_sub_co_u32 v18, vcc_lo, v2, v16
	v_sub_co_ci_u32_e32 v16, vcc_lo, v3, v16, vcc_lo
	v_xor_b32_e32 v2, v14, v17
	v_xor_b32_e32 v3, v15, v17
	s_add_u32 s20, s20, s34
	s_addc_u32 s21, s21, s35
	s_add_u32 s20, s20, s54
	v_sub_co_u32 v2, vcc_lo, v2, v17
	v_sub_co_ci_u32_e32 v3, vcc_lo, v3, v17, vcc_lo
	v_sub_co_u32 v14, vcc_lo, v6, s40
	s_addc_u32 s21, s21, s33
	s_add_u32 s18, s20, s18
	v_subrev_co_ci_u32_e32 v15, vcc_lo, s41, v7, vcc_lo
	s_addc_u32 s19, s21, s19
	v_add_co_u32 v2, vcc_lo, v0, v2
	s_add_u32 s20, s16, s40
	v_add_co_ci_u32_e32 v3, vcc_lo, v1, v3, vcc_lo
	s_addc_u32 s21, s17, s41
	v_sub_co_u32 v19, vcc_lo, v6, s20
	v_subrev_co_ci_u32_e32 v20, vcc_lo, s21, v7, vcc_lo
	v_ashrrev_i32_e32 v17, 31, v15
	s_delay_alu instid0(VALU_DEP_3) | instskip(NEXT) | instid1(VALU_DEP_3)
	v_add_co_u32 v19, vcc_lo, v19, 1
	v_add_co_ci_u32_e32 v20, vcc_lo, 0, v20, vcc_lo
	v_sub_co_u32 v21, vcc_lo, s18, v2
	s_delay_alu instid0(VALU_DEP_4) | instskip(SKIP_1) | instid1(VALU_DEP_4)
	v_xor_b32_e32 v14, v14, v17
	v_sub_co_ci_u32_e32 v22, vcc_lo, s19, v3, vcc_lo
	v_ashrrev_i32_e32 v3, 31, v20
	v_xor_b32_e32 v2, v15, v17
	s_delay_alu instid0(VALU_DEP_4) | instskip(SKIP_1) | instid1(VALU_DEP_3)
	v_sub_co_u32 v14, vcc_lo, v14, v17
	s_lshl_b64 s[18:19], s[40:41], 1
	v_xor_b32_e32 v15, v19, v3
	s_not_b64 s[2:3], s[2:3]
	v_sub_co_ci_u32_e32 v2, vcc_lo, v2, v17, vcc_lo
	v_xor_b32_e32 v17, v20, v3
	s_add_u32 s2, s18, s2
	s_addc_u32 s3, s19, s3
	v_sub_co_u32 v15, vcc_lo, v15, v3
	s_add_u32 s2, s2, s55
	s_addc_u32 s3, s3, s52
	v_sub_co_ci_u32_e32 v3, vcc_lo, v17, v3, vcc_lo
	s_add_u32 s2, s2, s16
	s_addc_u32 s3, s3, s17
	s_add_u32 s14, s14, s42
	v_add_co_u32 v15, vcc_lo, v6, v15
	s_addc_u32 s16, 0, s43
	s_add_u32 s15, s15, s0
	v_add_co_ci_u32_e32 v3, vcc_lo, v7, v3, vcc_lo
	s_addc_u32 s17, 0, s1
	s_mul_hi_u32 s1, s22, s15
	s_mul_i32 s0, s22, s17
	v_sub_co_u32 v15, vcc_lo, s2, v15
	s_add_i32 s0, s1, s0
	s_mul_i32 s1, s23, s15
	v_sub_co_ci_u32_e32 v3, vcc_lo, s3, v3, vcc_lo
	s_mul_i32 s2, s22, s15
	s_add_i32 s0, s0, s1
	v_ashrrev_i32_e32 v13, 31, v5
	s_add_u32 s1, s46, s2
	s_mul_i32 s2, s24, s16
	s_mul_hi_u32 s3, s24, s14
	v_add_co_u32 v14, vcc_lo, v15, v14
	s_addc_u32 s18, s47, s0
	s_add_i32 s0, s3, s2
	s_mul_i32 s2, s25, s14
	v_add_co_ci_u32_e32 v15, vcc_lo, v3, v2, vcc_lo
	s_mul_i32 s3, s24, s14
	s_add_i32 s2, s0, s2
	v_xor_b32_e32 v4, v4, v13
	s_add_u32 s0, s1, s3
	s_addc_u32 s1, s18, s2
	v_xor_b32_e32 v5, v5, v13
	v_mad_u64_u32 v[2:3], null, v14, s26, s[0:1]
	v_mul_lo_u32 v14, v14, s27
	v_mul_lo_u32 v15, v15, s26
	v_sub_co_u32 v4, vcc_lo, v4, v13
	v_sub_co_ci_u32_e32 v5, vcc_lo, v5, v13, vcc_lo
	v_add_co_u32 v13, vcc_lo, v21, v18
	v_add_co_ci_u32_e32 v16, vcc_lo, v22, v16, vcc_lo
	v_add3_u32 v3, v15, v3, v14
	v_add_co_u32 v14, vcc_lo, v8, v4
	v_add_co_ci_u32_e32 v15, vcc_lo, v9, v5, vcc_lo
	v_sub_co_u32 v12, vcc_lo, v12, v10
	s_delay_alu instid0(VALU_DEP_4)
	v_mad_u64_u32 v[4:5], null, v13, s28, v[2:3]
	v_mul_lo_u32 v2, v13, s29
	v_mul_lo_u32 v3, v16, s28
	v_sub_co_ci_u32_e32 v10, vcc_lo, v11, v10, vcc_lo
	v_sub_co_u32 v11, vcc_lo, s36, v14
	v_sub_co_ci_u32_e32 v13, vcc_lo, s37, v15, vcc_lo
	s_mul_i32 s0, s4, s17
	s_delay_alu instid0(VALU_DEP_2) | instskip(SKIP_1) | instid1(VALU_DEP_3)
	v_add_co_u32 v11, vcc_lo, v11, v12
	v_add3_u32 v5, v3, v5, v2
	v_add_co_ci_u32_e32 v10, vcc_lo, v13, v10, vcc_lo
	s_mul_hi_u32 s1, s4, s15
	s_mul_i32 s2, s4, s15
	s_delay_alu instid0(VALU_DEP_2)
	v_mad_u64_u32 v[2:3], null, v11, s30, v[4:5]
	v_mul_lo_u32 v4, v11, s31
	v_mul_lo_u32 v5, v10, s30
	s_add_i32 s0, s1, s0
	s_mul_i32 s1, s5, s15
	s_mul_hi_u32 s3, s6, s14
	s_add_i32 s0, s0, s1
	s_add_u32 s1, s44, s2
	s_mul_i32 s2, s6, s16
	s_addc_u32 s4, s45, s0
	v_add3_u32 v3, v5, v3, v4
	s_add_i32 s0, s3, s2
	s_mul_i32 s2, s7, s14
	s_mul_i32 s3, s6, s14
	s_add_i32 s2, s0, s2
	global_load_u8 v10, v[2:3], off
	s_add_u32 s0, s1, s3
	s_addc_u32 s1, s4, s2
	v_mul_lo_u32 v4, v6, s9
	v_mad_u64_u32 v[2:3], null, v6, s8, s[0:1]
	v_mul_lo_u32 v5, v7, s8
	v_mul_lo_u32 v1, v1, s10
	s_delay_alu instid0(VALU_DEP_2) | instskip(NEXT) | instid1(VALU_DEP_1)
	v_add3_u32 v3, v5, v3, v4
	v_mad_u64_u32 v[4:5], null, v0, s10, v[2:3]
	v_mul_lo_u32 v0, v0, s11
	v_mul_lo_u32 v2, v8, s13
	;; [unrolled: 1-line block ×3, first 2 shown]
	s_delay_alu instid0(VALU_DEP_3) | instskip(NEXT) | instid1(VALU_DEP_1)
	v_add3_u32 v5, v1, v5, v0
	v_mad_u64_u32 v[0:1], null, v8, s12, v[4:5]
	s_delay_alu instid0(VALU_DEP_1)
	v_add3_u32 v1, v3, v1, v2
	s_waitcnt vmcnt(0)
	global_store_b8 v[0:1], v10, off
.LBB58_14:
	s_nop 0
	s_sendmsg sendmsg(MSG_DEALLOC_VGPRS)
	s_endpgm
	.section	.rodata,"a",@progbits
	.p2align	6, 0x0
	.amdhsa_kernel _ZN2at6native12_GLOBAL__N_127reflection_pad3d_out_kernelIaEEvN5torch10headeronly6detail27GenericPackedTensorAccessorINS5_14TensorAccessorIN3c108ArrayRefIlEEKT_Lm4ENS4_16DefaultPtrTraitsElEENS_6detail16IndexBoundsCheckILm5ElEESC_Lm5ESD_lEENS6_INS7_ISA_SB_Lm4ESD_lEESH_SB_Lm5ESD_lEElllll
		.amdhsa_group_segment_fixed_size 0
		.amdhsa_private_segment_fixed_size 0
		.amdhsa_kernarg_size 472
		.amdhsa_user_sgpr_count 13
		.amdhsa_user_sgpr_dispatch_ptr 0
		.amdhsa_user_sgpr_queue_ptr 0
		.amdhsa_user_sgpr_kernarg_segment_ptr 1
		.amdhsa_user_sgpr_dispatch_id 0
		.amdhsa_user_sgpr_private_segment_size 0
		.amdhsa_wavefront_size32 1
		.amdhsa_uses_dynamic_stack 0
		.amdhsa_enable_private_segment 0
		.amdhsa_system_sgpr_workgroup_id_x 1
		.amdhsa_system_sgpr_workgroup_id_y 1
		.amdhsa_system_sgpr_workgroup_id_z 1
		.amdhsa_system_sgpr_workgroup_info 0
		.amdhsa_system_vgpr_workitem_id 0
		.amdhsa_next_free_vgpr 23
		.amdhsa_next_free_sgpr 58
		.amdhsa_reserve_vcc 1
		.amdhsa_float_round_mode_32 0
		.amdhsa_float_round_mode_16_64 0
		.amdhsa_float_denorm_mode_32 3
		.amdhsa_float_denorm_mode_16_64 3
		.amdhsa_dx10_clamp 1
		.amdhsa_ieee_mode 1
		.amdhsa_fp16_overflow 0
		.amdhsa_workgroup_processor_mode 1
		.amdhsa_memory_ordered 1
		.amdhsa_forward_progress 0
		.amdhsa_shared_vgpr_count 0
		.amdhsa_exception_fp_ieee_invalid_op 0
		.amdhsa_exception_fp_denorm_src 0
		.amdhsa_exception_fp_ieee_div_zero 0
		.amdhsa_exception_fp_ieee_overflow 0
		.amdhsa_exception_fp_ieee_underflow 0
		.amdhsa_exception_fp_ieee_inexact 0
		.amdhsa_exception_int_div_zero 0
	.end_amdhsa_kernel
	.section	.text._ZN2at6native12_GLOBAL__N_127reflection_pad3d_out_kernelIaEEvN5torch10headeronly6detail27GenericPackedTensorAccessorINS5_14TensorAccessorIN3c108ArrayRefIlEEKT_Lm4ENS4_16DefaultPtrTraitsElEENS_6detail16IndexBoundsCheckILm5ElEESC_Lm5ESD_lEENS6_INS7_ISA_SB_Lm4ESD_lEESH_SB_Lm5ESD_lEElllll,"axG",@progbits,_ZN2at6native12_GLOBAL__N_127reflection_pad3d_out_kernelIaEEvN5torch10headeronly6detail27GenericPackedTensorAccessorINS5_14TensorAccessorIN3c108ArrayRefIlEEKT_Lm4ENS4_16DefaultPtrTraitsElEENS_6detail16IndexBoundsCheckILm5ElEESC_Lm5ESD_lEENS6_INS7_ISA_SB_Lm4ESD_lEESH_SB_Lm5ESD_lEElllll,comdat
.Lfunc_end58:
	.size	_ZN2at6native12_GLOBAL__N_127reflection_pad3d_out_kernelIaEEvN5torch10headeronly6detail27GenericPackedTensorAccessorINS5_14TensorAccessorIN3c108ArrayRefIlEEKT_Lm4ENS4_16DefaultPtrTraitsElEENS_6detail16IndexBoundsCheckILm5ElEESC_Lm5ESD_lEENS6_INS7_ISA_SB_Lm4ESD_lEESH_SB_Lm5ESD_lEElllll, .Lfunc_end58-_ZN2at6native12_GLOBAL__N_127reflection_pad3d_out_kernelIaEEvN5torch10headeronly6detail27GenericPackedTensorAccessorINS5_14TensorAccessorIN3c108ArrayRefIlEEKT_Lm4ENS4_16DefaultPtrTraitsElEENS_6detail16IndexBoundsCheckILm5ElEESC_Lm5ESD_lEENS6_INS7_ISA_SB_Lm4ESD_lEESH_SB_Lm5ESD_lEElllll
                                        ; -- End function
	.section	.AMDGPU.csdata,"",@progbits
; Kernel info:
; codeLenInByte = 4272
; NumSgprs: 60
; NumVgprs: 23
; ScratchSize: 0
; MemoryBound: 0
; FloatMode: 240
; IeeeMode: 1
; LDSByteSize: 0 bytes/workgroup (compile time only)
; SGPRBlocks: 7
; VGPRBlocks: 2
; NumSGPRsForWavesPerEU: 60
; NumVGPRsForWavesPerEU: 23
; Occupancy: 16
; WaveLimiterHint : 0
; COMPUTE_PGM_RSRC2:SCRATCH_EN: 0
; COMPUTE_PGM_RSRC2:USER_SGPR: 13
; COMPUTE_PGM_RSRC2:TRAP_HANDLER: 0
; COMPUTE_PGM_RSRC2:TGID_X_EN: 1
; COMPUTE_PGM_RSRC2:TGID_Y_EN: 1
; COMPUTE_PGM_RSRC2:TGID_Z_EN: 1
; COMPUTE_PGM_RSRC2:TIDIG_COMP_CNT: 0
	.section	.text._ZN2at6native12_GLOBAL__N_127reflection_pad3d_out_kernelIiEEvN5torch10headeronly6detail27GenericPackedTensorAccessorINS5_14TensorAccessorIN3c108ArrayRefIlEEKT_Lm4ENS4_16DefaultPtrTraitsElEENS_6detail16IndexBoundsCheckILm5ElEESC_Lm5ESD_lEENS6_INS7_ISA_SB_Lm4ESD_lEESH_SB_Lm5ESD_lEElllll,"axG",@progbits,_ZN2at6native12_GLOBAL__N_127reflection_pad3d_out_kernelIiEEvN5torch10headeronly6detail27GenericPackedTensorAccessorINS5_14TensorAccessorIN3c108ArrayRefIlEEKT_Lm4ENS4_16DefaultPtrTraitsElEENS_6detail16IndexBoundsCheckILm5ElEESC_Lm5ESD_lEENS6_INS7_ISA_SB_Lm4ESD_lEESH_SB_Lm5ESD_lEElllll,comdat
	.globl	_ZN2at6native12_GLOBAL__N_127reflection_pad3d_out_kernelIiEEvN5torch10headeronly6detail27GenericPackedTensorAccessorINS5_14TensorAccessorIN3c108ArrayRefIlEEKT_Lm4ENS4_16DefaultPtrTraitsElEENS_6detail16IndexBoundsCheckILm5ElEESC_Lm5ESD_lEENS6_INS7_ISA_SB_Lm4ESD_lEESH_SB_Lm5ESD_lEElllll ; -- Begin function _ZN2at6native12_GLOBAL__N_127reflection_pad3d_out_kernelIiEEvN5torch10headeronly6detail27GenericPackedTensorAccessorINS5_14TensorAccessorIN3c108ArrayRefIlEEKT_Lm4ENS4_16DefaultPtrTraitsElEENS_6detail16IndexBoundsCheckILm5ElEESC_Lm5ESD_lEENS6_INS7_ISA_SB_Lm4ESD_lEESH_SB_Lm5ESD_lEElllll
	.p2align	8
	.type	_ZN2at6native12_GLOBAL__N_127reflection_pad3d_out_kernelIiEEvN5torch10headeronly6detail27GenericPackedTensorAccessorINS5_14TensorAccessorIN3c108ArrayRefIlEEKT_Lm4ENS4_16DefaultPtrTraitsElEENS_6detail16IndexBoundsCheckILm5ElEESC_Lm5ESD_lEENS6_INS7_ISA_SB_Lm4ESD_lEESH_SB_Lm5ESD_lEElllll,@function
_ZN2at6native12_GLOBAL__N_127reflection_pad3d_out_kernelIiEEvN5torch10headeronly6detail27GenericPackedTensorAccessorINS5_14TensorAccessorIN3c108ArrayRefIlEEKT_Lm4ENS4_16DefaultPtrTraitsElEENS_6detail16IndexBoundsCheckILm5ElEESC_Lm5ESD_lEENS6_INS7_ISA_SB_Lm4ESD_lEESH_SB_Lm5ESD_lEElllll: ; @_ZN2at6native12_GLOBAL__N_127reflection_pad3d_out_kernelIiEEvN5torch10headeronly6detail27GenericPackedTensorAccessorINS5_14TensorAccessorIN3c108ArrayRefIlEEKT_Lm4ENS4_16DefaultPtrTraitsElEENS_6detail16IndexBoundsCheckILm5ElEESC_Lm5ESD_lEENS6_INS7_ISA_SB_Lm4ESD_lEESH_SB_Lm5ESD_lEElllll
; %bb.0:
	s_clause 0x2
	s_load_b32 s2, s[0:1], 0xe4
	s_load_b128 s[16:19], s[0:1], 0x70
	s_load_b64 s[34:35], s[0:1], 0x80
	v_mov_b32_e32 v4, 0
	s_delay_alu instid0(VALU_DEP_1)
	v_mov_b32_e32 v1, v4
	s_waitcnt lgkmcnt(0)
	s_and_b32 s2, s2, 0xffff
	s_mul_i32 s4, s34, s19
	s_mul_hi_u32 s5, s34, s18
	s_mul_i32 s6, s35, s18
	s_mul_i32 s3, s34, s18
	v_mad_u64_u32 v[2:3], null, s2, s13, v[0:1]
	s_add_i32 s20, s5, s4
	s_mul_i32 s2, s3, s17
	s_mul_hi_u32 s4, s3, s16
	s_add_i32 s20, s20, s6
	s_add_i32 s2, s4, s2
	s_mul_i32 s4, s20, s16
	s_delay_alu instid0(SALU_CYCLE_1)
	s_add_i32 s5, s2, s4
	s_mul_i32 s4, s3, s16
	s_mov_b32 s2, exec_lo
	v_cmpx_gt_i64_e64 s[4:5], v[2:3]
	s_cbranch_execz .LBB59_14
; %bb.1:
	v_or_b32_e32 v5, s35, v3
	s_delay_alu instid0(VALU_DEP_1) | instskip(SKIP_1) | instid1(SALU_CYCLE_1)
	v_cmp_ne_u64_e32 vcc_lo, 0, v[4:5]
                                        ; implicit-def: $vgpr4_vgpr5
	s_and_saveexec_b32 s2, vcc_lo
	s_xor_b32 s8, exec_lo, s2
	s_cbranch_execz .LBB59_3
; %bb.2:
	s_ashr_i32 s4, s35, 31
	s_delay_alu instid0(SALU_CYCLE_1) | instskip(SKIP_2) | instid1(SALU_CYCLE_1)
	s_add_u32 s6, s34, s4
	s_mov_b32 s5, s4
	s_addc_u32 s7, s35, s4
	s_xor_b64 s[6:7], s[6:7], s[4:5]
	s_delay_alu instid0(SALU_CYCLE_1) | instskip(SKIP_3) | instid1(VALU_DEP_1)
	v_cvt_f32_u32_e32 v0, s6
	v_cvt_f32_u32_e32 v1, s7
	s_sub_u32 s2, 0, s6
	s_subb_u32 s5, 0, s7
	v_fmamk_f32 v0, v1, 0x4f800000, v0
	s_delay_alu instid0(VALU_DEP_1) | instskip(SKIP_2) | instid1(VALU_DEP_1)
	v_rcp_f32_e32 v0, v0
	s_waitcnt_depctr 0xfff
	v_mul_f32_e32 v0, 0x5f7ffffc, v0
	v_mul_f32_e32 v1, 0x2f800000, v0
	s_delay_alu instid0(VALU_DEP_1) | instskip(NEXT) | instid1(VALU_DEP_1)
	v_trunc_f32_e32 v1, v1
	v_fmamk_f32 v0, v1, 0xcf800000, v0
	v_cvt_u32_f32_e32 v1, v1
	s_delay_alu instid0(VALU_DEP_2) | instskip(NEXT) | instid1(VALU_DEP_2)
	v_cvt_u32_f32_e32 v0, v0
	v_mul_lo_u32 v4, s2, v1
	s_delay_alu instid0(VALU_DEP_2) | instskip(SKIP_1) | instid1(VALU_DEP_2)
	v_mul_hi_u32 v5, s2, v0
	v_mul_lo_u32 v6, s5, v0
	v_add_nc_u32_e32 v4, v5, v4
	v_mul_lo_u32 v5, s2, v0
	s_delay_alu instid0(VALU_DEP_2) | instskip(NEXT) | instid1(VALU_DEP_2)
	v_add_nc_u32_e32 v4, v4, v6
	v_mul_hi_u32 v6, v0, v5
	s_delay_alu instid0(VALU_DEP_2)
	v_mul_lo_u32 v7, v0, v4
	v_mul_hi_u32 v8, v0, v4
	v_mul_hi_u32 v9, v1, v5
	v_mul_lo_u32 v5, v1, v5
	v_mul_hi_u32 v10, v1, v4
	v_mul_lo_u32 v4, v1, v4
	v_add_co_u32 v6, vcc_lo, v6, v7
	v_add_co_ci_u32_e32 v7, vcc_lo, 0, v8, vcc_lo
	s_delay_alu instid0(VALU_DEP_2) | instskip(NEXT) | instid1(VALU_DEP_2)
	v_add_co_u32 v5, vcc_lo, v6, v5
	v_add_co_ci_u32_e32 v5, vcc_lo, v7, v9, vcc_lo
	v_add_co_ci_u32_e32 v6, vcc_lo, 0, v10, vcc_lo
	v_ashrrev_i32_e32 v9, 31, v3
	s_delay_alu instid0(VALU_DEP_3) | instskip(NEXT) | instid1(VALU_DEP_3)
	v_add_co_u32 v4, vcc_lo, v5, v4
	v_add_co_ci_u32_e32 v5, vcc_lo, 0, v6, vcc_lo
	s_delay_alu instid0(VALU_DEP_2) | instskip(NEXT) | instid1(VALU_DEP_2)
	v_add_co_u32 v0, vcc_lo, v0, v4
	v_add_co_ci_u32_e32 v1, vcc_lo, v1, v5, vcc_lo
	s_delay_alu instid0(VALU_DEP_2) | instskip(SKIP_1) | instid1(VALU_DEP_3)
	v_mul_hi_u32 v4, s2, v0
	v_mul_lo_u32 v6, s5, v0
	v_mul_lo_u32 v5, s2, v1
	s_delay_alu instid0(VALU_DEP_1) | instskip(SKIP_1) | instid1(VALU_DEP_2)
	v_add_nc_u32_e32 v4, v4, v5
	v_mul_lo_u32 v5, s2, v0
	v_add_nc_u32_e32 v4, v4, v6
	s_delay_alu instid0(VALU_DEP_2) | instskip(NEXT) | instid1(VALU_DEP_2)
	v_mul_hi_u32 v6, v0, v5
	v_mul_lo_u32 v7, v0, v4
	v_mul_hi_u32 v8, v0, v4
	v_mul_hi_u32 v10, v1, v5
	v_mul_lo_u32 v5, v1, v5
	v_mul_hi_u32 v11, v1, v4
	v_mul_lo_u32 v4, v1, v4
	v_add_co_u32 v6, vcc_lo, v6, v7
	v_add_co_ci_u32_e32 v7, vcc_lo, 0, v8, vcc_lo
	s_delay_alu instid0(VALU_DEP_2) | instskip(NEXT) | instid1(VALU_DEP_2)
	v_add_co_u32 v5, vcc_lo, v6, v5
	v_add_co_ci_u32_e32 v5, vcc_lo, v7, v10, vcc_lo
	v_add_co_ci_u32_e32 v6, vcc_lo, 0, v11, vcc_lo
	v_add_co_u32 v7, vcc_lo, v2, v9
	v_add_co_ci_u32_e32 v8, vcc_lo, v3, v9, vcc_lo
	s_delay_alu instid0(VALU_DEP_4) | instskip(NEXT) | instid1(VALU_DEP_4)
	v_add_co_u32 v4, vcc_lo, v5, v4
	v_add_co_ci_u32_e32 v5, vcc_lo, 0, v6, vcc_lo
	s_delay_alu instid0(VALU_DEP_4) | instskip(NEXT) | instid1(VALU_DEP_3)
	v_xor_b32_e32 v10, v7, v9
	v_add_co_u32 v6, vcc_lo, v0, v4
	s_delay_alu instid0(VALU_DEP_3) | instskip(SKIP_1) | instid1(VALU_DEP_3)
	v_add_co_ci_u32_e32 v11, vcc_lo, v1, v5, vcc_lo
	v_xor_b32_e32 v8, v8, v9
	v_mul_hi_u32 v12, v10, v6
	s_delay_alu instid0(VALU_DEP_3) | instskip(NEXT) | instid1(VALU_DEP_3)
	v_mad_u64_u32 v[0:1], null, v10, v11, 0
	v_mad_u64_u32 v[4:5], null, v8, v6, 0
	;; [unrolled: 1-line block ×3, first 2 shown]
	s_delay_alu instid0(VALU_DEP_3) | instskip(NEXT) | instid1(VALU_DEP_4)
	v_add_co_u32 v0, vcc_lo, v12, v0
	v_add_co_ci_u32_e32 v1, vcc_lo, 0, v1, vcc_lo
	s_delay_alu instid0(VALU_DEP_2) | instskip(NEXT) | instid1(VALU_DEP_2)
	v_add_co_u32 v0, vcc_lo, v0, v4
	v_add_co_ci_u32_e32 v0, vcc_lo, v1, v5, vcc_lo
	v_add_co_ci_u32_e32 v1, vcc_lo, 0, v7, vcc_lo
	s_delay_alu instid0(VALU_DEP_2) | instskip(NEXT) | instid1(VALU_DEP_2)
	v_add_co_u32 v4, vcc_lo, v0, v6
	v_add_co_ci_u32_e32 v5, vcc_lo, 0, v1, vcc_lo
	s_delay_alu instid0(VALU_DEP_2) | instskip(SKIP_1) | instid1(VALU_DEP_3)
	v_mul_lo_u32 v6, s7, v4
	v_mad_u64_u32 v[0:1], null, s6, v4, 0
	v_mul_lo_u32 v7, s6, v5
	s_delay_alu instid0(VALU_DEP_2) | instskip(NEXT) | instid1(VALU_DEP_2)
	v_sub_co_u32 v0, vcc_lo, v10, v0
	v_add3_u32 v1, v1, v7, v6
	s_delay_alu instid0(VALU_DEP_1) | instskip(NEXT) | instid1(VALU_DEP_1)
	v_sub_nc_u32_e32 v6, v8, v1
	v_subrev_co_ci_u32_e64 v6, s2, s7, v6, vcc_lo
	v_add_co_u32 v7, s2, v4, 2
	s_delay_alu instid0(VALU_DEP_1) | instskip(SKIP_3) | instid1(VALU_DEP_3)
	v_add_co_ci_u32_e64 v10, s2, 0, v5, s2
	v_sub_co_u32 v11, s2, v0, s6
	v_sub_co_ci_u32_e32 v1, vcc_lo, v8, v1, vcc_lo
	v_subrev_co_ci_u32_e64 v6, s2, 0, v6, s2
	v_cmp_le_u32_e32 vcc_lo, s6, v11
	s_delay_alu instid0(VALU_DEP_3) | instskip(SKIP_1) | instid1(VALU_DEP_4)
	v_cmp_eq_u32_e64 s2, s7, v1
	v_cndmask_b32_e64 v8, 0, -1, vcc_lo
	v_cmp_le_u32_e32 vcc_lo, s7, v6
	v_cndmask_b32_e64 v11, 0, -1, vcc_lo
	v_cmp_le_u32_e32 vcc_lo, s6, v0
	;; [unrolled: 2-line block ×3, first 2 shown]
	v_cndmask_b32_e64 v12, 0, -1, vcc_lo
	v_cmp_eq_u32_e32 vcc_lo, s7, v6
	s_delay_alu instid0(VALU_DEP_2) | instskip(SKIP_3) | instid1(VALU_DEP_3)
	v_cndmask_b32_e64 v0, v12, v0, s2
	v_cndmask_b32_e32 v6, v11, v8, vcc_lo
	v_add_co_u32 v8, vcc_lo, v4, 1
	v_add_co_ci_u32_e32 v11, vcc_lo, 0, v5, vcc_lo
	v_cmp_ne_u32_e32 vcc_lo, 0, v6
	s_delay_alu instid0(VALU_DEP_2) | instskip(SKIP_2) | instid1(VALU_DEP_3)
	v_dual_cndmask_b32 v1, v11, v10 :: v_dual_cndmask_b32 v6, v8, v7
	v_cmp_ne_u32_e32 vcc_lo, 0, v0
	v_xor_b32_e32 v0, s4, v9
	v_dual_cndmask_b32 v4, v4, v6 :: v_dual_cndmask_b32 v1, v5, v1
	s_delay_alu instid0(VALU_DEP_1) | instskip(NEXT) | instid1(VALU_DEP_2)
	v_xor_b32_e32 v4, v4, v0
	v_xor_b32_e32 v1, v1, v0
	s_delay_alu instid0(VALU_DEP_2) | instskip(NEXT) | instid1(VALU_DEP_2)
	v_sub_co_u32 v4, vcc_lo, v4, v0
	v_sub_co_ci_u32_e32 v5, vcc_lo, v1, v0, vcc_lo
.LBB59_3:
	s_and_not1_saveexec_b32 s2, s8
	s_cbranch_execz .LBB59_5
; %bb.4:
	v_cvt_f32_u32_e32 v0, s34
	s_sub_i32 s4, 0, s34
	s_delay_alu instid0(VALU_DEP_1) | instskip(SKIP_2) | instid1(VALU_DEP_1)
	v_rcp_iflag_f32_e32 v0, v0
	s_waitcnt_depctr 0xfff
	v_mul_f32_e32 v0, 0x4f7ffffe, v0
	v_cvt_u32_f32_e32 v0, v0
	s_delay_alu instid0(VALU_DEP_1) | instskip(NEXT) | instid1(VALU_DEP_1)
	v_mul_lo_u32 v1, s4, v0
	v_mul_hi_u32 v1, v0, v1
	s_delay_alu instid0(VALU_DEP_1) | instskip(NEXT) | instid1(VALU_DEP_1)
	v_add_nc_u32_e32 v0, v0, v1
	v_mul_hi_u32 v0, v2, v0
	s_delay_alu instid0(VALU_DEP_1) | instskip(SKIP_1) | instid1(VALU_DEP_2)
	v_mul_lo_u32 v1, v0, s34
	v_add_nc_u32_e32 v4, 1, v0
	v_sub_nc_u32_e32 v1, v2, v1
	s_delay_alu instid0(VALU_DEP_1) | instskip(SKIP_1) | instid1(VALU_DEP_2)
	v_subrev_nc_u32_e32 v5, s34, v1
	v_cmp_le_u32_e32 vcc_lo, s34, v1
	v_cndmask_b32_e32 v1, v1, v5, vcc_lo
	v_dual_mov_b32 v5, 0 :: v_dual_cndmask_b32 v0, v0, v4
	s_delay_alu instid0(VALU_DEP_2) | instskip(NEXT) | instid1(VALU_DEP_2)
	v_cmp_le_u32_e32 vcc_lo, s34, v1
	v_add_nc_u32_e32 v4, 1, v0
	s_delay_alu instid0(VALU_DEP_1)
	v_cndmask_b32_e32 v4, v0, v4, vcc_lo
.LBB59_5:
	s_or_b32 exec_lo, exec_lo, s2
	s_delay_alu instid0(VALU_DEP_1) | instskip(SKIP_1) | instid1(VALU_DEP_1)
	v_or_b32_e32 v1, s19, v5
	v_mov_b32_e32 v0, 0
	v_cmp_ne_u64_e32 vcc_lo, 0, v[0:1]
                                        ; implicit-def: $vgpr0_vgpr1
	s_and_saveexec_b32 s2, vcc_lo
	s_delay_alu instid0(SALU_CYCLE_1)
	s_xor_b32 s6, exec_lo, s2
	s_cbranch_execz .LBB59_7
; %bb.6:
	s_ashr_i32 s4, s19, 31
	s_delay_alu instid0(SALU_CYCLE_1) | instskip(SKIP_2) | instid1(SALU_CYCLE_1)
	s_add_u32 s8, s18, s4
	s_mov_b32 s5, s4
	s_addc_u32 s9, s19, s4
	s_xor_b64 s[4:5], s[8:9], s[4:5]
	s_delay_alu instid0(SALU_CYCLE_1) | instskip(SKIP_3) | instid1(VALU_DEP_1)
	v_cvt_f32_u32_e32 v0, s4
	v_cvt_f32_u32_e32 v1, s5
	s_sub_u32 s2, 0, s4
	s_subb_u32 s7, 0, s5
	v_fmamk_f32 v0, v1, 0x4f800000, v0
	s_delay_alu instid0(VALU_DEP_1) | instskip(SKIP_2) | instid1(VALU_DEP_1)
	v_rcp_f32_e32 v0, v0
	s_waitcnt_depctr 0xfff
	v_mul_f32_e32 v0, 0x5f7ffffc, v0
	v_mul_f32_e32 v1, 0x2f800000, v0
	s_delay_alu instid0(VALU_DEP_1) | instskip(NEXT) | instid1(VALU_DEP_1)
	v_trunc_f32_e32 v1, v1
	v_fmamk_f32 v0, v1, 0xcf800000, v0
	v_cvt_u32_f32_e32 v1, v1
	s_delay_alu instid0(VALU_DEP_2) | instskip(NEXT) | instid1(VALU_DEP_2)
	v_cvt_u32_f32_e32 v0, v0
	v_mul_lo_u32 v6, s2, v1
	s_delay_alu instid0(VALU_DEP_2) | instskip(SKIP_1) | instid1(VALU_DEP_2)
	v_mul_hi_u32 v7, s2, v0
	v_mul_lo_u32 v8, s7, v0
	v_add_nc_u32_e32 v6, v7, v6
	v_mul_lo_u32 v7, s2, v0
	s_delay_alu instid0(VALU_DEP_2) | instskip(NEXT) | instid1(VALU_DEP_2)
	v_add_nc_u32_e32 v6, v6, v8
	v_mul_hi_u32 v8, v0, v7
	s_delay_alu instid0(VALU_DEP_2)
	v_mul_lo_u32 v9, v0, v6
	v_mul_hi_u32 v10, v0, v6
	v_mul_hi_u32 v11, v1, v7
	v_mul_lo_u32 v7, v1, v7
	v_mul_hi_u32 v12, v1, v6
	v_mul_lo_u32 v6, v1, v6
	v_add_co_u32 v8, vcc_lo, v8, v9
	v_add_co_ci_u32_e32 v9, vcc_lo, 0, v10, vcc_lo
	s_delay_alu instid0(VALU_DEP_2) | instskip(NEXT) | instid1(VALU_DEP_2)
	v_add_co_u32 v7, vcc_lo, v8, v7
	v_add_co_ci_u32_e32 v7, vcc_lo, v9, v11, vcc_lo
	v_add_co_ci_u32_e32 v8, vcc_lo, 0, v12, vcc_lo
	v_ashrrev_i32_e32 v11, 31, v5
	s_delay_alu instid0(VALU_DEP_3) | instskip(NEXT) | instid1(VALU_DEP_3)
	v_add_co_u32 v6, vcc_lo, v7, v6
	v_add_co_ci_u32_e32 v7, vcc_lo, 0, v8, vcc_lo
	s_delay_alu instid0(VALU_DEP_2) | instskip(NEXT) | instid1(VALU_DEP_2)
	v_add_co_u32 v0, vcc_lo, v0, v6
	v_add_co_ci_u32_e32 v1, vcc_lo, v1, v7, vcc_lo
	s_delay_alu instid0(VALU_DEP_2) | instskip(SKIP_1) | instid1(VALU_DEP_3)
	v_mul_hi_u32 v6, s2, v0
	v_mul_lo_u32 v8, s7, v0
	v_mul_lo_u32 v7, s2, v1
	s_delay_alu instid0(VALU_DEP_1) | instskip(SKIP_1) | instid1(VALU_DEP_2)
	v_add_nc_u32_e32 v6, v6, v7
	v_mul_lo_u32 v7, s2, v0
	v_add_nc_u32_e32 v6, v6, v8
	s_delay_alu instid0(VALU_DEP_2) | instskip(NEXT) | instid1(VALU_DEP_2)
	v_mul_hi_u32 v8, v0, v7
	v_mul_lo_u32 v9, v0, v6
	v_mul_hi_u32 v10, v0, v6
	v_mul_hi_u32 v12, v1, v7
	v_mul_lo_u32 v7, v1, v7
	v_mul_hi_u32 v13, v1, v6
	v_mul_lo_u32 v6, v1, v6
	v_add_co_u32 v8, vcc_lo, v8, v9
	v_add_co_ci_u32_e32 v9, vcc_lo, 0, v10, vcc_lo
	s_delay_alu instid0(VALU_DEP_2) | instskip(NEXT) | instid1(VALU_DEP_2)
	v_add_co_u32 v7, vcc_lo, v8, v7
	v_add_co_ci_u32_e32 v7, vcc_lo, v9, v12, vcc_lo
	v_add_co_ci_u32_e32 v8, vcc_lo, 0, v13, vcc_lo
	v_add_co_u32 v9, vcc_lo, v4, v11
	v_add_co_ci_u32_e32 v10, vcc_lo, v5, v11, vcc_lo
	s_delay_alu instid0(VALU_DEP_4) | instskip(NEXT) | instid1(VALU_DEP_4)
	v_add_co_u32 v6, vcc_lo, v7, v6
	v_add_co_ci_u32_e32 v7, vcc_lo, 0, v8, vcc_lo
	s_delay_alu instid0(VALU_DEP_4) | instskip(NEXT) | instid1(VALU_DEP_3)
	v_xor_b32_e32 v12, v9, v11
	v_add_co_u32 v8, vcc_lo, v0, v6
	s_delay_alu instid0(VALU_DEP_3) | instskip(SKIP_1) | instid1(VALU_DEP_3)
	v_add_co_ci_u32_e32 v13, vcc_lo, v1, v7, vcc_lo
	v_xor_b32_e32 v10, v10, v11
	v_mul_hi_u32 v14, v12, v8
	s_delay_alu instid0(VALU_DEP_3) | instskip(NEXT) | instid1(VALU_DEP_3)
	v_mad_u64_u32 v[0:1], null, v12, v13, 0
	v_mad_u64_u32 v[6:7], null, v10, v8, 0
	v_mad_u64_u32 v[8:9], null, v10, v13, 0
	s_delay_alu instid0(VALU_DEP_3) | instskip(NEXT) | instid1(VALU_DEP_4)
	v_add_co_u32 v0, vcc_lo, v14, v0
	v_add_co_ci_u32_e32 v1, vcc_lo, 0, v1, vcc_lo
	s_delay_alu instid0(VALU_DEP_2) | instskip(NEXT) | instid1(VALU_DEP_2)
	v_add_co_u32 v0, vcc_lo, v0, v6
	v_add_co_ci_u32_e32 v0, vcc_lo, v1, v7, vcc_lo
	v_add_co_ci_u32_e32 v1, vcc_lo, 0, v9, vcc_lo
	s_delay_alu instid0(VALU_DEP_2) | instskip(NEXT) | instid1(VALU_DEP_2)
	v_add_co_u32 v6, vcc_lo, v0, v8
	v_add_co_ci_u32_e32 v7, vcc_lo, 0, v1, vcc_lo
	s_delay_alu instid0(VALU_DEP_2) | instskip(SKIP_1) | instid1(VALU_DEP_3)
	v_mul_lo_u32 v8, s5, v6
	v_mad_u64_u32 v[0:1], null, s4, v6, 0
	v_mul_lo_u32 v6, s4, v7
	s_delay_alu instid0(VALU_DEP_2) | instskip(NEXT) | instid1(VALU_DEP_2)
	v_sub_co_u32 v0, vcc_lo, v12, v0
	v_add3_u32 v1, v1, v6, v8
	s_delay_alu instid0(VALU_DEP_1) | instskip(NEXT) | instid1(VALU_DEP_1)
	v_sub_nc_u32_e32 v6, v10, v1
	v_subrev_co_ci_u32_e64 v6, s2, s5, v6, vcc_lo
	v_sub_co_ci_u32_e32 v1, vcc_lo, v10, v1, vcc_lo
	v_sub_co_u32 v7, vcc_lo, v0, s4
	s_delay_alu instid0(VALU_DEP_1) | instskip(SKIP_3) | instid1(VALU_DEP_3)
	v_subrev_co_ci_u32_e64 v8, s2, 0, v6, vcc_lo
	v_cmp_le_u32_e64 s2, s4, v0
	v_subrev_co_ci_u32_e32 v6, vcc_lo, s5, v6, vcc_lo
	v_cmp_le_u32_e32 vcc_lo, s5, v1
	v_cndmask_b32_e64 v9, 0, -1, s2
	v_cmp_le_u32_e64 s2, s4, v7
	v_cndmask_b32_e64 v13, 0, -1, vcc_lo
	v_cmp_eq_u32_e32 vcc_lo, s5, v8
	s_delay_alu instid0(VALU_DEP_3) | instskip(SKIP_1) | instid1(VALU_DEP_1)
	v_cndmask_b32_e64 v10, 0, -1, s2
	v_cmp_le_u32_e64 s2, s5, v8
	v_cndmask_b32_e64 v12, 0, -1, s2
	v_cmp_eq_u32_e64 s2, s5, v1
	s_delay_alu instid0(VALU_DEP_2) | instskip(SKIP_2) | instid1(VALU_DEP_3)
	v_cndmask_b32_e32 v10, v12, v10, vcc_lo
	v_sub_co_u32 v12, vcc_lo, v7, s4
	v_subrev_co_ci_u32_e32 v6, vcc_lo, 0, v6, vcc_lo
	v_cmp_ne_u32_e32 vcc_lo, 0, v10
	v_cndmask_b32_e64 v9, v13, v9, s2
	s_delay_alu instid0(VALU_DEP_3) | instskip(NEXT) | instid1(VALU_DEP_2)
	v_dual_cndmask_b32 v6, v8, v6 :: v_dual_cndmask_b32 v7, v7, v12
	v_cmp_ne_u32_e32 vcc_lo, 0, v9
	s_delay_alu instid0(VALU_DEP_2) | instskip(NEXT) | instid1(VALU_DEP_1)
	v_dual_cndmask_b32 v0, v0, v7 :: v_dual_cndmask_b32 v1, v1, v6
	v_xor_b32_e32 v0, v0, v11
	s_delay_alu instid0(VALU_DEP_2) | instskip(NEXT) | instid1(VALU_DEP_2)
	v_xor_b32_e32 v1, v1, v11
	v_sub_co_u32 v0, vcc_lo, v0, v11
	s_delay_alu instid0(VALU_DEP_2)
	v_sub_co_ci_u32_e32 v1, vcc_lo, v1, v11, vcc_lo
.LBB59_7:
	s_or_saveexec_b32 s2, s6
	s_clause 0x1
	s_load_b64 s[12:13], s[0:1], 0xa8
	s_load_b256 s[4:11], s[0:1], 0x88
	s_xor_b32 exec_lo, exec_lo, s2
	s_cbranch_execz .LBB59_9
; %bb.8:
	v_cvt_f32_u32_e32 v0, s18
	s_sub_i32 s16, 0, s18
	s_delay_alu instid0(VALU_DEP_1) | instskip(SKIP_2) | instid1(VALU_DEP_1)
	v_rcp_iflag_f32_e32 v0, v0
	s_waitcnt_depctr 0xfff
	v_mul_f32_e32 v0, 0x4f7ffffe, v0
	v_cvt_u32_f32_e32 v0, v0
	s_delay_alu instid0(VALU_DEP_1) | instskip(NEXT) | instid1(VALU_DEP_1)
	v_mul_lo_u32 v1, s16, v0
	v_mul_hi_u32 v1, v0, v1
	s_delay_alu instid0(VALU_DEP_1) | instskip(NEXT) | instid1(VALU_DEP_1)
	v_add_nc_u32_e32 v0, v0, v1
	v_mul_hi_u32 v0, v4, v0
	s_delay_alu instid0(VALU_DEP_1) | instskip(NEXT) | instid1(VALU_DEP_1)
	v_mul_lo_u32 v0, v0, s18
	v_sub_nc_u32_e32 v0, v4, v0
	s_delay_alu instid0(VALU_DEP_1) | instskip(SKIP_1) | instid1(VALU_DEP_2)
	v_subrev_nc_u32_e32 v1, s18, v0
	v_cmp_le_u32_e32 vcc_lo, s18, v0
	v_cndmask_b32_e32 v0, v0, v1, vcc_lo
	s_delay_alu instid0(VALU_DEP_1) | instskip(SKIP_1) | instid1(VALU_DEP_2)
	v_subrev_nc_u32_e32 v1, s18, v0
	v_cmp_le_u32_e32 vcc_lo, s18, v0
	v_dual_cndmask_b32 v0, v0, v1 :: v_dual_mov_b32 v1, 0
.LBB59_9:
	s_or_b32 exec_lo, exec_lo, s2
	s_clause 0x1
	s_load_b64 s[44:45], s[0:1], 0x58
	s_load_b64 s[46:47], s[0:1], 0x0
	v_or_b32_e32 v7, s20, v3
	v_mov_b32_e32 v6, 0
	s_delay_alu instid0(VALU_DEP_1) | instskip(SKIP_1) | instid1(SALU_CYCLE_1)
	v_cmp_ne_u64_e32 vcc_lo, 0, v[6:7]
                                        ; implicit-def: $vgpr6_vgpr7
	s_and_saveexec_b32 s2, vcc_lo
	s_xor_b32 s21, exec_lo, s2
	s_cbranch_execz .LBB59_11
; %bb.10:
	s_ashr_i32 s16, s20, 31
	s_delay_alu instid0(SALU_CYCLE_1) | instskip(SKIP_2) | instid1(SALU_CYCLE_1)
	s_add_u32 s18, s3, s16
	s_mov_b32 s17, s16
	s_addc_u32 s19, s20, s16
	s_xor_b64 s[18:19], s[18:19], s[16:17]
	s_delay_alu instid0(SALU_CYCLE_1) | instskip(SKIP_3) | instid1(VALU_DEP_1)
	v_cvt_f32_u32_e32 v6, s18
	v_cvt_f32_u32_e32 v7, s19
	s_sub_u32 s2, 0, s18
	s_subb_u32 s17, 0, s19
	v_fmamk_f32 v6, v7, 0x4f800000, v6
	s_delay_alu instid0(VALU_DEP_1) | instskip(SKIP_2) | instid1(VALU_DEP_1)
	v_rcp_f32_e32 v6, v6
	s_waitcnt_depctr 0xfff
	v_mul_f32_e32 v6, 0x5f7ffffc, v6
	v_mul_f32_e32 v7, 0x2f800000, v6
	s_delay_alu instid0(VALU_DEP_1) | instskip(NEXT) | instid1(VALU_DEP_1)
	v_trunc_f32_e32 v7, v7
	v_fmamk_f32 v6, v7, 0xcf800000, v6
	v_cvt_u32_f32_e32 v7, v7
	s_delay_alu instid0(VALU_DEP_2) | instskip(NEXT) | instid1(VALU_DEP_2)
	v_cvt_u32_f32_e32 v6, v6
	v_mul_lo_u32 v8, s2, v7
	s_delay_alu instid0(VALU_DEP_2) | instskip(SKIP_1) | instid1(VALU_DEP_2)
	v_mul_hi_u32 v9, s2, v6
	v_mul_lo_u32 v10, s17, v6
	v_add_nc_u32_e32 v8, v9, v8
	v_mul_lo_u32 v9, s2, v6
	s_delay_alu instid0(VALU_DEP_2) | instskip(NEXT) | instid1(VALU_DEP_2)
	v_add_nc_u32_e32 v8, v8, v10
	v_mul_hi_u32 v10, v6, v9
	s_delay_alu instid0(VALU_DEP_2)
	v_mul_lo_u32 v11, v6, v8
	v_mul_hi_u32 v12, v6, v8
	v_mul_hi_u32 v13, v7, v9
	v_mul_lo_u32 v9, v7, v9
	v_mul_hi_u32 v14, v7, v8
	v_mul_lo_u32 v8, v7, v8
	v_add_co_u32 v10, vcc_lo, v10, v11
	v_add_co_ci_u32_e32 v11, vcc_lo, 0, v12, vcc_lo
	s_delay_alu instid0(VALU_DEP_2) | instskip(NEXT) | instid1(VALU_DEP_2)
	v_add_co_u32 v9, vcc_lo, v10, v9
	v_add_co_ci_u32_e32 v9, vcc_lo, v11, v13, vcc_lo
	v_add_co_ci_u32_e32 v10, vcc_lo, 0, v14, vcc_lo
	v_ashrrev_i32_e32 v13, 31, v3
	s_delay_alu instid0(VALU_DEP_3) | instskip(NEXT) | instid1(VALU_DEP_3)
	v_add_co_u32 v8, vcc_lo, v9, v8
	v_add_co_ci_u32_e32 v9, vcc_lo, 0, v10, vcc_lo
	s_delay_alu instid0(VALU_DEP_2) | instskip(NEXT) | instid1(VALU_DEP_2)
	v_add_co_u32 v6, vcc_lo, v6, v8
	v_add_co_ci_u32_e32 v7, vcc_lo, v7, v9, vcc_lo
	s_delay_alu instid0(VALU_DEP_2) | instskip(SKIP_1) | instid1(VALU_DEP_3)
	v_mul_hi_u32 v8, s2, v6
	v_mul_lo_u32 v10, s17, v6
	v_mul_lo_u32 v9, s2, v7
	s_delay_alu instid0(VALU_DEP_1) | instskip(SKIP_1) | instid1(VALU_DEP_2)
	v_add_nc_u32_e32 v8, v8, v9
	v_mul_lo_u32 v9, s2, v6
	v_add_nc_u32_e32 v8, v8, v10
	s_delay_alu instid0(VALU_DEP_2) | instskip(NEXT) | instid1(VALU_DEP_2)
	v_mul_hi_u32 v10, v6, v9
	v_mul_lo_u32 v11, v6, v8
	v_mul_hi_u32 v12, v6, v8
	v_mul_hi_u32 v14, v7, v9
	v_mul_lo_u32 v9, v7, v9
	v_mul_hi_u32 v15, v7, v8
	v_mul_lo_u32 v8, v7, v8
	v_add_co_u32 v10, vcc_lo, v10, v11
	v_add_co_ci_u32_e32 v11, vcc_lo, 0, v12, vcc_lo
	s_delay_alu instid0(VALU_DEP_2) | instskip(NEXT) | instid1(VALU_DEP_2)
	v_add_co_u32 v9, vcc_lo, v10, v9
	v_add_co_ci_u32_e32 v9, vcc_lo, v11, v14, vcc_lo
	v_add_co_ci_u32_e32 v10, vcc_lo, 0, v15, vcc_lo
	v_add_co_u32 v11, vcc_lo, v2, v13
	v_add_co_ci_u32_e32 v12, vcc_lo, v3, v13, vcc_lo
	s_delay_alu instid0(VALU_DEP_4) | instskip(NEXT) | instid1(VALU_DEP_4)
	v_add_co_u32 v8, vcc_lo, v9, v8
	v_add_co_ci_u32_e32 v9, vcc_lo, 0, v10, vcc_lo
	s_delay_alu instid0(VALU_DEP_4) | instskip(NEXT) | instid1(VALU_DEP_3)
	v_xor_b32_e32 v14, v11, v13
	v_add_co_u32 v10, vcc_lo, v6, v8
	s_delay_alu instid0(VALU_DEP_3) | instskip(SKIP_1) | instid1(VALU_DEP_3)
	v_add_co_ci_u32_e32 v15, vcc_lo, v7, v9, vcc_lo
	v_xor_b32_e32 v12, v12, v13
	v_mul_hi_u32 v16, v14, v10
	s_delay_alu instid0(VALU_DEP_3) | instskip(NEXT) | instid1(VALU_DEP_3)
	v_mad_u64_u32 v[6:7], null, v14, v15, 0
	v_mad_u64_u32 v[8:9], null, v12, v10, 0
	;; [unrolled: 1-line block ×3, first 2 shown]
	s_delay_alu instid0(VALU_DEP_3) | instskip(NEXT) | instid1(VALU_DEP_4)
	v_add_co_u32 v6, vcc_lo, v16, v6
	v_add_co_ci_u32_e32 v7, vcc_lo, 0, v7, vcc_lo
	s_delay_alu instid0(VALU_DEP_2) | instskip(NEXT) | instid1(VALU_DEP_2)
	v_add_co_u32 v6, vcc_lo, v6, v8
	v_add_co_ci_u32_e32 v6, vcc_lo, v7, v9, vcc_lo
	v_add_co_ci_u32_e32 v7, vcc_lo, 0, v11, vcc_lo
	s_delay_alu instid0(VALU_DEP_2) | instskip(NEXT) | instid1(VALU_DEP_2)
	v_add_co_u32 v8, vcc_lo, v6, v10
	v_add_co_ci_u32_e32 v9, vcc_lo, 0, v7, vcc_lo
	s_delay_alu instid0(VALU_DEP_2) | instskip(SKIP_1) | instid1(VALU_DEP_3)
	v_mul_lo_u32 v10, s19, v8
	v_mad_u64_u32 v[6:7], null, s18, v8, 0
	v_mul_lo_u32 v11, s18, v9
	s_delay_alu instid0(VALU_DEP_2) | instskip(NEXT) | instid1(VALU_DEP_2)
	v_sub_co_u32 v6, vcc_lo, v14, v6
	v_add3_u32 v7, v7, v11, v10
	s_delay_alu instid0(VALU_DEP_1) | instskip(NEXT) | instid1(VALU_DEP_1)
	v_sub_nc_u32_e32 v10, v12, v7
	v_subrev_co_ci_u32_e64 v10, s2, s19, v10, vcc_lo
	v_add_co_u32 v11, s2, v8, 2
	s_delay_alu instid0(VALU_DEP_1) | instskip(SKIP_3) | instid1(VALU_DEP_3)
	v_add_co_ci_u32_e64 v14, s2, 0, v9, s2
	v_sub_co_u32 v15, s2, v6, s18
	v_sub_co_ci_u32_e32 v7, vcc_lo, v12, v7, vcc_lo
	v_subrev_co_ci_u32_e64 v10, s2, 0, v10, s2
	v_cmp_le_u32_e32 vcc_lo, s18, v15
	s_delay_alu instid0(VALU_DEP_3) | instskip(SKIP_1) | instid1(VALU_DEP_4)
	v_cmp_eq_u32_e64 s2, s19, v7
	v_cndmask_b32_e64 v12, 0, -1, vcc_lo
	v_cmp_le_u32_e32 vcc_lo, s19, v10
	v_cndmask_b32_e64 v15, 0, -1, vcc_lo
	v_cmp_le_u32_e32 vcc_lo, s18, v6
	;; [unrolled: 2-line block ×3, first 2 shown]
	v_cndmask_b32_e64 v16, 0, -1, vcc_lo
	v_cmp_eq_u32_e32 vcc_lo, s19, v10
	s_delay_alu instid0(VALU_DEP_2) | instskip(SKIP_3) | instid1(VALU_DEP_3)
	v_cndmask_b32_e64 v6, v16, v6, s2
	v_cndmask_b32_e32 v10, v15, v12, vcc_lo
	v_add_co_u32 v12, vcc_lo, v8, 1
	v_add_co_ci_u32_e32 v15, vcc_lo, 0, v9, vcc_lo
	v_cmp_ne_u32_e32 vcc_lo, 0, v10
	s_delay_alu instid0(VALU_DEP_2) | instskip(SKIP_2) | instid1(VALU_DEP_3)
	v_dual_cndmask_b32 v7, v15, v14 :: v_dual_cndmask_b32 v10, v12, v11
	v_cmp_ne_u32_e32 vcc_lo, 0, v6
	v_xor_b32_e32 v11, s16, v13
	v_dual_cndmask_b32 v6, v9, v7 :: v_dual_cndmask_b32 v7, v8, v10
	s_delay_alu instid0(VALU_DEP_1) | instskip(NEXT) | instid1(VALU_DEP_2)
	v_xor_b32_e32 v8, v6, v11
	v_xor_b32_e32 v7, v7, v11
	s_delay_alu instid0(VALU_DEP_1) | instskip(NEXT) | instid1(VALU_DEP_3)
	v_sub_co_u32 v6, vcc_lo, v7, v11
	v_sub_co_ci_u32_e32 v7, vcc_lo, v8, v11, vcc_lo
.LBB59_11:
	s_or_saveexec_b32 s2, s21
	s_load_b512 s[16:31], s[0:1], 0x18
	s_xor_b32 exec_lo, exec_lo, s2
	s_cbranch_execz .LBB59_13
; %bb.12:
	v_cvt_f32_u32_e32 v6, s3
	s_sub_i32 s33, 0, s3
	s_delay_alu instid0(VALU_DEP_1) | instskip(SKIP_2) | instid1(VALU_DEP_1)
	v_rcp_iflag_f32_e32 v6, v6
	s_waitcnt_depctr 0xfff
	v_mul_f32_e32 v6, 0x4f7ffffe, v6
	v_cvt_u32_f32_e32 v6, v6
	s_delay_alu instid0(VALU_DEP_1) | instskip(NEXT) | instid1(VALU_DEP_1)
	v_mul_lo_u32 v7, s33, v6
	v_mul_hi_u32 v7, v6, v7
	s_delay_alu instid0(VALU_DEP_1) | instskip(NEXT) | instid1(VALU_DEP_1)
	v_add_nc_u32_e32 v6, v6, v7
	v_mul_hi_u32 v6, v2, v6
	s_delay_alu instid0(VALU_DEP_1) | instskip(SKIP_1) | instid1(VALU_DEP_2)
	v_mul_lo_u32 v7, v6, s3
	v_add_nc_u32_e32 v8, 1, v6
	v_sub_nc_u32_e32 v7, v2, v7
	s_delay_alu instid0(VALU_DEP_1) | instskip(SKIP_1) | instid1(VALU_DEP_2)
	v_subrev_nc_u32_e32 v9, s3, v7
	v_cmp_le_u32_e32 vcc_lo, s3, v7
	v_dual_cndmask_b32 v7, v7, v9 :: v_dual_cndmask_b32 v6, v6, v8
	s_delay_alu instid0(VALU_DEP_1) | instskip(NEXT) | instid1(VALU_DEP_2)
	v_cmp_le_u32_e32 vcc_lo, s3, v7
	v_dual_mov_b32 v7, 0 :: v_dual_add_nc_u32 v8, 1, v6
	s_delay_alu instid0(VALU_DEP_1)
	v_cndmask_b32_e32 v6, v6, v8, vcc_lo
.LBB59_13:
	s_or_b32 exec_lo, exec_lo, s2
	s_load_b256 s[36:43], s[0:1], 0xb0
	v_mul_lo_u32 v5, v5, s34
	v_mul_lo_u32 v10, v4, s35
	v_mad_u64_u32 v[8:9], null, v4, s34, 0
	s_load_b64 s[0:1], s[0:1], 0xd0
	s_delay_alu instid0(VALU_DEP_1) | instskip(NEXT) | instid1(VALU_DEP_2)
	v_add3_u32 v4, v9, v10, v5
	v_sub_co_u32 v10, vcc_lo, v2, v8
	s_delay_alu instid0(VALU_DEP_2)
	v_sub_co_ci_u32_e32 v11, vcc_lo, v3, v4, vcc_lo
	s_waitcnt lgkmcnt(0)
	s_sub_u32 s2, 0, s36
	s_subb_u32 s3, 0, s37
	s_sub_u32 s34, 0, s38
	v_cmp_gt_i64_e64 s50, s[2:3], 0
	s_subb_u32 s35, 0, s39
	v_cmp_gt_i64_e64 s33, s[36:37], 0
	s_sub_u32 s48, 0, s40
	s_subb_u32 s49, 0, s41
	v_cmp_gt_i64_e64 s54, s[34:35], 0
	v_cmp_gt_i64_e64 s52, s[38:39], 0
	;; [unrolled: 1-line block ×4, first 2 shown]
	s_and_b32 s50, s50, exec_lo
	s_cselect_b32 s56, s3, 0
	s_cselect_b32 s57, s2, 0
	s_and_b32 s2, s33, exec_lo
	s_cselect_b32 s51, s37, 0
	s_cselect_b32 s50, s36, 0
	;; [unrolled: 3-line block ×5, first 2 shown]
	s_and_b32 s2, s53, exec_lo
	v_sub_co_u32 v2, vcc_lo, v10, s36
	s_cselect_b32 s3, s41, 0
	s_cselect_b32 s2, s40, 0
	s_add_u32 s48, s20, s36
	v_subrev_co_ci_u32_e32 v3, vcc_lo, s37, v11, vcc_lo
	s_addc_u32 s49, s21, s37
	v_sub_co_u32 v4, vcc_lo, v10, s48
	v_subrev_co_ci_u32_e32 v5, vcc_lo, s49, v11, vcc_lo
	s_delay_alu instid0(VALU_DEP_3) | instskip(NEXT) | instid1(VALU_DEP_3)
	v_ashrrev_i32_e32 v8, 31, v3
	v_add_co_u32 v4, vcc_lo, v4, 1
	s_delay_alu instid0(VALU_DEP_3) | instskip(NEXT) | instid1(VALU_DEP_3)
	v_add_co_ci_u32_e32 v5, vcc_lo, 0, v5, vcc_lo
	v_xor_b32_e32 v2, v2, v8
	v_xor_b32_e32 v3, v3, v8
	s_lshl_b64 s[36:37], s[36:37], 1
	s_delay_alu instid0(VALU_DEP_3) | instskip(SKIP_3) | instid1(VALU_DEP_3)
	v_ashrrev_i32_e32 v9, 31, v5
	s_not_b64 s[48:49], s[50:51]
	v_sub_co_u32 v2, vcc_lo, v2, v8
	v_sub_co_ci_u32_e32 v3, vcc_lo, v3, v8, vcc_lo
	v_xor_b32_e32 v4, v4, v9
	v_xor_b32_e32 v5, v5, v9
	s_add_u32 s36, s36, s48
	s_addc_u32 s37, s37, s49
	s_add_u32 s36, s36, s57
	v_sub_co_u32 v4, vcc_lo, v4, v9
	v_sub_co_ci_u32_e32 v5, vcc_lo, v5, v9, vcc_lo
	s_addc_u32 s37, s37, s56
	s_delay_alu instid0(VALU_DEP_2) | instskip(NEXT) | instid1(VALU_DEP_2)
	v_add_co_u32 v4, vcc_lo, v10, v4
	v_add_co_ci_u32_e32 v5, vcc_lo, v11, v5, vcc_lo
	v_sub_co_u32 v8, vcc_lo, v0, s38
	s_add_u32 s20, s36, s20
	v_subrev_co_ci_u32_e32 v9, vcc_lo, s39, v1, vcc_lo
	s_addc_u32 s21, s37, s21
	v_sub_co_u32 v4, vcc_lo, s20, v4
	s_add_u32 s20, s18, s38
	v_sub_co_ci_u32_e32 v5, vcc_lo, s21, v5, vcc_lo
	s_addc_u32 s21, s19, s39
	v_sub_co_u32 v13, vcc_lo, v0, s20
	v_subrev_co_ci_u32_e32 v14, vcc_lo, s21, v1, vcc_lo
	v_ashrrev_i32_e32 v12, 31, v9
	s_delay_alu instid0(VALU_DEP_3) | instskip(NEXT) | instid1(VALU_DEP_3)
	v_add_co_u32 v13, vcc_lo, v13, 1
	v_add_co_ci_u32_e32 v14, vcc_lo, 0, v14, vcc_lo
	v_add_co_u32 v15, vcc_lo, v4, v2
	v_add_co_ci_u32_e32 v16, vcc_lo, v5, v3, vcc_lo
	s_delay_alu instid0(VALU_DEP_3)
	v_ashrrev_i32_e32 v3, 31, v14
	v_xor_b32_e32 v8, v8, v12
	v_xor_b32_e32 v2, v9, v12
	s_lshl_b64 s[20:21], s[38:39], 1
	s_not_b64 s[34:35], s[34:35]
	v_xor_b32_e32 v5, v13, v3
	v_sub_co_u32 v4, vcc_lo, v8, v12
	v_xor_b32_e32 v8, v14, v3
	v_sub_co_ci_u32_e32 v2, vcc_lo, v2, v12, vcc_lo
	s_delay_alu instid0(VALU_DEP_4) | instskip(NEXT) | instid1(VALU_DEP_3)
	v_sub_co_u32 v5, vcc_lo, v5, v3
	v_sub_co_ci_u32_e32 v3, vcc_lo, v8, v3, vcc_lo
	s_add_u32 s20, s20, s34
	s_delay_alu instid0(VALU_DEP_2)
	v_add_co_u32 v5, vcc_lo, v0, v5
	s_addc_u32 s21, s21, s35
	s_add_u32 s20, s20, s54
	v_add_co_ci_u32_e32 v3, vcc_lo, v1, v3, vcc_lo
	s_addc_u32 s21, s21, s33
	v_sub_co_u32 v8, vcc_lo, v6, s40
	s_add_u32 s18, s20, s18
	v_subrev_co_ci_u32_e32 v9, vcc_lo, s41, v7, vcc_lo
	s_addc_u32 s19, s21, s19
	v_sub_co_u32 v5, vcc_lo, s18, v5
	s_add_u32 s18, s16, s40
	v_sub_co_ci_u32_e32 v3, vcc_lo, s19, v3, vcc_lo
	s_addc_u32 s19, s17, s41
	v_sub_co_u32 v13, vcc_lo, v6, s18
	v_subrev_co_ci_u32_e32 v14, vcc_lo, s19, v7, vcc_lo
	v_ashrrev_i32_e32 v12, 31, v9
	s_delay_alu instid0(VALU_DEP_3) | instskip(NEXT) | instid1(VALU_DEP_3)
	v_add_co_u32 v13, vcc_lo, v13, 1
	v_add_co_ci_u32_e32 v14, vcc_lo, 0, v14, vcc_lo
	v_add_co_u32 v17, vcc_lo, v5, v4
	s_delay_alu instid0(VALU_DEP_4) | instskip(SKIP_1) | instid1(VALU_DEP_4)
	v_xor_b32_e32 v8, v8, v12
	v_add_co_ci_u32_e32 v4, vcc_lo, v3, v2, vcc_lo
	v_ashrrev_i32_e32 v3, 31, v14
	v_xor_b32_e32 v2, v9, v12
	s_delay_alu instid0(VALU_DEP_4) | instskip(SKIP_1) | instid1(VALU_DEP_3)
	v_sub_co_u32 v5, vcc_lo, v8, v12
	s_lshl_b64 s[18:19], s[40:41], 1
	v_xor_b32_e32 v8, v13, v3
	v_xor_b32_e32 v9, v14, v3
	v_sub_co_ci_u32_e32 v2, vcc_lo, v2, v12, vcc_lo
	s_not_b64 s[2:3], s[2:3]
	s_delay_alu instid0(VALU_DEP_3) | instskip(NEXT) | instid1(VALU_DEP_3)
	v_sub_co_u32 v8, vcc_lo, v8, v3
	v_sub_co_ci_u32_e32 v3, vcc_lo, v9, v3, vcc_lo
	s_add_u32 s2, s18, s2
	s_addc_u32 s3, s19, s3
	s_delay_alu instid0(VALU_DEP_2)
	v_add_co_u32 v8, vcc_lo, v6, v8
	s_add_u32 s2, s2, s55
	s_addc_u32 s3, s3, s52
	v_add_co_ci_u32_e32 v3, vcc_lo, v7, v3, vcc_lo
	s_add_u32 s2, s2, s16
	s_addc_u32 s3, s3, s17
	v_sub_co_u32 v8, vcc_lo, s2, v8
	s_delay_alu instid0(VALU_DEP_2) | instskip(SKIP_1) | instid1(VALU_DEP_2)
	v_sub_co_ci_u32_e32 v3, vcc_lo, s3, v3, vcc_lo
	s_add_u32 s14, s14, s42
	v_add_co_u32 v5, vcc_lo, v8, v5
	s_delay_alu instid0(VALU_DEP_2)
	v_add_co_ci_u32_e32 v2, vcc_lo, v3, v2, vcc_lo
	s_addc_u32 s16, 0, s43
	s_add_u32 s15, s15, s0
	s_addc_u32 s17, 0, s1
	s_mul_hi_u32 s1, s22, s15
	s_mul_i32 s0, s22, s17
	v_mul_lo_u32 v8, v2, s26
	v_mul_lo_u32 v9, v5, s27
	v_mad_u64_u32 v[2:3], null, v5, s26, 0
	s_add_i32 s0, s1, s0
	s_mul_i32 s1, s23, s15
	v_mul_lo_u32 v12, v4, s28
	s_add_i32 s1, s0, s1
	s_mul_i32 s0, s22, s15
	v_mul_lo_u32 v13, v17, s29
	v_mad_u64_u32 v[4:5], null, v17, s28, 0
	s_lshl_b64 s[0:1], s[0:1], 2
	v_add3_u32 v3, v3, v9, v8
	s_add_u32 s2, s46, s0
	s_addc_u32 s3, s47, s1
	s_mul_i32 s0, s24, s16
	s_mul_hi_u32 s1, s24, s14
	v_mul_lo_u32 v14, v16, s30
	v_mul_lo_u32 v16, v15, s31
	v_mad_u64_u32 v[8:9], null, v15, s30, 0
	s_add_i32 s0, s1, s0
	s_mul_i32 s1, s25, s14
	v_add3_u32 v5, v5, v13, v12
	s_add_i32 s1, s0, s1
	s_mul_i32 s0, s24, s14
	v_lshlrev_b64 v[2:3], 2, v[2:3]
	s_lshl_b64 s[0:1], s[0:1], 2
	v_lshlrev_b64 v[4:5], 2, v[4:5]
	s_add_u32 s0, s2, s0
	v_add3_u32 v9, v9, v16, v14
	s_addc_u32 s1, s3, s1
	v_add_co_u32 v12, vcc_lo, s0, v2
	v_add_co_ci_u32_e32 v13, vcc_lo, s1, v3, vcc_lo
	s_delay_alu instid0(VALU_DEP_3) | instskip(NEXT) | instid1(VALU_DEP_3)
	v_lshlrev_b64 v[2:3], 2, v[8:9]
	v_add_co_u32 v4, vcc_lo, v12, v4
	s_delay_alu instid0(VALU_DEP_3) | instskip(SKIP_1) | instid1(VALU_DEP_2)
	v_add_co_ci_u32_e32 v5, vcc_lo, v13, v5, vcc_lo
	s_mul_i32 s0, s4, s17
	v_add_co_u32 v2, vcc_lo, v4, v2
	s_delay_alu instid0(VALU_DEP_2)
	v_add_co_ci_u32_e32 v3, vcc_lo, v5, v3, vcc_lo
	s_mul_hi_u32 s1, s4, s15
	v_mul_lo_u32 v7, v7, s8
	v_mul_lo_u32 v9, v6, s9
	global_load_b32 v8, v[2:3], off
	v_mad_u64_u32 v[2:3], null, v6, s8, 0
	s_add_i32 s0, s1, s0
	s_mul_i32 s1, s5, s15
	v_mul_lo_u32 v6, v1, s10
	s_add_i32 s1, s0, s1
	s_mul_i32 s0, s4, s15
	v_mul_lo_u32 v12, v0, s11
	v_mad_u64_u32 v[4:5], null, v0, s10, 0
	s_lshl_b64 s[0:1], s[0:1], 2
	v_add3_u32 v3, v3, v9, v7
	s_add_u32 s2, s44, s0
	s_addc_u32 s3, s45, s1
	s_mul_i32 s0, s6, s16
	s_mul_hi_u32 s1, s6, s14
	v_mul_lo_u32 v7, v11, s12
	v_mul_lo_u32 v9, v10, s13
	v_mad_u64_u32 v[0:1], null, v10, s12, 0
	s_add_i32 s0, s1, s0
	s_mul_i32 s1, s7, s14
	v_add3_u32 v5, v5, v12, v6
	s_add_i32 s1, s0, s1
	s_mul_i32 s0, s6, s14
	v_lshlrev_b64 v[2:3], 2, v[2:3]
	s_lshl_b64 s[0:1], s[0:1], 2
	v_lshlrev_b64 v[4:5], 2, v[4:5]
	s_add_u32 s0, s2, s0
	v_add3_u32 v1, v1, v9, v7
	s_addc_u32 s1, s3, s1
	v_add_co_u32 v2, vcc_lo, s0, v2
	v_add_co_ci_u32_e32 v3, vcc_lo, s1, v3, vcc_lo
	s_delay_alu instid0(VALU_DEP_3) | instskip(NEXT) | instid1(VALU_DEP_3)
	v_lshlrev_b64 v[0:1], 2, v[0:1]
	v_add_co_u32 v2, vcc_lo, v2, v4
	s_delay_alu instid0(VALU_DEP_3) | instskip(NEXT) | instid1(VALU_DEP_2)
	v_add_co_ci_u32_e32 v3, vcc_lo, v3, v5, vcc_lo
	v_add_co_u32 v0, vcc_lo, v2, v0
	s_delay_alu instid0(VALU_DEP_2)
	v_add_co_ci_u32_e32 v1, vcc_lo, v3, v1, vcc_lo
	s_waitcnt vmcnt(0)
	global_store_b32 v[0:1], v8, off
.LBB59_14:
	s_nop 0
	s_sendmsg sendmsg(MSG_DEALLOC_VGPRS)
	s_endpgm
	.section	.rodata,"a",@progbits
	.p2align	6, 0x0
	.amdhsa_kernel _ZN2at6native12_GLOBAL__N_127reflection_pad3d_out_kernelIiEEvN5torch10headeronly6detail27GenericPackedTensorAccessorINS5_14TensorAccessorIN3c108ArrayRefIlEEKT_Lm4ENS4_16DefaultPtrTraitsElEENS_6detail16IndexBoundsCheckILm5ElEESC_Lm5ESD_lEENS6_INS7_ISA_SB_Lm4ESD_lEESH_SB_Lm5ESD_lEElllll
		.amdhsa_group_segment_fixed_size 0
		.amdhsa_private_segment_fixed_size 0
		.amdhsa_kernarg_size 472
		.amdhsa_user_sgpr_count 13
		.amdhsa_user_sgpr_dispatch_ptr 0
		.amdhsa_user_sgpr_queue_ptr 0
		.amdhsa_user_sgpr_kernarg_segment_ptr 1
		.amdhsa_user_sgpr_dispatch_id 0
		.amdhsa_user_sgpr_private_segment_size 0
		.amdhsa_wavefront_size32 1
		.amdhsa_uses_dynamic_stack 0
		.amdhsa_enable_private_segment 0
		.amdhsa_system_sgpr_workgroup_id_x 1
		.amdhsa_system_sgpr_workgroup_id_y 1
		.amdhsa_system_sgpr_workgroup_id_z 1
		.amdhsa_system_sgpr_workgroup_info 0
		.amdhsa_system_vgpr_workitem_id 0
		.amdhsa_next_free_vgpr 18
		.amdhsa_next_free_sgpr 58
		.amdhsa_reserve_vcc 1
		.amdhsa_float_round_mode_32 0
		.amdhsa_float_round_mode_16_64 0
		.amdhsa_float_denorm_mode_32 3
		.amdhsa_float_denorm_mode_16_64 3
		.amdhsa_dx10_clamp 1
		.amdhsa_ieee_mode 1
		.amdhsa_fp16_overflow 0
		.amdhsa_workgroup_processor_mode 1
		.amdhsa_memory_ordered 1
		.amdhsa_forward_progress 0
		.amdhsa_shared_vgpr_count 0
		.amdhsa_exception_fp_ieee_invalid_op 0
		.amdhsa_exception_fp_denorm_src 0
		.amdhsa_exception_fp_ieee_div_zero 0
		.amdhsa_exception_fp_ieee_overflow 0
		.amdhsa_exception_fp_ieee_underflow 0
		.amdhsa_exception_fp_ieee_inexact 0
		.amdhsa_exception_int_div_zero 0
	.end_amdhsa_kernel
	.section	.text._ZN2at6native12_GLOBAL__N_127reflection_pad3d_out_kernelIiEEvN5torch10headeronly6detail27GenericPackedTensorAccessorINS5_14TensorAccessorIN3c108ArrayRefIlEEKT_Lm4ENS4_16DefaultPtrTraitsElEENS_6detail16IndexBoundsCheckILm5ElEESC_Lm5ESD_lEENS6_INS7_ISA_SB_Lm4ESD_lEESH_SB_Lm5ESD_lEElllll,"axG",@progbits,_ZN2at6native12_GLOBAL__N_127reflection_pad3d_out_kernelIiEEvN5torch10headeronly6detail27GenericPackedTensorAccessorINS5_14TensorAccessorIN3c108ArrayRefIlEEKT_Lm4ENS4_16DefaultPtrTraitsElEENS_6detail16IndexBoundsCheckILm5ElEESC_Lm5ESD_lEENS6_INS7_ISA_SB_Lm4ESD_lEESH_SB_Lm5ESD_lEElllll,comdat
.Lfunc_end59:
	.size	_ZN2at6native12_GLOBAL__N_127reflection_pad3d_out_kernelIiEEvN5torch10headeronly6detail27GenericPackedTensorAccessorINS5_14TensorAccessorIN3c108ArrayRefIlEEKT_Lm4ENS4_16DefaultPtrTraitsElEENS_6detail16IndexBoundsCheckILm5ElEESC_Lm5ESD_lEENS6_INS7_ISA_SB_Lm4ESD_lEESH_SB_Lm5ESD_lEElllll, .Lfunc_end59-_ZN2at6native12_GLOBAL__N_127reflection_pad3d_out_kernelIiEEvN5torch10headeronly6detail27GenericPackedTensorAccessorINS5_14TensorAccessorIN3c108ArrayRefIlEEKT_Lm4ENS4_16DefaultPtrTraitsElEENS_6detail16IndexBoundsCheckILm5ElEESC_Lm5ESD_lEENS6_INS7_ISA_SB_Lm4ESD_lEESH_SB_Lm5ESD_lEElllll
                                        ; -- End function
	.section	.AMDGPU.csdata,"",@progbits
; Kernel info:
; codeLenInByte = 4444
; NumSgprs: 60
; NumVgprs: 18
; ScratchSize: 0
; MemoryBound: 0
; FloatMode: 240
; IeeeMode: 1
; LDSByteSize: 0 bytes/workgroup (compile time only)
; SGPRBlocks: 7
; VGPRBlocks: 2
; NumSGPRsForWavesPerEU: 60
; NumVGPRsForWavesPerEU: 18
; Occupancy: 16
; WaveLimiterHint : 0
; COMPUTE_PGM_RSRC2:SCRATCH_EN: 0
; COMPUTE_PGM_RSRC2:USER_SGPR: 13
; COMPUTE_PGM_RSRC2:TRAP_HANDLER: 0
; COMPUTE_PGM_RSRC2:TGID_X_EN: 1
; COMPUTE_PGM_RSRC2:TGID_Y_EN: 1
; COMPUTE_PGM_RSRC2:TGID_Z_EN: 1
; COMPUTE_PGM_RSRC2:TIDIG_COMP_CNT: 0
	.section	.text._ZN2at6native12_GLOBAL__N_127reflection_pad3d_out_kernelIlEEvN5torch10headeronly6detail27GenericPackedTensorAccessorINS5_14TensorAccessorIN3c108ArrayRefIlEEKT_Lm4ENS4_16DefaultPtrTraitsElEENS_6detail16IndexBoundsCheckILm5ElEESC_Lm5ESD_lEENS6_INS7_ISA_SB_Lm4ESD_lEESH_SB_Lm5ESD_lEElllll,"axG",@progbits,_ZN2at6native12_GLOBAL__N_127reflection_pad3d_out_kernelIlEEvN5torch10headeronly6detail27GenericPackedTensorAccessorINS5_14TensorAccessorIN3c108ArrayRefIlEEKT_Lm4ENS4_16DefaultPtrTraitsElEENS_6detail16IndexBoundsCheckILm5ElEESC_Lm5ESD_lEENS6_INS7_ISA_SB_Lm4ESD_lEESH_SB_Lm5ESD_lEElllll,comdat
	.globl	_ZN2at6native12_GLOBAL__N_127reflection_pad3d_out_kernelIlEEvN5torch10headeronly6detail27GenericPackedTensorAccessorINS5_14TensorAccessorIN3c108ArrayRefIlEEKT_Lm4ENS4_16DefaultPtrTraitsElEENS_6detail16IndexBoundsCheckILm5ElEESC_Lm5ESD_lEENS6_INS7_ISA_SB_Lm4ESD_lEESH_SB_Lm5ESD_lEElllll ; -- Begin function _ZN2at6native12_GLOBAL__N_127reflection_pad3d_out_kernelIlEEvN5torch10headeronly6detail27GenericPackedTensorAccessorINS5_14TensorAccessorIN3c108ArrayRefIlEEKT_Lm4ENS4_16DefaultPtrTraitsElEENS_6detail16IndexBoundsCheckILm5ElEESC_Lm5ESD_lEENS6_INS7_ISA_SB_Lm4ESD_lEESH_SB_Lm5ESD_lEElllll
	.p2align	8
	.type	_ZN2at6native12_GLOBAL__N_127reflection_pad3d_out_kernelIlEEvN5torch10headeronly6detail27GenericPackedTensorAccessorINS5_14TensorAccessorIN3c108ArrayRefIlEEKT_Lm4ENS4_16DefaultPtrTraitsElEENS_6detail16IndexBoundsCheckILm5ElEESC_Lm5ESD_lEENS6_INS7_ISA_SB_Lm4ESD_lEESH_SB_Lm5ESD_lEElllll,@function
_ZN2at6native12_GLOBAL__N_127reflection_pad3d_out_kernelIlEEvN5torch10headeronly6detail27GenericPackedTensorAccessorINS5_14TensorAccessorIN3c108ArrayRefIlEEKT_Lm4ENS4_16DefaultPtrTraitsElEENS_6detail16IndexBoundsCheckILm5ElEESC_Lm5ESD_lEENS6_INS7_ISA_SB_Lm4ESD_lEESH_SB_Lm5ESD_lEElllll: ; @_ZN2at6native12_GLOBAL__N_127reflection_pad3d_out_kernelIlEEvN5torch10headeronly6detail27GenericPackedTensorAccessorINS5_14TensorAccessorIN3c108ArrayRefIlEEKT_Lm4ENS4_16DefaultPtrTraitsElEENS_6detail16IndexBoundsCheckILm5ElEESC_Lm5ESD_lEENS6_INS7_ISA_SB_Lm4ESD_lEESH_SB_Lm5ESD_lEElllll
; %bb.0:
	s_clause 0x2
	s_load_b32 s2, s[0:1], 0xe4
	s_load_b128 s[16:19], s[0:1], 0x70
	s_load_b64 s[34:35], s[0:1], 0x80
	v_mov_b32_e32 v4, 0
	s_delay_alu instid0(VALU_DEP_1)
	v_mov_b32_e32 v1, v4
	s_waitcnt lgkmcnt(0)
	s_and_b32 s2, s2, 0xffff
	s_mul_i32 s4, s34, s19
	s_mul_hi_u32 s5, s34, s18
	s_mul_i32 s6, s35, s18
	s_mul_i32 s3, s34, s18
	v_mad_u64_u32 v[2:3], null, s2, s13, v[0:1]
	s_add_i32 s20, s5, s4
	s_mul_i32 s2, s3, s17
	s_mul_hi_u32 s4, s3, s16
	s_add_i32 s20, s20, s6
	s_add_i32 s2, s4, s2
	s_mul_i32 s4, s20, s16
	s_delay_alu instid0(SALU_CYCLE_1)
	s_add_i32 s5, s2, s4
	s_mul_i32 s4, s3, s16
	s_mov_b32 s2, exec_lo
	v_cmpx_gt_i64_e64 s[4:5], v[2:3]
	s_cbranch_execz .LBB60_14
; %bb.1:
	v_or_b32_e32 v5, s35, v3
	s_delay_alu instid0(VALU_DEP_1) | instskip(SKIP_1) | instid1(SALU_CYCLE_1)
	v_cmp_ne_u64_e32 vcc_lo, 0, v[4:5]
                                        ; implicit-def: $vgpr4_vgpr5
	s_and_saveexec_b32 s2, vcc_lo
	s_xor_b32 s8, exec_lo, s2
	s_cbranch_execz .LBB60_3
; %bb.2:
	s_ashr_i32 s4, s35, 31
	s_delay_alu instid0(SALU_CYCLE_1) | instskip(SKIP_2) | instid1(SALU_CYCLE_1)
	s_add_u32 s6, s34, s4
	s_mov_b32 s5, s4
	s_addc_u32 s7, s35, s4
	s_xor_b64 s[6:7], s[6:7], s[4:5]
	s_delay_alu instid0(SALU_CYCLE_1) | instskip(SKIP_3) | instid1(VALU_DEP_1)
	v_cvt_f32_u32_e32 v0, s6
	v_cvt_f32_u32_e32 v1, s7
	s_sub_u32 s2, 0, s6
	s_subb_u32 s5, 0, s7
	v_fmamk_f32 v0, v1, 0x4f800000, v0
	s_delay_alu instid0(VALU_DEP_1) | instskip(SKIP_2) | instid1(VALU_DEP_1)
	v_rcp_f32_e32 v0, v0
	s_waitcnt_depctr 0xfff
	v_mul_f32_e32 v0, 0x5f7ffffc, v0
	v_mul_f32_e32 v1, 0x2f800000, v0
	s_delay_alu instid0(VALU_DEP_1) | instskip(NEXT) | instid1(VALU_DEP_1)
	v_trunc_f32_e32 v1, v1
	v_fmamk_f32 v0, v1, 0xcf800000, v0
	v_cvt_u32_f32_e32 v1, v1
	s_delay_alu instid0(VALU_DEP_2) | instskip(NEXT) | instid1(VALU_DEP_2)
	v_cvt_u32_f32_e32 v0, v0
	v_mul_lo_u32 v4, s2, v1
	s_delay_alu instid0(VALU_DEP_2) | instskip(SKIP_1) | instid1(VALU_DEP_2)
	v_mul_hi_u32 v5, s2, v0
	v_mul_lo_u32 v6, s5, v0
	v_add_nc_u32_e32 v4, v5, v4
	v_mul_lo_u32 v5, s2, v0
	s_delay_alu instid0(VALU_DEP_2) | instskip(NEXT) | instid1(VALU_DEP_2)
	v_add_nc_u32_e32 v4, v4, v6
	v_mul_hi_u32 v6, v0, v5
	s_delay_alu instid0(VALU_DEP_2)
	v_mul_lo_u32 v7, v0, v4
	v_mul_hi_u32 v8, v0, v4
	v_mul_hi_u32 v9, v1, v5
	v_mul_lo_u32 v5, v1, v5
	v_mul_hi_u32 v10, v1, v4
	v_mul_lo_u32 v4, v1, v4
	v_add_co_u32 v6, vcc_lo, v6, v7
	v_add_co_ci_u32_e32 v7, vcc_lo, 0, v8, vcc_lo
	s_delay_alu instid0(VALU_DEP_2) | instskip(NEXT) | instid1(VALU_DEP_2)
	v_add_co_u32 v5, vcc_lo, v6, v5
	v_add_co_ci_u32_e32 v5, vcc_lo, v7, v9, vcc_lo
	v_add_co_ci_u32_e32 v6, vcc_lo, 0, v10, vcc_lo
	v_ashrrev_i32_e32 v9, 31, v3
	s_delay_alu instid0(VALU_DEP_3) | instskip(NEXT) | instid1(VALU_DEP_3)
	v_add_co_u32 v4, vcc_lo, v5, v4
	v_add_co_ci_u32_e32 v5, vcc_lo, 0, v6, vcc_lo
	s_delay_alu instid0(VALU_DEP_2) | instskip(NEXT) | instid1(VALU_DEP_2)
	v_add_co_u32 v0, vcc_lo, v0, v4
	v_add_co_ci_u32_e32 v1, vcc_lo, v1, v5, vcc_lo
	s_delay_alu instid0(VALU_DEP_2) | instskip(SKIP_1) | instid1(VALU_DEP_3)
	v_mul_hi_u32 v4, s2, v0
	v_mul_lo_u32 v6, s5, v0
	v_mul_lo_u32 v5, s2, v1
	s_delay_alu instid0(VALU_DEP_1) | instskip(SKIP_1) | instid1(VALU_DEP_2)
	v_add_nc_u32_e32 v4, v4, v5
	v_mul_lo_u32 v5, s2, v0
	v_add_nc_u32_e32 v4, v4, v6
	s_delay_alu instid0(VALU_DEP_2) | instskip(NEXT) | instid1(VALU_DEP_2)
	v_mul_hi_u32 v6, v0, v5
	v_mul_lo_u32 v7, v0, v4
	v_mul_hi_u32 v8, v0, v4
	v_mul_hi_u32 v10, v1, v5
	v_mul_lo_u32 v5, v1, v5
	v_mul_hi_u32 v11, v1, v4
	v_mul_lo_u32 v4, v1, v4
	v_add_co_u32 v6, vcc_lo, v6, v7
	v_add_co_ci_u32_e32 v7, vcc_lo, 0, v8, vcc_lo
	s_delay_alu instid0(VALU_DEP_2) | instskip(NEXT) | instid1(VALU_DEP_2)
	v_add_co_u32 v5, vcc_lo, v6, v5
	v_add_co_ci_u32_e32 v5, vcc_lo, v7, v10, vcc_lo
	v_add_co_ci_u32_e32 v6, vcc_lo, 0, v11, vcc_lo
	v_add_co_u32 v7, vcc_lo, v2, v9
	v_add_co_ci_u32_e32 v8, vcc_lo, v3, v9, vcc_lo
	s_delay_alu instid0(VALU_DEP_4) | instskip(NEXT) | instid1(VALU_DEP_4)
	v_add_co_u32 v4, vcc_lo, v5, v4
	v_add_co_ci_u32_e32 v5, vcc_lo, 0, v6, vcc_lo
	s_delay_alu instid0(VALU_DEP_4) | instskip(NEXT) | instid1(VALU_DEP_3)
	v_xor_b32_e32 v10, v7, v9
	v_add_co_u32 v6, vcc_lo, v0, v4
	s_delay_alu instid0(VALU_DEP_3) | instskip(SKIP_1) | instid1(VALU_DEP_3)
	v_add_co_ci_u32_e32 v11, vcc_lo, v1, v5, vcc_lo
	v_xor_b32_e32 v8, v8, v9
	v_mul_hi_u32 v12, v10, v6
	s_delay_alu instid0(VALU_DEP_3) | instskip(NEXT) | instid1(VALU_DEP_3)
	v_mad_u64_u32 v[0:1], null, v10, v11, 0
	v_mad_u64_u32 v[4:5], null, v8, v6, 0
	;; [unrolled: 1-line block ×3, first 2 shown]
	s_delay_alu instid0(VALU_DEP_3) | instskip(NEXT) | instid1(VALU_DEP_4)
	v_add_co_u32 v0, vcc_lo, v12, v0
	v_add_co_ci_u32_e32 v1, vcc_lo, 0, v1, vcc_lo
	s_delay_alu instid0(VALU_DEP_2) | instskip(NEXT) | instid1(VALU_DEP_2)
	v_add_co_u32 v0, vcc_lo, v0, v4
	v_add_co_ci_u32_e32 v0, vcc_lo, v1, v5, vcc_lo
	v_add_co_ci_u32_e32 v1, vcc_lo, 0, v7, vcc_lo
	s_delay_alu instid0(VALU_DEP_2) | instskip(NEXT) | instid1(VALU_DEP_2)
	v_add_co_u32 v4, vcc_lo, v0, v6
	v_add_co_ci_u32_e32 v5, vcc_lo, 0, v1, vcc_lo
	s_delay_alu instid0(VALU_DEP_2) | instskip(SKIP_1) | instid1(VALU_DEP_3)
	v_mul_lo_u32 v6, s7, v4
	v_mad_u64_u32 v[0:1], null, s6, v4, 0
	v_mul_lo_u32 v7, s6, v5
	s_delay_alu instid0(VALU_DEP_2) | instskip(NEXT) | instid1(VALU_DEP_2)
	v_sub_co_u32 v0, vcc_lo, v10, v0
	v_add3_u32 v1, v1, v7, v6
	s_delay_alu instid0(VALU_DEP_1) | instskip(NEXT) | instid1(VALU_DEP_1)
	v_sub_nc_u32_e32 v6, v8, v1
	v_subrev_co_ci_u32_e64 v6, s2, s7, v6, vcc_lo
	v_add_co_u32 v7, s2, v4, 2
	s_delay_alu instid0(VALU_DEP_1) | instskip(SKIP_3) | instid1(VALU_DEP_3)
	v_add_co_ci_u32_e64 v10, s2, 0, v5, s2
	v_sub_co_u32 v11, s2, v0, s6
	v_sub_co_ci_u32_e32 v1, vcc_lo, v8, v1, vcc_lo
	v_subrev_co_ci_u32_e64 v6, s2, 0, v6, s2
	v_cmp_le_u32_e32 vcc_lo, s6, v11
	s_delay_alu instid0(VALU_DEP_3) | instskip(SKIP_1) | instid1(VALU_DEP_4)
	v_cmp_eq_u32_e64 s2, s7, v1
	v_cndmask_b32_e64 v8, 0, -1, vcc_lo
	v_cmp_le_u32_e32 vcc_lo, s7, v6
	v_cndmask_b32_e64 v11, 0, -1, vcc_lo
	v_cmp_le_u32_e32 vcc_lo, s6, v0
	;; [unrolled: 2-line block ×3, first 2 shown]
	v_cndmask_b32_e64 v12, 0, -1, vcc_lo
	v_cmp_eq_u32_e32 vcc_lo, s7, v6
	s_delay_alu instid0(VALU_DEP_2) | instskip(SKIP_3) | instid1(VALU_DEP_3)
	v_cndmask_b32_e64 v0, v12, v0, s2
	v_cndmask_b32_e32 v6, v11, v8, vcc_lo
	v_add_co_u32 v8, vcc_lo, v4, 1
	v_add_co_ci_u32_e32 v11, vcc_lo, 0, v5, vcc_lo
	v_cmp_ne_u32_e32 vcc_lo, 0, v6
	s_delay_alu instid0(VALU_DEP_2) | instskip(SKIP_2) | instid1(VALU_DEP_3)
	v_dual_cndmask_b32 v1, v11, v10 :: v_dual_cndmask_b32 v6, v8, v7
	v_cmp_ne_u32_e32 vcc_lo, 0, v0
	v_xor_b32_e32 v0, s4, v9
	v_dual_cndmask_b32 v4, v4, v6 :: v_dual_cndmask_b32 v1, v5, v1
	s_delay_alu instid0(VALU_DEP_1) | instskip(NEXT) | instid1(VALU_DEP_2)
	v_xor_b32_e32 v4, v4, v0
	v_xor_b32_e32 v1, v1, v0
	s_delay_alu instid0(VALU_DEP_2) | instskip(NEXT) | instid1(VALU_DEP_2)
	v_sub_co_u32 v4, vcc_lo, v4, v0
	v_sub_co_ci_u32_e32 v5, vcc_lo, v1, v0, vcc_lo
.LBB60_3:
	s_and_not1_saveexec_b32 s2, s8
	s_cbranch_execz .LBB60_5
; %bb.4:
	v_cvt_f32_u32_e32 v0, s34
	s_sub_i32 s4, 0, s34
	s_delay_alu instid0(VALU_DEP_1) | instskip(SKIP_2) | instid1(VALU_DEP_1)
	v_rcp_iflag_f32_e32 v0, v0
	s_waitcnt_depctr 0xfff
	v_mul_f32_e32 v0, 0x4f7ffffe, v0
	v_cvt_u32_f32_e32 v0, v0
	s_delay_alu instid0(VALU_DEP_1) | instskip(NEXT) | instid1(VALU_DEP_1)
	v_mul_lo_u32 v1, s4, v0
	v_mul_hi_u32 v1, v0, v1
	s_delay_alu instid0(VALU_DEP_1) | instskip(NEXT) | instid1(VALU_DEP_1)
	v_add_nc_u32_e32 v0, v0, v1
	v_mul_hi_u32 v0, v2, v0
	s_delay_alu instid0(VALU_DEP_1) | instskip(SKIP_1) | instid1(VALU_DEP_2)
	v_mul_lo_u32 v1, v0, s34
	v_add_nc_u32_e32 v4, 1, v0
	v_sub_nc_u32_e32 v1, v2, v1
	s_delay_alu instid0(VALU_DEP_1) | instskip(SKIP_1) | instid1(VALU_DEP_2)
	v_subrev_nc_u32_e32 v5, s34, v1
	v_cmp_le_u32_e32 vcc_lo, s34, v1
	v_cndmask_b32_e32 v1, v1, v5, vcc_lo
	v_dual_mov_b32 v5, 0 :: v_dual_cndmask_b32 v0, v0, v4
	s_delay_alu instid0(VALU_DEP_2) | instskip(NEXT) | instid1(VALU_DEP_2)
	v_cmp_le_u32_e32 vcc_lo, s34, v1
	v_add_nc_u32_e32 v4, 1, v0
	s_delay_alu instid0(VALU_DEP_1)
	v_cndmask_b32_e32 v4, v0, v4, vcc_lo
.LBB60_5:
	s_or_b32 exec_lo, exec_lo, s2
	s_delay_alu instid0(VALU_DEP_1) | instskip(SKIP_1) | instid1(VALU_DEP_1)
	v_or_b32_e32 v1, s19, v5
	v_mov_b32_e32 v0, 0
	v_cmp_ne_u64_e32 vcc_lo, 0, v[0:1]
                                        ; implicit-def: $vgpr0_vgpr1
	s_and_saveexec_b32 s2, vcc_lo
	s_delay_alu instid0(SALU_CYCLE_1)
	s_xor_b32 s6, exec_lo, s2
	s_cbranch_execz .LBB60_7
; %bb.6:
	s_ashr_i32 s4, s19, 31
	s_delay_alu instid0(SALU_CYCLE_1) | instskip(SKIP_2) | instid1(SALU_CYCLE_1)
	s_add_u32 s8, s18, s4
	s_mov_b32 s5, s4
	s_addc_u32 s9, s19, s4
	s_xor_b64 s[4:5], s[8:9], s[4:5]
	s_delay_alu instid0(SALU_CYCLE_1) | instskip(SKIP_3) | instid1(VALU_DEP_1)
	v_cvt_f32_u32_e32 v0, s4
	v_cvt_f32_u32_e32 v1, s5
	s_sub_u32 s2, 0, s4
	s_subb_u32 s7, 0, s5
	v_fmamk_f32 v0, v1, 0x4f800000, v0
	s_delay_alu instid0(VALU_DEP_1) | instskip(SKIP_2) | instid1(VALU_DEP_1)
	v_rcp_f32_e32 v0, v0
	s_waitcnt_depctr 0xfff
	v_mul_f32_e32 v0, 0x5f7ffffc, v0
	v_mul_f32_e32 v1, 0x2f800000, v0
	s_delay_alu instid0(VALU_DEP_1) | instskip(NEXT) | instid1(VALU_DEP_1)
	v_trunc_f32_e32 v1, v1
	v_fmamk_f32 v0, v1, 0xcf800000, v0
	v_cvt_u32_f32_e32 v1, v1
	s_delay_alu instid0(VALU_DEP_2) | instskip(NEXT) | instid1(VALU_DEP_2)
	v_cvt_u32_f32_e32 v0, v0
	v_mul_lo_u32 v6, s2, v1
	s_delay_alu instid0(VALU_DEP_2) | instskip(SKIP_1) | instid1(VALU_DEP_2)
	v_mul_hi_u32 v7, s2, v0
	v_mul_lo_u32 v8, s7, v0
	v_add_nc_u32_e32 v6, v7, v6
	v_mul_lo_u32 v7, s2, v0
	s_delay_alu instid0(VALU_DEP_2) | instskip(NEXT) | instid1(VALU_DEP_2)
	v_add_nc_u32_e32 v6, v6, v8
	v_mul_hi_u32 v8, v0, v7
	s_delay_alu instid0(VALU_DEP_2)
	v_mul_lo_u32 v9, v0, v6
	v_mul_hi_u32 v10, v0, v6
	v_mul_hi_u32 v11, v1, v7
	v_mul_lo_u32 v7, v1, v7
	v_mul_hi_u32 v12, v1, v6
	v_mul_lo_u32 v6, v1, v6
	v_add_co_u32 v8, vcc_lo, v8, v9
	v_add_co_ci_u32_e32 v9, vcc_lo, 0, v10, vcc_lo
	s_delay_alu instid0(VALU_DEP_2) | instskip(NEXT) | instid1(VALU_DEP_2)
	v_add_co_u32 v7, vcc_lo, v8, v7
	v_add_co_ci_u32_e32 v7, vcc_lo, v9, v11, vcc_lo
	v_add_co_ci_u32_e32 v8, vcc_lo, 0, v12, vcc_lo
	v_ashrrev_i32_e32 v11, 31, v5
	s_delay_alu instid0(VALU_DEP_3) | instskip(NEXT) | instid1(VALU_DEP_3)
	v_add_co_u32 v6, vcc_lo, v7, v6
	v_add_co_ci_u32_e32 v7, vcc_lo, 0, v8, vcc_lo
	s_delay_alu instid0(VALU_DEP_2) | instskip(NEXT) | instid1(VALU_DEP_2)
	v_add_co_u32 v0, vcc_lo, v0, v6
	v_add_co_ci_u32_e32 v1, vcc_lo, v1, v7, vcc_lo
	s_delay_alu instid0(VALU_DEP_2) | instskip(SKIP_1) | instid1(VALU_DEP_3)
	v_mul_hi_u32 v6, s2, v0
	v_mul_lo_u32 v8, s7, v0
	v_mul_lo_u32 v7, s2, v1
	s_delay_alu instid0(VALU_DEP_1) | instskip(SKIP_1) | instid1(VALU_DEP_2)
	v_add_nc_u32_e32 v6, v6, v7
	v_mul_lo_u32 v7, s2, v0
	v_add_nc_u32_e32 v6, v6, v8
	s_delay_alu instid0(VALU_DEP_2) | instskip(NEXT) | instid1(VALU_DEP_2)
	v_mul_hi_u32 v8, v0, v7
	v_mul_lo_u32 v9, v0, v6
	v_mul_hi_u32 v10, v0, v6
	v_mul_hi_u32 v12, v1, v7
	v_mul_lo_u32 v7, v1, v7
	v_mul_hi_u32 v13, v1, v6
	v_mul_lo_u32 v6, v1, v6
	v_add_co_u32 v8, vcc_lo, v8, v9
	v_add_co_ci_u32_e32 v9, vcc_lo, 0, v10, vcc_lo
	s_delay_alu instid0(VALU_DEP_2) | instskip(NEXT) | instid1(VALU_DEP_2)
	v_add_co_u32 v7, vcc_lo, v8, v7
	v_add_co_ci_u32_e32 v7, vcc_lo, v9, v12, vcc_lo
	v_add_co_ci_u32_e32 v8, vcc_lo, 0, v13, vcc_lo
	v_add_co_u32 v9, vcc_lo, v4, v11
	v_add_co_ci_u32_e32 v10, vcc_lo, v5, v11, vcc_lo
	s_delay_alu instid0(VALU_DEP_4) | instskip(NEXT) | instid1(VALU_DEP_4)
	v_add_co_u32 v6, vcc_lo, v7, v6
	v_add_co_ci_u32_e32 v7, vcc_lo, 0, v8, vcc_lo
	s_delay_alu instid0(VALU_DEP_4) | instskip(NEXT) | instid1(VALU_DEP_3)
	v_xor_b32_e32 v12, v9, v11
	v_add_co_u32 v8, vcc_lo, v0, v6
	s_delay_alu instid0(VALU_DEP_3) | instskip(SKIP_1) | instid1(VALU_DEP_3)
	v_add_co_ci_u32_e32 v13, vcc_lo, v1, v7, vcc_lo
	v_xor_b32_e32 v10, v10, v11
	v_mul_hi_u32 v14, v12, v8
	s_delay_alu instid0(VALU_DEP_3) | instskip(NEXT) | instid1(VALU_DEP_3)
	v_mad_u64_u32 v[0:1], null, v12, v13, 0
	v_mad_u64_u32 v[6:7], null, v10, v8, 0
	;; [unrolled: 1-line block ×3, first 2 shown]
	s_delay_alu instid0(VALU_DEP_3) | instskip(NEXT) | instid1(VALU_DEP_4)
	v_add_co_u32 v0, vcc_lo, v14, v0
	v_add_co_ci_u32_e32 v1, vcc_lo, 0, v1, vcc_lo
	s_delay_alu instid0(VALU_DEP_2) | instskip(NEXT) | instid1(VALU_DEP_2)
	v_add_co_u32 v0, vcc_lo, v0, v6
	v_add_co_ci_u32_e32 v0, vcc_lo, v1, v7, vcc_lo
	v_add_co_ci_u32_e32 v1, vcc_lo, 0, v9, vcc_lo
	s_delay_alu instid0(VALU_DEP_2) | instskip(NEXT) | instid1(VALU_DEP_2)
	v_add_co_u32 v6, vcc_lo, v0, v8
	v_add_co_ci_u32_e32 v7, vcc_lo, 0, v1, vcc_lo
	s_delay_alu instid0(VALU_DEP_2) | instskip(SKIP_1) | instid1(VALU_DEP_3)
	v_mul_lo_u32 v8, s5, v6
	v_mad_u64_u32 v[0:1], null, s4, v6, 0
	v_mul_lo_u32 v6, s4, v7
	s_delay_alu instid0(VALU_DEP_2) | instskip(NEXT) | instid1(VALU_DEP_2)
	v_sub_co_u32 v0, vcc_lo, v12, v0
	v_add3_u32 v1, v1, v6, v8
	s_delay_alu instid0(VALU_DEP_1) | instskip(NEXT) | instid1(VALU_DEP_1)
	v_sub_nc_u32_e32 v6, v10, v1
	v_subrev_co_ci_u32_e64 v6, s2, s5, v6, vcc_lo
	v_sub_co_ci_u32_e32 v1, vcc_lo, v10, v1, vcc_lo
	v_sub_co_u32 v7, vcc_lo, v0, s4
	s_delay_alu instid0(VALU_DEP_1) | instskip(SKIP_3) | instid1(VALU_DEP_3)
	v_subrev_co_ci_u32_e64 v8, s2, 0, v6, vcc_lo
	v_cmp_le_u32_e64 s2, s4, v0
	v_subrev_co_ci_u32_e32 v6, vcc_lo, s5, v6, vcc_lo
	v_cmp_le_u32_e32 vcc_lo, s5, v1
	v_cndmask_b32_e64 v9, 0, -1, s2
	v_cmp_le_u32_e64 s2, s4, v7
	v_cndmask_b32_e64 v13, 0, -1, vcc_lo
	v_cmp_eq_u32_e32 vcc_lo, s5, v8
	s_delay_alu instid0(VALU_DEP_3) | instskip(SKIP_1) | instid1(VALU_DEP_1)
	v_cndmask_b32_e64 v10, 0, -1, s2
	v_cmp_le_u32_e64 s2, s5, v8
	v_cndmask_b32_e64 v12, 0, -1, s2
	v_cmp_eq_u32_e64 s2, s5, v1
	s_delay_alu instid0(VALU_DEP_2) | instskip(SKIP_2) | instid1(VALU_DEP_3)
	v_cndmask_b32_e32 v10, v12, v10, vcc_lo
	v_sub_co_u32 v12, vcc_lo, v7, s4
	v_subrev_co_ci_u32_e32 v6, vcc_lo, 0, v6, vcc_lo
	v_cmp_ne_u32_e32 vcc_lo, 0, v10
	v_cndmask_b32_e64 v9, v13, v9, s2
	s_delay_alu instid0(VALU_DEP_3) | instskip(NEXT) | instid1(VALU_DEP_2)
	v_dual_cndmask_b32 v6, v8, v6 :: v_dual_cndmask_b32 v7, v7, v12
	v_cmp_ne_u32_e32 vcc_lo, 0, v9
	s_delay_alu instid0(VALU_DEP_2) | instskip(NEXT) | instid1(VALU_DEP_1)
	v_dual_cndmask_b32 v0, v0, v7 :: v_dual_cndmask_b32 v1, v1, v6
	v_xor_b32_e32 v0, v0, v11
	s_delay_alu instid0(VALU_DEP_2) | instskip(NEXT) | instid1(VALU_DEP_2)
	v_xor_b32_e32 v1, v1, v11
	v_sub_co_u32 v0, vcc_lo, v0, v11
	s_delay_alu instid0(VALU_DEP_2)
	v_sub_co_ci_u32_e32 v1, vcc_lo, v1, v11, vcc_lo
.LBB60_7:
	s_or_saveexec_b32 s2, s6
	s_clause 0x1
	s_load_b64 s[12:13], s[0:1], 0xa8
	s_load_b256 s[4:11], s[0:1], 0x88
	s_xor_b32 exec_lo, exec_lo, s2
	s_cbranch_execz .LBB60_9
; %bb.8:
	v_cvt_f32_u32_e32 v0, s18
	s_sub_i32 s16, 0, s18
	s_delay_alu instid0(VALU_DEP_1) | instskip(SKIP_2) | instid1(VALU_DEP_1)
	v_rcp_iflag_f32_e32 v0, v0
	s_waitcnt_depctr 0xfff
	v_mul_f32_e32 v0, 0x4f7ffffe, v0
	v_cvt_u32_f32_e32 v0, v0
	s_delay_alu instid0(VALU_DEP_1) | instskip(NEXT) | instid1(VALU_DEP_1)
	v_mul_lo_u32 v1, s16, v0
	v_mul_hi_u32 v1, v0, v1
	s_delay_alu instid0(VALU_DEP_1) | instskip(NEXT) | instid1(VALU_DEP_1)
	v_add_nc_u32_e32 v0, v0, v1
	v_mul_hi_u32 v0, v4, v0
	s_delay_alu instid0(VALU_DEP_1) | instskip(NEXT) | instid1(VALU_DEP_1)
	v_mul_lo_u32 v0, v0, s18
	v_sub_nc_u32_e32 v0, v4, v0
	s_delay_alu instid0(VALU_DEP_1) | instskip(SKIP_1) | instid1(VALU_DEP_2)
	v_subrev_nc_u32_e32 v1, s18, v0
	v_cmp_le_u32_e32 vcc_lo, s18, v0
	v_cndmask_b32_e32 v0, v0, v1, vcc_lo
	s_delay_alu instid0(VALU_DEP_1) | instskip(SKIP_1) | instid1(VALU_DEP_2)
	v_subrev_nc_u32_e32 v1, s18, v0
	v_cmp_le_u32_e32 vcc_lo, s18, v0
	v_dual_cndmask_b32 v0, v0, v1 :: v_dual_mov_b32 v1, 0
.LBB60_9:
	s_or_b32 exec_lo, exec_lo, s2
	s_clause 0x1
	s_load_b64 s[44:45], s[0:1], 0x58
	s_load_b64 s[46:47], s[0:1], 0x0
	v_or_b32_e32 v7, s20, v3
	v_mov_b32_e32 v6, 0
	s_delay_alu instid0(VALU_DEP_1) | instskip(SKIP_1) | instid1(SALU_CYCLE_1)
	v_cmp_ne_u64_e32 vcc_lo, 0, v[6:7]
                                        ; implicit-def: $vgpr6_vgpr7
	s_and_saveexec_b32 s2, vcc_lo
	s_xor_b32 s21, exec_lo, s2
	s_cbranch_execz .LBB60_11
; %bb.10:
	s_ashr_i32 s16, s20, 31
	s_delay_alu instid0(SALU_CYCLE_1) | instskip(SKIP_2) | instid1(SALU_CYCLE_1)
	s_add_u32 s18, s3, s16
	s_mov_b32 s17, s16
	s_addc_u32 s19, s20, s16
	s_xor_b64 s[18:19], s[18:19], s[16:17]
	s_delay_alu instid0(SALU_CYCLE_1) | instskip(SKIP_3) | instid1(VALU_DEP_1)
	v_cvt_f32_u32_e32 v6, s18
	v_cvt_f32_u32_e32 v7, s19
	s_sub_u32 s2, 0, s18
	s_subb_u32 s17, 0, s19
	v_fmamk_f32 v6, v7, 0x4f800000, v6
	s_delay_alu instid0(VALU_DEP_1) | instskip(SKIP_2) | instid1(VALU_DEP_1)
	v_rcp_f32_e32 v6, v6
	s_waitcnt_depctr 0xfff
	v_mul_f32_e32 v6, 0x5f7ffffc, v6
	v_mul_f32_e32 v7, 0x2f800000, v6
	s_delay_alu instid0(VALU_DEP_1) | instskip(NEXT) | instid1(VALU_DEP_1)
	v_trunc_f32_e32 v7, v7
	v_fmamk_f32 v6, v7, 0xcf800000, v6
	v_cvt_u32_f32_e32 v7, v7
	s_delay_alu instid0(VALU_DEP_2) | instskip(NEXT) | instid1(VALU_DEP_2)
	v_cvt_u32_f32_e32 v6, v6
	v_mul_lo_u32 v8, s2, v7
	s_delay_alu instid0(VALU_DEP_2) | instskip(SKIP_1) | instid1(VALU_DEP_2)
	v_mul_hi_u32 v9, s2, v6
	v_mul_lo_u32 v10, s17, v6
	v_add_nc_u32_e32 v8, v9, v8
	v_mul_lo_u32 v9, s2, v6
	s_delay_alu instid0(VALU_DEP_2) | instskip(NEXT) | instid1(VALU_DEP_2)
	v_add_nc_u32_e32 v8, v8, v10
	v_mul_hi_u32 v10, v6, v9
	s_delay_alu instid0(VALU_DEP_2)
	v_mul_lo_u32 v11, v6, v8
	v_mul_hi_u32 v12, v6, v8
	v_mul_hi_u32 v13, v7, v9
	v_mul_lo_u32 v9, v7, v9
	v_mul_hi_u32 v14, v7, v8
	v_mul_lo_u32 v8, v7, v8
	v_add_co_u32 v10, vcc_lo, v10, v11
	v_add_co_ci_u32_e32 v11, vcc_lo, 0, v12, vcc_lo
	s_delay_alu instid0(VALU_DEP_2) | instskip(NEXT) | instid1(VALU_DEP_2)
	v_add_co_u32 v9, vcc_lo, v10, v9
	v_add_co_ci_u32_e32 v9, vcc_lo, v11, v13, vcc_lo
	v_add_co_ci_u32_e32 v10, vcc_lo, 0, v14, vcc_lo
	v_ashrrev_i32_e32 v13, 31, v3
	s_delay_alu instid0(VALU_DEP_3) | instskip(NEXT) | instid1(VALU_DEP_3)
	v_add_co_u32 v8, vcc_lo, v9, v8
	v_add_co_ci_u32_e32 v9, vcc_lo, 0, v10, vcc_lo
	s_delay_alu instid0(VALU_DEP_2) | instskip(NEXT) | instid1(VALU_DEP_2)
	v_add_co_u32 v6, vcc_lo, v6, v8
	v_add_co_ci_u32_e32 v7, vcc_lo, v7, v9, vcc_lo
	s_delay_alu instid0(VALU_DEP_2) | instskip(SKIP_1) | instid1(VALU_DEP_3)
	v_mul_hi_u32 v8, s2, v6
	v_mul_lo_u32 v10, s17, v6
	v_mul_lo_u32 v9, s2, v7
	s_delay_alu instid0(VALU_DEP_1) | instskip(SKIP_1) | instid1(VALU_DEP_2)
	v_add_nc_u32_e32 v8, v8, v9
	v_mul_lo_u32 v9, s2, v6
	v_add_nc_u32_e32 v8, v8, v10
	s_delay_alu instid0(VALU_DEP_2) | instskip(NEXT) | instid1(VALU_DEP_2)
	v_mul_hi_u32 v10, v6, v9
	v_mul_lo_u32 v11, v6, v8
	v_mul_hi_u32 v12, v6, v8
	v_mul_hi_u32 v14, v7, v9
	v_mul_lo_u32 v9, v7, v9
	v_mul_hi_u32 v15, v7, v8
	v_mul_lo_u32 v8, v7, v8
	v_add_co_u32 v10, vcc_lo, v10, v11
	v_add_co_ci_u32_e32 v11, vcc_lo, 0, v12, vcc_lo
	s_delay_alu instid0(VALU_DEP_2) | instskip(NEXT) | instid1(VALU_DEP_2)
	v_add_co_u32 v9, vcc_lo, v10, v9
	v_add_co_ci_u32_e32 v9, vcc_lo, v11, v14, vcc_lo
	v_add_co_ci_u32_e32 v10, vcc_lo, 0, v15, vcc_lo
	v_add_co_u32 v11, vcc_lo, v2, v13
	v_add_co_ci_u32_e32 v12, vcc_lo, v3, v13, vcc_lo
	s_delay_alu instid0(VALU_DEP_4) | instskip(NEXT) | instid1(VALU_DEP_4)
	v_add_co_u32 v8, vcc_lo, v9, v8
	v_add_co_ci_u32_e32 v9, vcc_lo, 0, v10, vcc_lo
	s_delay_alu instid0(VALU_DEP_4) | instskip(NEXT) | instid1(VALU_DEP_3)
	v_xor_b32_e32 v14, v11, v13
	v_add_co_u32 v10, vcc_lo, v6, v8
	s_delay_alu instid0(VALU_DEP_3) | instskip(SKIP_1) | instid1(VALU_DEP_3)
	v_add_co_ci_u32_e32 v15, vcc_lo, v7, v9, vcc_lo
	v_xor_b32_e32 v12, v12, v13
	v_mul_hi_u32 v16, v14, v10
	s_delay_alu instid0(VALU_DEP_3) | instskip(NEXT) | instid1(VALU_DEP_3)
	v_mad_u64_u32 v[6:7], null, v14, v15, 0
	v_mad_u64_u32 v[8:9], null, v12, v10, 0
	;; [unrolled: 1-line block ×3, first 2 shown]
	s_delay_alu instid0(VALU_DEP_3) | instskip(NEXT) | instid1(VALU_DEP_4)
	v_add_co_u32 v6, vcc_lo, v16, v6
	v_add_co_ci_u32_e32 v7, vcc_lo, 0, v7, vcc_lo
	s_delay_alu instid0(VALU_DEP_2) | instskip(NEXT) | instid1(VALU_DEP_2)
	v_add_co_u32 v6, vcc_lo, v6, v8
	v_add_co_ci_u32_e32 v6, vcc_lo, v7, v9, vcc_lo
	v_add_co_ci_u32_e32 v7, vcc_lo, 0, v11, vcc_lo
	s_delay_alu instid0(VALU_DEP_2) | instskip(NEXT) | instid1(VALU_DEP_2)
	v_add_co_u32 v8, vcc_lo, v6, v10
	v_add_co_ci_u32_e32 v9, vcc_lo, 0, v7, vcc_lo
	s_delay_alu instid0(VALU_DEP_2) | instskip(SKIP_1) | instid1(VALU_DEP_3)
	v_mul_lo_u32 v10, s19, v8
	v_mad_u64_u32 v[6:7], null, s18, v8, 0
	v_mul_lo_u32 v11, s18, v9
	s_delay_alu instid0(VALU_DEP_2) | instskip(NEXT) | instid1(VALU_DEP_2)
	v_sub_co_u32 v6, vcc_lo, v14, v6
	v_add3_u32 v7, v7, v11, v10
	s_delay_alu instid0(VALU_DEP_1) | instskip(NEXT) | instid1(VALU_DEP_1)
	v_sub_nc_u32_e32 v10, v12, v7
	v_subrev_co_ci_u32_e64 v10, s2, s19, v10, vcc_lo
	v_add_co_u32 v11, s2, v8, 2
	s_delay_alu instid0(VALU_DEP_1) | instskip(SKIP_3) | instid1(VALU_DEP_3)
	v_add_co_ci_u32_e64 v14, s2, 0, v9, s2
	v_sub_co_u32 v15, s2, v6, s18
	v_sub_co_ci_u32_e32 v7, vcc_lo, v12, v7, vcc_lo
	v_subrev_co_ci_u32_e64 v10, s2, 0, v10, s2
	v_cmp_le_u32_e32 vcc_lo, s18, v15
	s_delay_alu instid0(VALU_DEP_3) | instskip(SKIP_1) | instid1(VALU_DEP_4)
	v_cmp_eq_u32_e64 s2, s19, v7
	v_cndmask_b32_e64 v12, 0, -1, vcc_lo
	v_cmp_le_u32_e32 vcc_lo, s19, v10
	v_cndmask_b32_e64 v15, 0, -1, vcc_lo
	v_cmp_le_u32_e32 vcc_lo, s18, v6
	;; [unrolled: 2-line block ×3, first 2 shown]
	v_cndmask_b32_e64 v16, 0, -1, vcc_lo
	v_cmp_eq_u32_e32 vcc_lo, s19, v10
	s_delay_alu instid0(VALU_DEP_2) | instskip(SKIP_3) | instid1(VALU_DEP_3)
	v_cndmask_b32_e64 v6, v16, v6, s2
	v_cndmask_b32_e32 v10, v15, v12, vcc_lo
	v_add_co_u32 v12, vcc_lo, v8, 1
	v_add_co_ci_u32_e32 v15, vcc_lo, 0, v9, vcc_lo
	v_cmp_ne_u32_e32 vcc_lo, 0, v10
	s_delay_alu instid0(VALU_DEP_2) | instskip(SKIP_2) | instid1(VALU_DEP_3)
	v_dual_cndmask_b32 v7, v15, v14 :: v_dual_cndmask_b32 v10, v12, v11
	v_cmp_ne_u32_e32 vcc_lo, 0, v6
	v_xor_b32_e32 v11, s16, v13
	v_dual_cndmask_b32 v6, v9, v7 :: v_dual_cndmask_b32 v7, v8, v10
	s_delay_alu instid0(VALU_DEP_1) | instskip(NEXT) | instid1(VALU_DEP_2)
	v_xor_b32_e32 v8, v6, v11
	v_xor_b32_e32 v7, v7, v11
	s_delay_alu instid0(VALU_DEP_1) | instskip(NEXT) | instid1(VALU_DEP_3)
	v_sub_co_u32 v6, vcc_lo, v7, v11
	v_sub_co_ci_u32_e32 v7, vcc_lo, v8, v11, vcc_lo
.LBB60_11:
	s_or_saveexec_b32 s2, s21
	s_load_b512 s[16:31], s[0:1], 0x18
	s_xor_b32 exec_lo, exec_lo, s2
	s_cbranch_execz .LBB60_13
; %bb.12:
	v_cvt_f32_u32_e32 v6, s3
	s_sub_i32 s33, 0, s3
	s_delay_alu instid0(VALU_DEP_1) | instskip(SKIP_2) | instid1(VALU_DEP_1)
	v_rcp_iflag_f32_e32 v6, v6
	s_waitcnt_depctr 0xfff
	v_mul_f32_e32 v6, 0x4f7ffffe, v6
	v_cvt_u32_f32_e32 v6, v6
	s_delay_alu instid0(VALU_DEP_1) | instskip(NEXT) | instid1(VALU_DEP_1)
	v_mul_lo_u32 v7, s33, v6
	v_mul_hi_u32 v7, v6, v7
	s_delay_alu instid0(VALU_DEP_1) | instskip(NEXT) | instid1(VALU_DEP_1)
	v_add_nc_u32_e32 v6, v6, v7
	v_mul_hi_u32 v6, v2, v6
	s_delay_alu instid0(VALU_DEP_1) | instskip(SKIP_1) | instid1(VALU_DEP_2)
	v_mul_lo_u32 v7, v6, s3
	v_add_nc_u32_e32 v8, 1, v6
	v_sub_nc_u32_e32 v7, v2, v7
	s_delay_alu instid0(VALU_DEP_1) | instskip(SKIP_1) | instid1(VALU_DEP_2)
	v_subrev_nc_u32_e32 v9, s3, v7
	v_cmp_le_u32_e32 vcc_lo, s3, v7
	v_dual_cndmask_b32 v7, v7, v9 :: v_dual_cndmask_b32 v6, v6, v8
	s_delay_alu instid0(VALU_DEP_1) | instskip(NEXT) | instid1(VALU_DEP_2)
	v_cmp_le_u32_e32 vcc_lo, s3, v7
	v_dual_mov_b32 v7, 0 :: v_dual_add_nc_u32 v8, 1, v6
	s_delay_alu instid0(VALU_DEP_1)
	v_cndmask_b32_e32 v6, v6, v8, vcc_lo
.LBB60_13:
	s_or_b32 exec_lo, exec_lo, s2
	s_load_b256 s[36:43], s[0:1], 0xb0
	v_mul_lo_u32 v5, v5, s34
	v_mul_lo_u32 v10, v4, s35
	v_mad_u64_u32 v[8:9], null, v4, s34, 0
	s_load_b64 s[0:1], s[0:1], 0xd0
	s_delay_alu instid0(VALU_DEP_1) | instskip(NEXT) | instid1(VALU_DEP_2)
	v_add3_u32 v4, v9, v10, v5
	v_sub_co_u32 v10, vcc_lo, v2, v8
	s_delay_alu instid0(VALU_DEP_2)
	v_sub_co_ci_u32_e32 v11, vcc_lo, v3, v4, vcc_lo
	s_waitcnt lgkmcnt(0)
	s_sub_u32 s2, 0, s36
	s_subb_u32 s3, 0, s37
	s_sub_u32 s34, 0, s38
	v_cmp_gt_i64_e64 s50, s[2:3], 0
	s_subb_u32 s35, 0, s39
	v_cmp_gt_i64_e64 s33, s[36:37], 0
	s_sub_u32 s48, 0, s40
	s_subb_u32 s49, 0, s41
	v_cmp_gt_i64_e64 s54, s[34:35], 0
	v_cmp_gt_i64_e64 s52, s[38:39], 0
	;; [unrolled: 1-line block ×4, first 2 shown]
	s_and_b32 s50, s50, exec_lo
	s_cselect_b32 s56, s3, 0
	s_cselect_b32 s57, s2, 0
	s_and_b32 s2, s33, exec_lo
	s_cselect_b32 s51, s37, 0
	s_cselect_b32 s50, s36, 0
	;; [unrolled: 3-line block ×5, first 2 shown]
	s_and_b32 s2, s53, exec_lo
	v_sub_co_u32 v2, vcc_lo, v10, s36
	s_cselect_b32 s3, s41, 0
	s_cselect_b32 s2, s40, 0
	s_add_u32 s48, s20, s36
	v_subrev_co_ci_u32_e32 v3, vcc_lo, s37, v11, vcc_lo
	s_addc_u32 s49, s21, s37
	v_sub_co_u32 v4, vcc_lo, v10, s48
	v_subrev_co_ci_u32_e32 v5, vcc_lo, s49, v11, vcc_lo
	s_delay_alu instid0(VALU_DEP_3) | instskip(NEXT) | instid1(VALU_DEP_3)
	v_ashrrev_i32_e32 v8, 31, v3
	v_add_co_u32 v4, vcc_lo, v4, 1
	s_delay_alu instid0(VALU_DEP_3) | instskip(NEXT) | instid1(VALU_DEP_3)
	v_add_co_ci_u32_e32 v5, vcc_lo, 0, v5, vcc_lo
	v_xor_b32_e32 v2, v2, v8
	v_xor_b32_e32 v3, v3, v8
	s_lshl_b64 s[36:37], s[36:37], 1
	s_delay_alu instid0(VALU_DEP_3) | instskip(SKIP_3) | instid1(VALU_DEP_3)
	v_ashrrev_i32_e32 v9, 31, v5
	s_not_b64 s[48:49], s[50:51]
	v_sub_co_u32 v2, vcc_lo, v2, v8
	v_sub_co_ci_u32_e32 v3, vcc_lo, v3, v8, vcc_lo
	v_xor_b32_e32 v4, v4, v9
	v_xor_b32_e32 v5, v5, v9
	s_add_u32 s36, s36, s48
	s_addc_u32 s37, s37, s49
	s_add_u32 s36, s36, s57
	v_sub_co_u32 v4, vcc_lo, v4, v9
	v_sub_co_ci_u32_e32 v5, vcc_lo, v5, v9, vcc_lo
	s_addc_u32 s37, s37, s56
	s_delay_alu instid0(VALU_DEP_2) | instskip(NEXT) | instid1(VALU_DEP_2)
	v_add_co_u32 v4, vcc_lo, v10, v4
	v_add_co_ci_u32_e32 v5, vcc_lo, v11, v5, vcc_lo
	v_sub_co_u32 v8, vcc_lo, v0, s38
	s_add_u32 s20, s36, s20
	v_subrev_co_ci_u32_e32 v9, vcc_lo, s39, v1, vcc_lo
	s_addc_u32 s21, s37, s21
	v_sub_co_u32 v4, vcc_lo, s20, v4
	s_add_u32 s20, s18, s38
	v_sub_co_ci_u32_e32 v5, vcc_lo, s21, v5, vcc_lo
	s_addc_u32 s21, s19, s39
	v_sub_co_u32 v13, vcc_lo, v0, s20
	v_subrev_co_ci_u32_e32 v14, vcc_lo, s21, v1, vcc_lo
	v_ashrrev_i32_e32 v12, 31, v9
	s_delay_alu instid0(VALU_DEP_3) | instskip(NEXT) | instid1(VALU_DEP_3)
	v_add_co_u32 v13, vcc_lo, v13, 1
	v_add_co_ci_u32_e32 v14, vcc_lo, 0, v14, vcc_lo
	v_add_co_u32 v15, vcc_lo, v4, v2
	v_add_co_ci_u32_e32 v16, vcc_lo, v5, v3, vcc_lo
	s_delay_alu instid0(VALU_DEP_3)
	v_ashrrev_i32_e32 v3, 31, v14
	v_xor_b32_e32 v8, v8, v12
	v_xor_b32_e32 v2, v9, v12
	s_lshl_b64 s[20:21], s[38:39], 1
	s_not_b64 s[34:35], s[34:35]
	v_xor_b32_e32 v5, v13, v3
	v_sub_co_u32 v4, vcc_lo, v8, v12
	v_xor_b32_e32 v8, v14, v3
	v_sub_co_ci_u32_e32 v2, vcc_lo, v2, v12, vcc_lo
	s_delay_alu instid0(VALU_DEP_4) | instskip(NEXT) | instid1(VALU_DEP_3)
	v_sub_co_u32 v5, vcc_lo, v5, v3
	v_sub_co_ci_u32_e32 v3, vcc_lo, v8, v3, vcc_lo
	s_add_u32 s20, s20, s34
	s_delay_alu instid0(VALU_DEP_2)
	v_add_co_u32 v5, vcc_lo, v0, v5
	s_addc_u32 s21, s21, s35
	s_add_u32 s20, s20, s54
	v_add_co_ci_u32_e32 v3, vcc_lo, v1, v3, vcc_lo
	s_addc_u32 s21, s21, s33
	v_sub_co_u32 v8, vcc_lo, v6, s40
	s_add_u32 s18, s20, s18
	v_subrev_co_ci_u32_e32 v9, vcc_lo, s41, v7, vcc_lo
	s_addc_u32 s19, s21, s19
	v_sub_co_u32 v5, vcc_lo, s18, v5
	s_add_u32 s18, s16, s40
	v_sub_co_ci_u32_e32 v3, vcc_lo, s19, v3, vcc_lo
	s_addc_u32 s19, s17, s41
	v_sub_co_u32 v13, vcc_lo, v6, s18
	v_subrev_co_ci_u32_e32 v14, vcc_lo, s19, v7, vcc_lo
	v_ashrrev_i32_e32 v12, 31, v9
	s_delay_alu instid0(VALU_DEP_3) | instskip(NEXT) | instid1(VALU_DEP_3)
	v_add_co_u32 v13, vcc_lo, v13, 1
	v_add_co_ci_u32_e32 v14, vcc_lo, 0, v14, vcc_lo
	v_add_co_u32 v17, vcc_lo, v5, v4
	s_delay_alu instid0(VALU_DEP_4) | instskip(SKIP_1) | instid1(VALU_DEP_4)
	v_xor_b32_e32 v8, v8, v12
	v_add_co_ci_u32_e32 v4, vcc_lo, v3, v2, vcc_lo
	v_ashrrev_i32_e32 v3, 31, v14
	v_xor_b32_e32 v2, v9, v12
	s_delay_alu instid0(VALU_DEP_4) | instskip(SKIP_1) | instid1(VALU_DEP_3)
	v_sub_co_u32 v5, vcc_lo, v8, v12
	s_lshl_b64 s[18:19], s[40:41], 1
	v_xor_b32_e32 v8, v13, v3
	v_xor_b32_e32 v9, v14, v3
	v_sub_co_ci_u32_e32 v2, vcc_lo, v2, v12, vcc_lo
	s_not_b64 s[2:3], s[2:3]
	s_delay_alu instid0(VALU_DEP_3) | instskip(NEXT) | instid1(VALU_DEP_3)
	v_sub_co_u32 v8, vcc_lo, v8, v3
	v_sub_co_ci_u32_e32 v3, vcc_lo, v9, v3, vcc_lo
	s_add_u32 s2, s18, s2
	s_addc_u32 s3, s19, s3
	s_delay_alu instid0(VALU_DEP_2)
	v_add_co_u32 v8, vcc_lo, v6, v8
	s_add_u32 s2, s2, s55
	s_addc_u32 s3, s3, s52
	v_add_co_ci_u32_e32 v3, vcc_lo, v7, v3, vcc_lo
	s_add_u32 s2, s2, s16
	s_addc_u32 s3, s3, s17
	v_sub_co_u32 v8, vcc_lo, s2, v8
	s_delay_alu instid0(VALU_DEP_2) | instskip(SKIP_1) | instid1(VALU_DEP_2)
	v_sub_co_ci_u32_e32 v3, vcc_lo, s3, v3, vcc_lo
	s_add_u32 s14, s14, s42
	v_add_co_u32 v5, vcc_lo, v8, v5
	s_delay_alu instid0(VALU_DEP_2)
	v_add_co_ci_u32_e32 v2, vcc_lo, v3, v2, vcc_lo
	s_addc_u32 s16, 0, s43
	s_add_u32 s15, s15, s0
	s_addc_u32 s17, 0, s1
	s_mul_hi_u32 s1, s22, s15
	s_mul_i32 s0, s22, s17
	v_mul_lo_u32 v8, v2, s26
	v_mul_lo_u32 v9, v5, s27
	v_mad_u64_u32 v[2:3], null, v5, s26, 0
	s_add_i32 s0, s1, s0
	s_mul_i32 s1, s23, s15
	v_mul_lo_u32 v12, v4, s28
	s_add_i32 s1, s0, s1
	s_mul_i32 s0, s22, s15
	v_mul_lo_u32 v13, v17, s29
	v_mad_u64_u32 v[4:5], null, v17, s28, 0
	s_lshl_b64 s[0:1], s[0:1], 3
	v_add3_u32 v3, v3, v9, v8
	s_add_u32 s2, s46, s0
	s_addc_u32 s3, s47, s1
	s_mul_i32 s0, s24, s16
	s_mul_hi_u32 s1, s24, s14
	v_mul_lo_u32 v14, v16, s30
	v_mul_lo_u32 v16, v15, s31
	v_mad_u64_u32 v[8:9], null, v15, s30, 0
	s_add_i32 s0, s1, s0
	s_mul_i32 s1, s25, s14
	v_add3_u32 v5, v5, v13, v12
	s_add_i32 s1, s0, s1
	s_mul_i32 s0, s24, s14
	v_lshlrev_b64 v[2:3], 3, v[2:3]
	s_lshl_b64 s[0:1], s[0:1], 3
	v_lshlrev_b64 v[4:5], 3, v[4:5]
	s_add_u32 s0, s2, s0
	v_add3_u32 v9, v9, v16, v14
	s_addc_u32 s1, s3, s1
	v_add_co_u32 v12, vcc_lo, s0, v2
	v_add_co_ci_u32_e32 v13, vcc_lo, s1, v3, vcc_lo
	s_delay_alu instid0(VALU_DEP_3) | instskip(NEXT) | instid1(VALU_DEP_3)
	v_lshlrev_b64 v[2:3], 3, v[8:9]
	v_add_co_u32 v4, vcc_lo, v12, v4
	s_delay_alu instid0(VALU_DEP_3) | instskip(SKIP_1) | instid1(VALU_DEP_2)
	v_add_co_ci_u32_e32 v5, vcc_lo, v13, v5, vcc_lo
	s_mul_i32 s0, s4, s17
	v_add_co_u32 v2, vcc_lo, v4, v2
	s_delay_alu instid0(VALU_DEP_2)
	v_add_co_ci_u32_e32 v3, vcc_lo, v5, v3, vcc_lo
	s_mul_hi_u32 s1, s4, s15
	v_mul_lo_u32 v8, v7, s8
	v_mul_lo_u32 v9, v6, s9
	global_load_b64 v[2:3], v[2:3], off
	v_mad_u64_u32 v[4:5], null, v6, s8, 0
	s_add_i32 s0, s1, s0
	s_mul_i32 s1, s5, s15
	v_mul_lo_u32 v12, v1, s10
	s_add_i32 s1, s0, s1
	s_mul_i32 s0, s4, s15
	v_mul_lo_u32 v13, v0, s11
	v_mad_u64_u32 v[6:7], null, v0, s10, 0
	s_lshl_b64 s[0:1], s[0:1], 3
	v_add3_u32 v5, v5, v9, v8
	s_add_u32 s2, s44, s0
	s_addc_u32 s3, s45, s1
	s_mul_i32 s0, s6, s16
	s_mul_hi_u32 s1, s6, s14
	v_mul_lo_u32 v8, v11, s12
	v_mul_lo_u32 v9, v10, s13
	v_mad_u64_u32 v[0:1], null, v10, s12, 0
	s_add_i32 s0, s1, s0
	s_mul_i32 s1, s7, s14
	v_add3_u32 v7, v7, v13, v12
	s_add_i32 s1, s0, s1
	s_mul_i32 s0, s6, s14
	v_lshlrev_b64 v[4:5], 3, v[4:5]
	s_lshl_b64 s[0:1], s[0:1], 3
	v_lshlrev_b64 v[6:7], 3, v[6:7]
	s_add_u32 s0, s2, s0
	v_add3_u32 v1, v1, v9, v8
	s_addc_u32 s1, s3, s1
	v_add_co_u32 v4, vcc_lo, s0, v4
	v_add_co_ci_u32_e32 v5, vcc_lo, s1, v5, vcc_lo
	s_delay_alu instid0(VALU_DEP_3) | instskip(NEXT) | instid1(VALU_DEP_3)
	v_lshlrev_b64 v[0:1], 3, v[0:1]
	v_add_co_u32 v4, vcc_lo, v4, v6
	s_delay_alu instid0(VALU_DEP_3) | instskip(NEXT) | instid1(VALU_DEP_2)
	v_add_co_ci_u32_e32 v5, vcc_lo, v5, v7, vcc_lo
	v_add_co_u32 v0, vcc_lo, v4, v0
	s_delay_alu instid0(VALU_DEP_2)
	v_add_co_ci_u32_e32 v1, vcc_lo, v5, v1, vcc_lo
	s_waitcnt vmcnt(0)
	global_store_b64 v[0:1], v[2:3], off
.LBB60_14:
	s_nop 0
	s_sendmsg sendmsg(MSG_DEALLOC_VGPRS)
	s_endpgm
	.section	.rodata,"a",@progbits
	.p2align	6, 0x0
	.amdhsa_kernel _ZN2at6native12_GLOBAL__N_127reflection_pad3d_out_kernelIlEEvN5torch10headeronly6detail27GenericPackedTensorAccessorINS5_14TensorAccessorIN3c108ArrayRefIlEEKT_Lm4ENS4_16DefaultPtrTraitsElEENS_6detail16IndexBoundsCheckILm5ElEESC_Lm5ESD_lEENS6_INS7_ISA_SB_Lm4ESD_lEESH_SB_Lm5ESD_lEElllll
		.amdhsa_group_segment_fixed_size 0
		.amdhsa_private_segment_fixed_size 0
		.amdhsa_kernarg_size 472
		.amdhsa_user_sgpr_count 13
		.amdhsa_user_sgpr_dispatch_ptr 0
		.amdhsa_user_sgpr_queue_ptr 0
		.amdhsa_user_sgpr_kernarg_segment_ptr 1
		.amdhsa_user_sgpr_dispatch_id 0
		.amdhsa_user_sgpr_private_segment_size 0
		.amdhsa_wavefront_size32 1
		.amdhsa_uses_dynamic_stack 0
		.amdhsa_enable_private_segment 0
		.amdhsa_system_sgpr_workgroup_id_x 1
		.amdhsa_system_sgpr_workgroup_id_y 1
		.amdhsa_system_sgpr_workgroup_id_z 1
		.amdhsa_system_sgpr_workgroup_info 0
		.amdhsa_system_vgpr_workitem_id 0
		.amdhsa_next_free_vgpr 18
		.amdhsa_next_free_sgpr 58
		.amdhsa_reserve_vcc 1
		.amdhsa_float_round_mode_32 0
		.amdhsa_float_round_mode_16_64 0
		.amdhsa_float_denorm_mode_32 3
		.amdhsa_float_denorm_mode_16_64 3
		.amdhsa_dx10_clamp 1
		.amdhsa_ieee_mode 1
		.amdhsa_fp16_overflow 0
		.amdhsa_workgroup_processor_mode 1
		.amdhsa_memory_ordered 1
		.amdhsa_forward_progress 0
		.amdhsa_shared_vgpr_count 0
		.amdhsa_exception_fp_ieee_invalid_op 0
		.amdhsa_exception_fp_denorm_src 0
		.amdhsa_exception_fp_ieee_div_zero 0
		.amdhsa_exception_fp_ieee_overflow 0
		.amdhsa_exception_fp_ieee_underflow 0
		.amdhsa_exception_fp_ieee_inexact 0
		.amdhsa_exception_int_div_zero 0
	.end_amdhsa_kernel
	.section	.text._ZN2at6native12_GLOBAL__N_127reflection_pad3d_out_kernelIlEEvN5torch10headeronly6detail27GenericPackedTensorAccessorINS5_14TensorAccessorIN3c108ArrayRefIlEEKT_Lm4ENS4_16DefaultPtrTraitsElEENS_6detail16IndexBoundsCheckILm5ElEESC_Lm5ESD_lEENS6_INS7_ISA_SB_Lm4ESD_lEESH_SB_Lm5ESD_lEElllll,"axG",@progbits,_ZN2at6native12_GLOBAL__N_127reflection_pad3d_out_kernelIlEEvN5torch10headeronly6detail27GenericPackedTensorAccessorINS5_14TensorAccessorIN3c108ArrayRefIlEEKT_Lm4ENS4_16DefaultPtrTraitsElEENS_6detail16IndexBoundsCheckILm5ElEESC_Lm5ESD_lEENS6_INS7_ISA_SB_Lm4ESD_lEESH_SB_Lm5ESD_lEElllll,comdat
.Lfunc_end60:
	.size	_ZN2at6native12_GLOBAL__N_127reflection_pad3d_out_kernelIlEEvN5torch10headeronly6detail27GenericPackedTensorAccessorINS5_14TensorAccessorIN3c108ArrayRefIlEEKT_Lm4ENS4_16DefaultPtrTraitsElEENS_6detail16IndexBoundsCheckILm5ElEESC_Lm5ESD_lEENS6_INS7_ISA_SB_Lm4ESD_lEESH_SB_Lm5ESD_lEElllll, .Lfunc_end60-_ZN2at6native12_GLOBAL__N_127reflection_pad3d_out_kernelIlEEvN5torch10headeronly6detail27GenericPackedTensorAccessorINS5_14TensorAccessorIN3c108ArrayRefIlEEKT_Lm4ENS4_16DefaultPtrTraitsElEENS_6detail16IndexBoundsCheckILm5ElEESC_Lm5ESD_lEENS6_INS7_ISA_SB_Lm4ESD_lEESH_SB_Lm5ESD_lEElllll
                                        ; -- End function
	.section	.AMDGPU.csdata,"",@progbits
; Kernel info:
; codeLenInByte = 4444
; NumSgprs: 60
; NumVgprs: 18
; ScratchSize: 0
; MemoryBound: 0
; FloatMode: 240
; IeeeMode: 1
; LDSByteSize: 0 bytes/workgroup (compile time only)
; SGPRBlocks: 7
; VGPRBlocks: 2
; NumSGPRsForWavesPerEU: 60
; NumVGPRsForWavesPerEU: 18
; Occupancy: 16
; WaveLimiterHint : 0
; COMPUTE_PGM_RSRC2:SCRATCH_EN: 0
; COMPUTE_PGM_RSRC2:USER_SGPR: 13
; COMPUTE_PGM_RSRC2:TRAP_HANDLER: 0
; COMPUTE_PGM_RSRC2:TGID_X_EN: 1
; COMPUTE_PGM_RSRC2:TGID_Y_EN: 1
; COMPUTE_PGM_RSRC2:TGID_Z_EN: 1
; COMPUTE_PGM_RSRC2:TIDIG_COMP_CNT: 0
	.section	.text._ZN2at6native12_GLOBAL__N_127reflection_pad3d_out_kernelIsEEvN5torch10headeronly6detail27GenericPackedTensorAccessorINS5_14TensorAccessorIN3c108ArrayRefIlEEKT_Lm4ENS4_16DefaultPtrTraitsElEENS_6detail16IndexBoundsCheckILm5ElEESC_Lm5ESD_lEENS6_INS7_ISA_SB_Lm4ESD_lEESH_SB_Lm5ESD_lEElllll,"axG",@progbits,_ZN2at6native12_GLOBAL__N_127reflection_pad3d_out_kernelIsEEvN5torch10headeronly6detail27GenericPackedTensorAccessorINS5_14TensorAccessorIN3c108ArrayRefIlEEKT_Lm4ENS4_16DefaultPtrTraitsElEENS_6detail16IndexBoundsCheckILm5ElEESC_Lm5ESD_lEENS6_INS7_ISA_SB_Lm4ESD_lEESH_SB_Lm5ESD_lEElllll,comdat
	.globl	_ZN2at6native12_GLOBAL__N_127reflection_pad3d_out_kernelIsEEvN5torch10headeronly6detail27GenericPackedTensorAccessorINS5_14TensorAccessorIN3c108ArrayRefIlEEKT_Lm4ENS4_16DefaultPtrTraitsElEENS_6detail16IndexBoundsCheckILm5ElEESC_Lm5ESD_lEENS6_INS7_ISA_SB_Lm4ESD_lEESH_SB_Lm5ESD_lEElllll ; -- Begin function _ZN2at6native12_GLOBAL__N_127reflection_pad3d_out_kernelIsEEvN5torch10headeronly6detail27GenericPackedTensorAccessorINS5_14TensorAccessorIN3c108ArrayRefIlEEKT_Lm4ENS4_16DefaultPtrTraitsElEENS_6detail16IndexBoundsCheckILm5ElEESC_Lm5ESD_lEENS6_INS7_ISA_SB_Lm4ESD_lEESH_SB_Lm5ESD_lEElllll
	.p2align	8
	.type	_ZN2at6native12_GLOBAL__N_127reflection_pad3d_out_kernelIsEEvN5torch10headeronly6detail27GenericPackedTensorAccessorINS5_14TensorAccessorIN3c108ArrayRefIlEEKT_Lm4ENS4_16DefaultPtrTraitsElEENS_6detail16IndexBoundsCheckILm5ElEESC_Lm5ESD_lEENS6_INS7_ISA_SB_Lm4ESD_lEESH_SB_Lm5ESD_lEElllll,@function
_ZN2at6native12_GLOBAL__N_127reflection_pad3d_out_kernelIsEEvN5torch10headeronly6detail27GenericPackedTensorAccessorINS5_14TensorAccessorIN3c108ArrayRefIlEEKT_Lm4ENS4_16DefaultPtrTraitsElEENS_6detail16IndexBoundsCheckILm5ElEESC_Lm5ESD_lEENS6_INS7_ISA_SB_Lm4ESD_lEESH_SB_Lm5ESD_lEElllll: ; @_ZN2at6native12_GLOBAL__N_127reflection_pad3d_out_kernelIsEEvN5torch10headeronly6detail27GenericPackedTensorAccessorINS5_14TensorAccessorIN3c108ArrayRefIlEEKT_Lm4ENS4_16DefaultPtrTraitsElEENS_6detail16IndexBoundsCheckILm5ElEESC_Lm5ESD_lEENS6_INS7_ISA_SB_Lm4ESD_lEESH_SB_Lm5ESD_lEElllll
; %bb.0:
	s_clause 0x2
	s_load_b32 s2, s[0:1], 0xe4
	s_load_b128 s[16:19], s[0:1], 0x70
	s_load_b64 s[34:35], s[0:1], 0x80
	v_mov_b32_e32 v4, 0
	s_delay_alu instid0(VALU_DEP_1)
	v_mov_b32_e32 v1, v4
	s_waitcnt lgkmcnt(0)
	s_and_b32 s2, s2, 0xffff
	s_mul_i32 s4, s34, s19
	s_mul_hi_u32 s5, s34, s18
	s_mul_i32 s6, s35, s18
	s_mul_i32 s3, s34, s18
	v_mad_u64_u32 v[2:3], null, s2, s13, v[0:1]
	s_add_i32 s20, s5, s4
	s_mul_i32 s2, s3, s17
	s_mul_hi_u32 s4, s3, s16
	s_add_i32 s20, s20, s6
	s_add_i32 s2, s4, s2
	s_mul_i32 s4, s20, s16
	s_delay_alu instid0(SALU_CYCLE_1)
	s_add_i32 s5, s2, s4
	s_mul_i32 s4, s3, s16
	s_mov_b32 s2, exec_lo
	v_cmpx_gt_i64_e64 s[4:5], v[2:3]
	s_cbranch_execz .LBB61_14
; %bb.1:
	v_or_b32_e32 v5, s35, v3
	s_delay_alu instid0(VALU_DEP_1) | instskip(SKIP_1) | instid1(SALU_CYCLE_1)
	v_cmp_ne_u64_e32 vcc_lo, 0, v[4:5]
                                        ; implicit-def: $vgpr4_vgpr5
	s_and_saveexec_b32 s2, vcc_lo
	s_xor_b32 s8, exec_lo, s2
	s_cbranch_execz .LBB61_3
; %bb.2:
	s_ashr_i32 s4, s35, 31
	s_delay_alu instid0(SALU_CYCLE_1) | instskip(SKIP_2) | instid1(SALU_CYCLE_1)
	s_add_u32 s6, s34, s4
	s_mov_b32 s5, s4
	s_addc_u32 s7, s35, s4
	s_xor_b64 s[6:7], s[6:7], s[4:5]
	s_delay_alu instid0(SALU_CYCLE_1) | instskip(SKIP_3) | instid1(VALU_DEP_1)
	v_cvt_f32_u32_e32 v0, s6
	v_cvt_f32_u32_e32 v1, s7
	s_sub_u32 s2, 0, s6
	s_subb_u32 s5, 0, s7
	v_fmamk_f32 v0, v1, 0x4f800000, v0
	s_delay_alu instid0(VALU_DEP_1) | instskip(SKIP_2) | instid1(VALU_DEP_1)
	v_rcp_f32_e32 v0, v0
	s_waitcnt_depctr 0xfff
	v_mul_f32_e32 v0, 0x5f7ffffc, v0
	v_mul_f32_e32 v1, 0x2f800000, v0
	s_delay_alu instid0(VALU_DEP_1) | instskip(NEXT) | instid1(VALU_DEP_1)
	v_trunc_f32_e32 v1, v1
	v_fmamk_f32 v0, v1, 0xcf800000, v0
	v_cvt_u32_f32_e32 v1, v1
	s_delay_alu instid0(VALU_DEP_2) | instskip(NEXT) | instid1(VALU_DEP_2)
	v_cvt_u32_f32_e32 v0, v0
	v_mul_lo_u32 v4, s2, v1
	s_delay_alu instid0(VALU_DEP_2) | instskip(SKIP_1) | instid1(VALU_DEP_2)
	v_mul_hi_u32 v5, s2, v0
	v_mul_lo_u32 v6, s5, v0
	v_add_nc_u32_e32 v4, v5, v4
	v_mul_lo_u32 v5, s2, v0
	s_delay_alu instid0(VALU_DEP_2) | instskip(NEXT) | instid1(VALU_DEP_2)
	v_add_nc_u32_e32 v4, v4, v6
	v_mul_hi_u32 v6, v0, v5
	s_delay_alu instid0(VALU_DEP_2)
	v_mul_lo_u32 v7, v0, v4
	v_mul_hi_u32 v8, v0, v4
	v_mul_hi_u32 v9, v1, v5
	v_mul_lo_u32 v5, v1, v5
	v_mul_hi_u32 v10, v1, v4
	v_mul_lo_u32 v4, v1, v4
	v_add_co_u32 v6, vcc_lo, v6, v7
	v_add_co_ci_u32_e32 v7, vcc_lo, 0, v8, vcc_lo
	s_delay_alu instid0(VALU_DEP_2) | instskip(NEXT) | instid1(VALU_DEP_2)
	v_add_co_u32 v5, vcc_lo, v6, v5
	v_add_co_ci_u32_e32 v5, vcc_lo, v7, v9, vcc_lo
	v_add_co_ci_u32_e32 v6, vcc_lo, 0, v10, vcc_lo
	v_ashrrev_i32_e32 v9, 31, v3
	s_delay_alu instid0(VALU_DEP_3) | instskip(NEXT) | instid1(VALU_DEP_3)
	v_add_co_u32 v4, vcc_lo, v5, v4
	v_add_co_ci_u32_e32 v5, vcc_lo, 0, v6, vcc_lo
	s_delay_alu instid0(VALU_DEP_2) | instskip(NEXT) | instid1(VALU_DEP_2)
	v_add_co_u32 v0, vcc_lo, v0, v4
	v_add_co_ci_u32_e32 v1, vcc_lo, v1, v5, vcc_lo
	s_delay_alu instid0(VALU_DEP_2) | instskip(SKIP_1) | instid1(VALU_DEP_3)
	v_mul_hi_u32 v4, s2, v0
	v_mul_lo_u32 v6, s5, v0
	v_mul_lo_u32 v5, s2, v1
	s_delay_alu instid0(VALU_DEP_1) | instskip(SKIP_1) | instid1(VALU_DEP_2)
	v_add_nc_u32_e32 v4, v4, v5
	v_mul_lo_u32 v5, s2, v0
	v_add_nc_u32_e32 v4, v4, v6
	s_delay_alu instid0(VALU_DEP_2) | instskip(NEXT) | instid1(VALU_DEP_2)
	v_mul_hi_u32 v6, v0, v5
	v_mul_lo_u32 v7, v0, v4
	v_mul_hi_u32 v8, v0, v4
	v_mul_hi_u32 v10, v1, v5
	v_mul_lo_u32 v5, v1, v5
	v_mul_hi_u32 v11, v1, v4
	v_mul_lo_u32 v4, v1, v4
	v_add_co_u32 v6, vcc_lo, v6, v7
	v_add_co_ci_u32_e32 v7, vcc_lo, 0, v8, vcc_lo
	s_delay_alu instid0(VALU_DEP_2) | instskip(NEXT) | instid1(VALU_DEP_2)
	v_add_co_u32 v5, vcc_lo, v6, v5
	v_add_co_ci_u32_e32 v5, vcc_lo, v7, v10, vcc_lo
	v_add_co_ci_u32_e32 v6, vcc_lo, 0, v11, vcc_lo
	v_add_co_u32 v7, vcc_lo, v2, v9
	v_add_co_ci_u32_e32 v8, vcc_lo, v3, v9, vcc_lo
	s_delay_alu instid0(VALU_DEP_4) | instskip(NEXT) | instid1(VALU_DEP_4)
	v_add_co_u32 v4, vcc_lo, v5, v4
	v_add_co_ci_u32_e32 v5, vcc_lo, 0, v6, vcc_lo
	s_delay_alu instid0(VALU_DEP_4) | instskip(NEXT) | instid1(VALU_DEP_3)
	v_xor_b32_e32 v10, v7, v9
	v_add_co_u32 v6, vcc_lo, v0, v4
	s_delay_alu instid0(VALU_DEP_3) | instskip(SKIP_1) | instid1(VALU_DEP_3)
	v_add_co_ci_u32_e32 v11, vcc_lo, v1, v5, vcc_lo
	v_xor_b32_e32 v8, v8, v9
	v_mul_hi_u32 v12, v10, v6
	s_delay_alu instid0(VALU_DEP_3) | instskip(NEXT) | instid1(VALU_DEP_3)
	v_mad_u64_u32 v[0:1], null, v10, v11, 0
	v_mad_u64_u32 v[4:5], null, v8, v6, 0
	;; [unrolled: 1-line block ×3, first 2 shown]
	s_delay_alu instid0(VALU_DEP_3) | instskip(NEXT) | instid1(VALU_DEP_4)
	v_add_co_u32 v0, vcc_lo, v12, v0
	v_add_co_ci_u32_e32 v1, vcc_lo, 0, v1, vcc_lo
	s_delay_alu instid0(VALU_DEP_2) | instskip(NEXT) | instid1(VALU_DEP_2)
	v_add_co_u32 v0, vcc_lo, v0, v4
	v_add_co_ci_u32_e32 v0, vcc_lo, v1, v5, vcc_lo
	v_add_co_ci_u32_e32 v1, vcc_lo, 0, v7, vcc_lo
	s_delay_alu instid0(VALU_DEP_2) | instskip(NEXT) | instid1(VALU_DEP_2)
	v_add_co_u32 v4, vcc_lo, v0, v6
	v_add_co_ci_u32_e32 v5, vcc_lo, 0, v1, vcc_lo
	s_delay_alu instid0(VALU_DEP_2) | instskip(SKIP_1) | instid1(VALU_DEP_3)
	v_mul_lo_u32 v6, s7, v4
	v_mad_u64_u32 v[0:1], null, s6, v4, 0
	v_mul_lo_u32 v7, s6, v5
	s_delay_alu instid0(VALU_DEP_2) | instskip(NEXT) | instid1(VALU_DEP_2)
	v_sub_co_u32 v0, vcc_lo, v10, v0
	v_add3_u32 v1, v1, v7, v6
	s_delay_alu instid0(VALU_DEP_1) | instskip(NEXT) | instid1(VALU_DEP_1)
	v_sub_nc_u32_e32 v6, v8, v1
	v_subrev_co_ci_u32_e64 v6, s2, s7, v6, vcc_lo
	v_add_co_u32 v7, s2, v4, 2
	s_delay_alu instid0(VALU_DEP_1) | instskip(SKIP_3) | instid1(VALU_DEP_3)
	v_add_co_ci_u32_e64 v10, s2, 0, v5, s2
	v_sub_co_u32 v11, s2, v0, s6
	v_sub_co_ci_u32_e32 v1, vcc_lo, v8, v1, vcc_lo
	v_subrev_co_ci_u32_e64 v6, s2, 0, v6, s2
	v_cmp_le_u32_e32 vcc_lo, s6, v11
	s_delay_alu instid0(VALU_DEP_3) | instskip(SKIP_1) | instid1(VALU_DEP_4)
	v_cmp_eq_u32_e64 s2, s7, v1
	v_cndmask_b32_e64 v8, 0, -1, vcc_lo
	v_cmp_le_u32_e32 vcc_lo, s7, v6
	v_cndmask_b32_e64 v11, 0, -1, vcc_lo
	v_cmp_le_u32_e32 vcc_lo, s6, v0
	;; [unrolled: 2-line block ×3, first 2 shown]
	v_cndmask_b32_e64 v12, 0, -1, vcc_lo
	v_cmp_eq_u32_e32 vcc_lo, s7, v6
	s_delay_alu instid0(VALU_DEP_2) | instskip(SKIP_3) | instid1(VALU_DEP_3)
	v_cndmask_b32_e64 v0, v12, v0, s2
	v_cndmask_b32_e32 v6, v11, v8, vcc_lo
	v_add_co_u32 v8, vcc_lo, v4, 1
	v_add_co_ci_u32_e32 v11, vcc_lo, 0, v5, vcc_lo
	v_cmp_ne_u32_e32 vcc_lo, 0, v6
	s_delay_alu instid0(VALU_DEP_2) | instskip(SKIP_2) | instid1(VALU_DEP_3)
	v_dual_cndmask_b32 v1, v11, v10 :: v_dual_cndmask_b32 v6, v8, v7
	v_cmp_ne_u32_e32 vcc_lo, 0, v0
	v_xor_b32_e32 v0, s4, v9
	v_dual_cndmask_b32 v4, v4, v6 :: v_dual_cndmask_b32 v1, v5, v1
	s_delay_alu instid0(VALU_DEP_1) | instskip(NEXT) | instid1(VALU_DEP_2)
	v_xor_b32_e32 v4, v4, v0
	v_xor_b32_e32 v1, v1, v0
	s_delay_alu instid0(VALU_DEP_2) | instskip(NEXT) | instid1(VALU_DEP_2)
	v_sub_co_u32 v4, vcc_lo, v4, v0
	v_sub_co_ci_u32_e32 v5, vcc_lo, v1, v0, vcc_lo
.LBB61_3:
	s_and_not1_saveexec_b32 s2, s8
	s_cbranch_execz .LBB61_5
; %bb.4:
	v_cvt_f32_u32_e32 v0, s34
	s_sub_i32 s4, 0, s34
	s_delay_alu instid0(VALU_DEP_1) | instskip(SKIP_2) | instid1(VALU_DEP_1)
	v_rcp_iflag_f32_e32 v0, v0
	s_waitcnt_depctr 0xfff
	v_mul_f32_e32 v0, 0x4f7ffffe, v0
	v_cvt_u32_f32_e32 v0, v0
	s_delay_alu instid0(VALU_DEP_1) | instskip(NEXT) | instid1(VALU_DEP_1)
	v_mul_lo_u32 v1, s4, v0
	v_mul_hi_u32 v1, v0, v1
	s_delay_alu instid0(VALU_DEP_1) | instskip(NEXT) | instid1(VALU_DEP_1)
	v_add_nc_u32_e32 v0, v0, v1
	v_mul_hi_u32 v0, v2, v0
	s_delay_alu instid0(VALU_DEP_1) | instskip(SKIP_1) | instid1(VALU_DEP_2)
	v_mul_lo_u32 v1, v0, s34
	v_add_nc_u32_e32 v4, 1, v0
	v_sub_nc_u32_e32 v1, v2, v1
	s_delay_alu instid0(VALU_DEP_1) | instskip(SKIP_1) | instid1(VALU_DEP_2)
	v_subrev_nc_u32_e32 v5, s34, v1
	v_cmp_le_u32_e32 vcc_lo, s34, v1
	v_cndmask_b32_e32 v1, v1, v5, vcc_lo
	v_dual_mov_b32 v5, 0 :: v_dual_cndmask_b32 v0, v0, v4
	s_delay_alu instid0(VALU_DEP_2) | instskip(NEXT) | instid1(VALU_DEP_2)
	v_cmp_le_u32_e32 vcc_lo, s34, v1
	v_add_nc_u32_e32 v4, 1, v0
	s_delay_alu instid0(VALU_DEP_1)
	v_cndmask_b32_e32 v4, v0, v4, vcc_lo
.LBB61_5:
	s_or_b32 exec_lo, exec_lo, s2
	s_delay_alu instid0(VALU_DEP_1) | instskip(SKIP_1) | instid1(VALU_DEP_1)
	v_or_b32_e32 v1, s19, v5
	v_mov_b32_e32 v0, 0
	v_cmp_ne_u64_e32 vcc_lo, 0, v[0:1]
                                        ; implicit-def: $vgpr0_vgpr1
	s_and_saveexec_b32 s2, vcc_lo
	s_delay_alu instid0(SALU_CYCLE_1)
	s_xor_b32 s6, exec_lo, s2
	s_cbranch_execz .LBB61_7
; %bb.6:
	s_ashr_i32 s4, s19, 31
	s_delay_alu instid0(SALU_CYCLE_1) | instskip(SKIP_2) | instid1(SALU_CYCLE_1)
	s_add_u32 s8, s18, s4
	s_mov_b32 s5, s4
	s_addc_u32 s9, s19, s4
	s_xor_b64 s[4:5], s[8:9], s[4:5]
	s_delay_alu instid0(SALU_CYCLE_1) | instskip(SKIP_3) | instid1(VALU_DEP_1)
	v_cvt_f32_u32_e32 v0, s4
	v_cvt_f32_u32_e32 v1, s5
	s_sub_u32 s2, 0, s4
	s_subb_u32 s7, 0, s5
	v_fmamk_f32 v0, v1, 0x4f800000, v0
	s_delay_alu instid0(VALU_DEP_1) | instskip(SKIP_2) | instid1(VALU_DEP_1)
	v_rcp_f32_e32 v0, v0
	s_waitcnt_depctr 0xfff
	v_mul_f32_e32 v0, 0x5f7ffffc, v0
	v_mul_f32_e32 v1, 0x2f800000, v0
	s_delay_alu instid0(VALU_DEP_1) | instskip(NEXT) | instid1(VALU_DEP_1)
	v_trunc_f32_e32 v1, v1
	v_fmamk_f32 v0, v1, 0xcf800000, v0
	v_cvt_u32_f32_e32 v1, v1
	s_delay_alu instid0(VALU_DEP_2) | instskip(NEXT) | instid1(VALU_DEP_2)
	v_cvt_u32_f32_e32 v0, v0
	v_mul_lo_u32 v6, s2, v1
	s_delay_alu instid0(VALU_DEP_2) | instskip(SKIP_1) | instid1(VALU_DEP_2)
	v_mul_hi_u32 v7, s2, v0
	v_mul_lo_u32 v8, s7, v0
	v_add_nc_u32_e32 v6, v7, v6
	v_mul_lo_u32 v7, s2, v0
	s_delay_alu instid0(VALU_DEP_2) | instskip(NEXT) | instid1(VALU_DEP_2)
	v_add_nc_u32_e32 v6, v6, v8
	v_mul_hi_u32 v8, v0, v7
	s_delay_alu instid0(VALU_DEP_2)
	v_mul_lo_u32 v9, v0, v6
	v_mul_hi_u32 v10, v0, v6
	v_mul_hi_u32 v11, v1, v7
	v_mul_lo_u32 v7, v1, v7
	v_mul_hi_u32 v12, v1, v6
	v_mul_lo_u32 v6, v1, v6
	v_add_co_u32 v8, vcc_lo, v8, v9
	v_add_co_ci_u32_e32 v9, vcc_lo, 0, v10, vcc_lo
	s_delay_alu instid0(VALU_DEP_2) | instskip(NEXT) | instid1(VALU_DEP_2)
	v_add_co_u32 v7, vcc_lo, v8, v7
	v_add_co_ci_u32_e32 v7, vcc_lo, v9, v11, vcc_lo
	v_add_co_ci_u32_e32 v8, vcc_lo, 0, v12, vcc_lo
	v_ashrrev_i32_e32 v11, 31, v5
	s_delay_alu instid0(VALU_DEP_3) | instskip(NEXT) | instid1(VALU_DEP_3)
	v_add_co_u32 v6, vcc_lo, v7, v6
	v_add_co_ci_u32_e32 v7, vcc_lo, 0, v8, vcc_lo
	s_delay_alu instid0(VALU_DEP_2) | instskip(NEXT) | instid1(VALU_DEP_2)
	v_add_co_u32 v0, vcc_lo, v0, v6
	v_add_co_ci_u32_e32 v1, vcc_lo, v1, v7, vcc_lo
	s_delay_alu instid0(VALU_DEP_2) | instskip(SKIP_1) | instid1(VALU_DEP_3)
	v_mul_hi_u32 v6, s2, v0
	v_mul_lo_u32 v8, s7, v0
	v_mul_lo_u32 v7, s2, v1
	s_delay_alu instid0(VALU_DEP_1) | instskip(SKIP_1) | instid1(VALU_DEP_2)
	v_add_nc_u32_e32 v6, v6, v7
	v_mul_lo_u32 v7, s2, v0
	v_add_nc_u32_e32 v6, v6, v8
	s_delay_alu instid0(VALU_DEP_2) | instskip(NEXT) | instid1(VALU_DEP_2)
	v_mul_hi_u32 v8, v0, v7
	v_mul_lo_u32 v9, v0, v6
	v_mul_hi_u32 v10, v0, v6
	v_mul_hi_u32 v12, v1, v7
	v_mul_lo_u32 v7, v1, v7
	v_mul_hi_u32 v13, v1, v6
	v_mul_lo_u32 v6, v1, v6
	v_add_co_u32 v8, vcc_lo, v8, v9
	v_add_co_ci_u32_e32 v9, vcc_lo, 0, v10, vcc_lo
	s_delay_alu instid0(VALU_DEP_2) | instskip(NEXT) | instid1(VALU_DEP_2)
	v_add_co_u32 v7, vcc_lo, v8, v7
	v_add_co_ci_u32_e32 v7, vcc_lo, v9, v12, vcc_lo
	v_add_co_ci_u32_e32 v8, vcc_lo, 0, v13, vcc_lo
	v_add_co_u32 v9, vcc_lo, v4, v11
	v_add_co_ci_u32_e32 v10, vcc_lo, v5, v11, vcc_lo
	s_delay_alu instid0(VALU_DEP_4) | instskip(NEXT) | instid1(VALU_DEP_4)
	v_add_co_u32 v6, vcc_lo, v7, v6
	v_add_co_ci_u32_e32 v7, vcc_lo, 0, v8, vcc_lo
	s_delay_alu instid0(VALU_DEP_4) | instskip(NEXT) | instid1(VALU_DEP_3)
	v_xor_b32_e32 v12, v9, v11
	v_add_co_u32 v8, vcc_lo, v0, v6
	s_delay_alu instid0(VALU_DEP_3) | instskip(SKIP_1) | instid1(VALU_DEP_3)
	v_add_co_ci_u32_e32 v13, vcc_lo, v1, v7, vcc_lo
	v_xor_b32_e32 v10, v10, v11
	v_mul_hi_u32 v14, v12, v8
	s_delay_alu instid0(VALU_DEP_3) | instskip(NEXT) | instid1(VALU_DEP_3)
	v_mad_u64_u32 v[0:1], null, v12, v13, 0
	v_mad_u64_u32 v[6:7], null, v10, v8, 0
	;; [unrolled: 1-line block ×3, first 2 shown]
	s_delay_alu instid0(VALU_DEP_3) | instskip(NEXT) | instid1(VALU_DEP_4)
	v_add_co_u32 v0, vcc_lo, v14, v0
	v_add_co_ci_u32_e32 v1, vcc_lo, 0, v1, vcc_lo
	s_delay_alu instid0(VALU_DEP_2) | instskip(NEXT) | instid1(VALU_DEP_2)
	v_add_co_u32 v0, vcc_lo, v0, v6
	v_add_co_ci_u32_e32 v0, vcc_lo, v1, v7, vcc_lo
	v_add_co_ci_u32_e32 v1, vcc_lo, 0, v9, vcc_lo
	s_delay_alu instid0(VALU_DEP_2) | instskip(NEXT) | instid1(VALU_DEP_2)
	v_add_co_u32 v6, vcc_lo, v0, v8
	v_add_co_ci_u32_e32 v7, vcc_lo, 0, v1, vcc_lo
	s_delay_alu instid0(VALU_DEP_2) | instskip(SKIP_1) | instid1(VALU_DEP_3)
	v_mul_lo_u32 v8, s5, v6
	v_mad_u64_u32 v[0:1], null, s4, v6, 0
	v_mul_lo_u32 v6, s4, v7
	s_delay_alu instid0(VALU_DEP_2) | instskip(NEXT) | instid1(VALU_DEP_2)
	v_sub_co_u32 v0, vcc_lo, v12, v0
	v_add3_u32 v1, v1, v6, v8
	s_delay_alu instid0(VALU_DEP_1) | instskip(NEXT) | instid1(VALU_DEP_1)
	v_sub_nc_u32_e32 v6, v10, v1
	v_subrev_co_ci_u32_e64 v6, s2, s5, v6, vcc_lo
	v_sub_co_ci_u32_e32 v1, vcc_lo, v10, v1, vcc_lo
	v_sub_co_u32 v7, vcc_lo, v0, s4
	s_delay_alu instid0(VALU_DEP_1) | instskip(SKIP_3) | instid1(VALU_DEP_3)
	v_subrev_co_ci_u32_e64 v8, s2, 0, v6, vcc_lo
	v_cmp_le_u32_e64 s2, s4, v0
	v_subrev_co_ci_u32_e32 v6, vcc_lo, s5, v6, vcc_lo
	v_cmp_le_u32_e32 vcc_lo, s5, v1
	v_cndmask_b32_e64 v9, 0, -1, s2
	v_cmp_le_u32_e64 s2, s4, v7
	v_cndmask_b32_e64 v13, 0, -1, vcc_lo
	v_cmp_eq_u32_e32 vcc_lo, s5, v8
	s_delay_alu instid0(VALU_DEP_3) | instskip(SKIP_1) | instid1(VALU_DEP_1)
	v_cndmask_b32_e64 v10, 0, -1, s2
	v_cmp_le_u32_e64 s2, s5, v8
	v_cndmask_b32_e64 v12, 0, -1, s2
	v_cmp_eq_u32_e64 s2, s5, v1
	s_delay_alu instid0(VALU_DEP_2) | instskip(SKIP_2) | instid1(VALU_DEP_3)
	v_cndmask_b32_e32 v10, v12, v10, vcc_lo
	v_sub_co_u32 v12, vcc_lo, v7, s4
	v_subrev_co_ci_u32_e32 v6, vcc_lo, 0, v6, vcc_lo
	v_cmp_ne_u32_e32 vcc_lo, 0, v10
	v_cndmask_b32_e64 v9, v13, v9, s2
	s_delay_alu instid0(VALU_DEP_3) | instskip(NEXT) | instid1(VALU_DEP_2)
	v_dual_cndmask_b32 v6, v8, v6 :: v_dual_cndmask_b32 v7, v7, v12
	v_cmp_ne_u32_e32 vcc_lo, 0, v9
	s_delay_alu instid0(VALU_DEP_2) | instskip(NEXT) | instid1(VALU_DEP_1)
	v_dual_cndmask_b32 v0, v0, v7 :: v_dual_cndmask_b32 v1, v1, v6
	v_xor_b32_e32 v0, v0, v11
	s_delay_alu instid0(VALU_DEP_2) | instskip(NEXT) | instid1(VALU_DEP_2)
	v_xor_b32_e32 v1, v1, v11
	v_sub_co_u32 v0, vcc_lo, v0, v11
	s_delay_alu instid0(VALU_DEP_2)
	v_sub_co_ci_u32_e32 v1, vcc_lo, v1, v11, vcc_lo
.LBB61_7:
	s_or_saveexec_b32 s2, s6
	s_clause 0x1
	s_load_b64 s[12:13], s[0:1], 0xa8
	s_load_b256 s[4:11], s[0:1], 0x88
	s_xor_b32 exec_lo, exec_lo, s2
	s_cbranch_execz .LBB61_9
; %bb.8:
	v_cvt_f32_u32_e32 v0, s18
	s_sub_i32 s16, 0, s18
	s_delay_alu instid0(VALU_DEP_1) | instskip(SKIP_2) | instid1(VALU_DEP_1)
	v_rcp_iflag_f32_e32 v0, v0
	s_waitcnt_depctr 0xfff
	v_mul_f32_e32 v0, 0x4f7ffffe, v0
	v_cvt_u32_f32_e32 v0, v0
	s_delay_alu instid0(VALU_DEP_1) | instskip(NEXT) | instid1(VALU_DEP_1)
	v_mul_lo_u32 v1, s16, v0
	v_mul_hi_u32 v1, v0, v1
	s_delay_alu instid0(VALU_DEP_1) | instskip(NEXT) | instid1(VALU_DEP_1)
	v_add_nc_u32_e32 v0, v0, v1
	v_mul_hi_u32 v0, v4, v0
	s_delay_alu instid0(VALU_DEP_1) | instskip(NEXT) | instid1(VALU_DEP_1)
	v_mul_lo_u32 v0, v0, s18
	v_sub_nc_u32_e32 v0, v4, v0
	s_delay_alu instid0(VALU_DEP_1) | instskip(SKIP_1) | instid1(VALU_DEP_2)
	v_subrev_nc_u32_e32 v1, s18, v0
	v_cmp_le_u32_e32 vcc_lo, s18, v0
	v_cndmask_b32_e32 v0, v0, v1, vcc_lo
	s_delay_alu instid0(VALU_DEP_1) | instskip(SKIP_1) | instid1(VALU_DEP_2)
	v_subrev_nc_u32_e32 v1, s18, v0
	v_cmp_le_u32_e32 vcc_lo, s18, v0
	v_dual_cndmask_b32 v0, v0, v1 :: v_dual_mov_b32 v1, 0
.LBB61_9:
	s_or_b32 exec_lo, exec_lo, s2
	s_clause 0x1
	s_load_b64 s[44:45], s[0:1], 0x58
	s_load_b64 s[46:47], s[0:1], 0x0
	v_or_b32_e32 v7, s20, v3
	v_mov_b32_e32 v6, 0
	s_delay_alu instid0(VALU_DEP_1) | instskip(SKIP_1) | instid1(SALU_CYCLE_1)
	v_cmp_ne_u64_e32 vcc_lo, 0, v[6:7]
                                        ; implicit-def: $vgpr6_vgpr7
	s_and_saveexec_b32 s2, vcc_lo
	s_xor_b32 s21, exec_lo, s2
	s_cbranch_execz .LBB61_11
; %bb.10:
	s_ashr_i32 s16, s20, 31
	s_delay_alu instid0(SALU_CYCLE_1) | instskip(SKIP_2) | instid1(SALU_CYCLE_1)
	s_add_u32 s18, s3, s16
	s_mov_b32 s17, s16
	s_addc_u32 s19, s20, s16
	s_xor_b64 s[18:19], s[18:19], s[16:17]
	s_delay_alu instid0(SALU_CYCLE_1) | instskip(SKIP_3) | instid1(VALU_DEP_1)
	v_cvt_f32_u32_e32 v6, s18
	v_cvt_f32_u32_e32 v7, s19
	s_sub_u32 s2, 0, s18
	s_subb_u32 s17, 0, s19
	v_fmamk_f32 v6, v7, 0x4f800000, v6
	s_delay_alu instid0(VALU_DEP_1) | instskip(SKIP_2) | instid1(VALU_DEP_1)
	v_rcp_f32_e32 v6, v6
	s_waitcnt_depctr 0xfff
	v_mul_f32_e32 v6, 0x5f7ffffc, v6
	v_mul_f32_e32 v7, 0x2f800000, v6
	s_delay_alu instid0(VALU_DEP_1) | instskip(NEXT) | instid1(VALU_DEP_1)
	v_trunc_f32_e32 v7, v7
	v_fmamk_f32 v6, v7, 0xcf800000, v6
	v_cvt_u32_f32_e32 v7, v7
	s_delay_alu instid0(VALU_DEP_2) | instskip(NEXT) | instid1(VALU_DEP_2)
	v_cvt_u32_f32_e32 v6, v6
	v_mul_lo_u32 v8, s2, v7
	s_delay_alu instid0(VALU_DEP_2) | instskip(SKIP_1) | instid1(VALU_DEP_2)
	v_mul_hi_u32 v9, s2, v6
	v_mul_lo_u32 v10, s17, v6
	v_add_nc_u32_e32 v8, v9, v8
	v_mul_lo_u32 v9, s2, v6
	s_delay_alu instid0(VALU_DEP_2) | instskip(NEXT) | instid1(VALU_DEP_2)
	v_add_nc_u32_e32 v8, v8, v10
	v_mul_hi_u32 v10, v6, v9
	s_delay_alu instid0(VALU_DEP_2)
	v_mul_lo_u32 v11, v6, v8
	v_mul_hi_u32 v12, v6, v8
	v_mul_hi_u32 v13, v7, v9
	v_mul_lo_u32 v9, v7, v9
	v_mul_hi_u32 v14, v7, v8
	v_mul_lo_u32 v8, v7, v8
	v_add_co_u32 v10, vcc_lo, v10, v11
	v_add_co_ci_u32_e32 v11, vcc_lo, 0, v12, vcc_lo
	s_delay_alu instid0(VALU_DEP_2) | instskip(NEXT) | instid1(VALU_DEP_2)
	v_add_co_u32 v9, vcc_lo, v10, v9
	v_add_co_ci_u32_e32 v9, vcc_lo, v11, v13, vcc_lo
	v_add_co_ci_u32_e32 v10, vcc_lo, 0, v14, vcc_lo
	v_ashrrev_i32_e32 v13, 31, v3
	s_delay_alu instid0(VALU_DEP_3) | instskip(NEXT) | instid1(VALU_DEP_3)
	v_add_co_u32 v8, vcc_lo, v9, v8
	v_add_co_ci_u32_e32 v9, vcc_lo, 0, v10, vcc_lo
	s_delay_alu instid0(VALU_DEP_2) | instskip(NEXT) | instid1(VALU_DEP_2)
	v_add_co_u32 v6, vcc_lo, v6, v8
	v_add_co_ci_u32_e32 v7, vcc_lo, v7, v9, vcc_lo
	s_delay_alu instid0(VALU_DEP_2) | instskip(SKIP_1) | instid1(VALU_DEP_3)
	v_mul_hi_u32 v8, s2, v6
	v_mul_lo_u32 v10, s17, v6
	v_mul_lo_u32 v9, s2, v7
	s_delay_alu instid0(VALU_DEP_1) | instskip(SKIP_1) | instid1(VALU_DEP_2)
	v_add_nc_u32_e32 v8, v8, v9
	v_mul_lo_u32 v9, s2, v6
	v_add_nc_u32_e32 v8, v8, v10
	s_delay_alu instid0(VALU_DEP_2) | instskip(NEXT) | instid1(VALU_DEP_2)
	v_mul_hi_u32 v10, v6, v9
	v_mul_lo_u32 v11, v6, v8
	v_mul_hi_u32 v12, v6, v8
	v_mul_hi_u32 v14, v7, v9
	v_mul_lo_u32 v9, v7, v9
	v_mul_hi_u32 v15, v7, v8
	v_mul_lo_u32 v8, v7, v8
	v_add_co_u32 v10, vcc_lo, v10, v11
	v_add_co_ci_u32_e32 v11, vcc_lo, 0, v12, vcc_lo
	s_delay_alu instid0(VALU_DEP_2) | instskip(NEXT) | instid1(VALU_DEP_2)
	v_add_co_u32 v9, vcc_lo, v10, v9
	v_add_co_ci_u32_e32 v9, vcc_lo, v11, v14, vcc_lo
	v_add_co_ci_u32_e32 v10, vcc_lo, 0, v15, vcc_lo
	v_add_co_u32 v11, vcc_lo, v2, v13
	v_add_co_ci_u32_e32 v12, vcc_lo, v3, v13, vcc_lo
	s_delay_alu instid0(VALU_DEP_4) | instskip(NEXT) | instid1(VALU_DEP_4)
	v_add_co_u32 v8, vcc_lo, v9, v8
	v_add_co_ci_u32_e32 v9, vcc_lo, 0, v10, vcc_lo
	s_delay_alu instid0(VALU_DEP_4) | instskip(NEXT) | instid1(VALU_DEP_3)
	v_xor_b32_e32 v14, v11, v13
	v_add_co_u32 v10, vcc_lo, v6, v8
	s_delay_alu instid0(VALU_DEP_3) | instskip(SKIP_1) | instid1(VALU_DEP_3)
	v_add_co_ci_u32_e32 v15, vcc_lo, v7, v9, vcc_lo
	v_xor_b32_e32 v12, v12, v13
	v_mul_hi_u32 v16, v14, v10
	s_delay_alu instid0(VALU_DEP_3) | instskip(NEXT) | instid1(VALU_DEP_3)
	v_mad_u64_u32 v[6:7], null, v14, v15, 0
	v_mad_u64_u32 v[8:9], null, v12, v10, 0
	;; [unrolled: 1-line block ×3, first 2 shown]
	s_delay_alu instid0(VALU_DEP_3) | instskip(NEXT) | instid1(VALU_DEP_4)
	v_add_co_u32 v6, vcc_lo, v16, v6
	v_add_co_ci_u32_e32 v7, vcc_lo, 0, v7, vcc_lo
	s_delay_alu instid0(VALU_DEP_2) | instskip(NEXT) | instid1(VALU_DEP_2)
	v_add_co_u32 v6, vcc_lo, v6, v8
	v_add_co_ci_u32_e32 v6, vcc_lo, v7, v9, vcc_lo
	v_add_co_ci_u32_e32 v7, vcc_lo, 0, v11, vcc_lo
	s_delay_alu instid0(VALU_DEP_2) | instskip(NEXT) | instid1(VALU_DEP_2)
	v_add_co_u32 v8, vcc_lo, v6, v10
	v_add_co_ci_u32_e32 v9, vcc_lo, 0, v7, vcc_lo
	s_delay_alu instid0(VALU_DEP_2) | instskip(SKIP_1) | instid1(VALU_DEP_3)
	v_mul_lo_u32 v10, s19, v8
	v_mad_u64_u32 v[6:7], null, s18, v8, 0
	v_mul_lo_u32 v11, s18, v9
	s_delay_alu instid0(VALU_DEP_2) | instskip(NEXT) | instid1(VALU_DEP_2)
	v_sub_co_u32 v6, vcc_lo, v14, v6
	v_add3_u32 v7, v7, v11, v10
	s_delay_alu instid0(VALU_DEP_1) | instskip(NEXT) | instid1(VALU_DEP_1)
	v_sub_nc_u32_e32 v10, v12, v7
	v_subrev_co_ci_u32_e64 v10, s2, s19, v10, vcc_lo
	v_add_co_u32 v11, s2, v8, 2
	s_delay_alu instid0(VALU_DEP_1) | instskip(SKIP_3) | instid1(VALU_DEP_3)
	v_add_co_ci_u32_e64 v14, s2, 0, v9, s2
	v_sub_co_u32 v15, s2, v6, s18
	v_sub_co_ci_u32_e32 v7, vcc_lo, v12, v7, vcc_lo
	v_subrev_co_ci_u32_e64 v10, s2, 0, v10, s2
	v_cmp_le_u32_e32 vcc_lo, s18, v15
	s_delay_alu instid0(VALU_DEP_3) | instskip(SKIP_1) | instid1(VALU_DEP_4)
	v_cmp_eq_u32_e64 s2, s19, v7
	v_cndmask_b32_e64 v12, 0, -1, vcc_lo
	v_cmp_le_u32_e32 vcc_lo, s19, v10
	v_cndmask_b32_e64 v15, 0, -1, vcc_lo
	v_cmp_le_u32_e32 vcc_lo, s18, v6
	v_cndmask_b32_e64 v6, 0, -1, vcc_lo
	v_cmp_le_u32_e32 vcc_lo, s19, v7
	v_cndmask_b32_e64 v16, 0, -1, vcc_lo
	v_cmp_eq_u32_e32 vcc_lo, s19, v10
	s_delay_alu instid0(VALU_DEP_2) | instskip(SKIP_3) | instid1(VALU_DEP_3)
	v_cndmask_b32_e64 v6, v16, v6, s2
	v_cndmask_b32_e32 v10, v15, v12, vcc_lo
	v_add_co_u32 v12, vcc_lo, v8, 1
	v_add_co_ci_u32_e32 v15, vcc_lo, 0, v9, vcc_lo
	v_cmp_ne_u32_e32 vcc_lo, 0, v10
	s_delay_alu instid0(VALU_DEP_2) | instskip(SKIP_2) | instid1(VALU_DEP_3)
	v_dual_cndmask_b32 v7, v15, v14 :: v_dual_cndmask_b32 v10, v12, v11
	v_cmp_ne_u32_e32 vcc_lo, 0, v6
	v_xor_b32_e32 v11, s16, v13
	v_dual_cndmask_b32 v6, v9, v7 :: v_dual_cndmask_b32 v7, v8, v10
	s_delay_alu instid0(VALU_DEP_1) | instskip(NEXT) | instid1(VALU_DEP_2)
	v_xor_b32_e32 v8, v6, v11
	v_xor_b32_e32 v7, v7, v11
	s_delay_alu instid0(VALU_DEP_1) | instskip(NEXT) | instid1(VALU_DEP_3)
	v_sub_co_u32 v6, vcc_lo, v7, v11
	v_sub_co_ci_u32_e32 v7, vcc_lo, v8, v11, vcc_lo
.LBB61_11:
	s_or_saveexec_b32 s2, s21
	s_load_b512 s[16:31], s[0:1], 0x18
	s_xor_b32 exec_lo, exec_lo, s2
	s_cbranch_execz .LBB61_13
; %bb.12:
	v_cvt_f32_u32_e32 v6, s3
	s_sub_i32 s33, 0, s3
	s_delay_alu instid0(VALU_DEP_1) | instskip(SKIP_2) | instid1(VALU_DEP_1)
	v_rcp_iflag_f32_e32 v6, v6
	s_waitcnt_depctr 0xfff
	v_mul_f32_e32 v6, 0x4f7ffffe, v6
	v_cvt_u32_f32_e32 v6, v6
	s_delay_alu instid0(VALU_DEP_1) | instskip(NEXT) | instid1(VALU_DEP_1)
	v_mul_lo_u32 v7, s33, v6
	v_mul_hi_u32 v7, v6, v7
	s_delay_alu instid0(VALU_DEP_1) | instskip(NEXT) | instid1(VALU_DEP_1)
	v_add_nc_u32_e32 v6, v6, v7
	v_mul_hi_u32 v6, v2, v6
	s_delay_alu instid0(VALU_DEP_1) | instskip(SKIP_1) | instid1(VALU_DEP_2)
	v_mul_lo_u32 v7, v6, s3
	v_add_nc_u32_e32 v8, 1, v6
	v_sub_nc_u32_e32 v7, v2, v7
	s_delay_alu instid0(VALU_DEP_1) | instskip(SKIP_1) | instid1(VALU_DEP_2)
	v_subrev_nc_u32_e32 v9, s3, v7
	v_cmp_le_u32_e32 vcc_lo, s3, v7
	v_dual_cndmask_b32 v7, v7, v9 :: v_dual_cndmask_b32 v6, v6, v8
	s_delay_alu instid0(VALU_DEP_1) | instskip(NEXT) | instid1(VALU_DEP_2)
	v_cmp_le_u32_e32 vcc_lo, s3, v7
	v_dual_mov_b32 v7, 0 :: v_dual_add_nc_u32 v8, 1, v6
	s_delay_alu instid0(VALU_DEP_1)
	v_cndmask_b32_e32 v6, v6, v8, vcc_lo
.LBB61_13:
	s_or_b32 exec_lo, exec_lo, s2
	s_load_b256 s[36:43], s[0:1], 0xb0
	v_mul_lo_u32 v5, v5, s34
	v_mul_lo_u32 v10, v4, s35
	v_mad_u64_u32 v[8:9], null, v4, s34, 0
	s_load_b64 s[0:1], s[0:1], 0xd0
	s_delay_alu instid0(VALU_DEP_1) | instskip(NEXT) | instid1(VALU_DEP_2)
	v_add3_u32 v4, v9, v10, v5
	v_sub_co_u32 v10, vcc_lo, v2, v8
	s_delay_alu instid0(VALU_DEP_2)
	v_sub_co_ci_u32_e32 v11, vcc_lo, v3, v4, vcc_lo
	s_waitcnt lgkmcnt(0)
	s_sub_u32 s2, 0, s36
	s_subb_u32 s3, 0, s37
	s_sub_u32 s34, 0, s38
	v_cmp_gt_i64_e64 s50, s[2:3], 0
	s_subb_u32 s35, 0, s39
	v_cmp_gt_i64_e64 s33, s[36:37], 0
	s_sub_u32 s48, 0, s40
	s_subb_u32 s49, 0, s41
	v_cmp_gt_i64_e64 s54, s[34:35], 0
	v_cmp_gt_i64_e64 s52, s[38:39], 0
	;; [unrolled: 1-line block ×4, first 2 shown]
	s_and_b32 s50, s50, exec_lo
	s_cselect_b32 s56, s3, 0
	s_cselect_b32 s57, s2, 0
	s_and_b32 s2, s33, exec_lo
	s_cselect_b32 s51, s37, 0
	s_cselect_b32 s50, s36, 0
	;; [unrolled: 3-line block ×5, first 2 shown]
	s_and_b32 s2, s53, exec_lo
	v_sub_co_u32 v2, vcc_lo, v10, s36
	s_cselect_b32 s3, s41, 0
	s_cselect_b32 s2, s40, 0
	s_add_u32 s48, s20, s36
	v_subrev_co_ci_u32_e32 v3, vcc_lo, s37, v11, vcc_lo
	s_addc_u32 s49, s21, s37
	v_sub_co_u32 v4, vcc_lo, v10, s48
	v_subrev_co_ci_u32_e32 v5, vcc_lo, s49, v11, vcc_lo
	s_delay_alu instid0(VALU_DEP_3) | instskip(NEXT) | instid1(VALU_DEP_3)
	v_ashrrev_i32_e32 v8, 31, v3
	v_add_co_u32 v4, vcc_lo, v4, 1
	s_delay_alu instid0(VALU_DEP_3) | instskip(NEXT) | instid1(VALU_DEP_3)
	v_add_co_ci_u32_e32 v5, vcc_lo, 0, v5, vcc_lo
	v_xor_b32_e32 v2, v2, v8
	v_xor_b32_e32 v3, v3, v8
	s_lshl_b64 s[36:37], s[36:37], 1
	s_delay_alu instid0(VALU_DEP_3) | instskip(SKIP_3) | instid1(VALU_DEP_3)
	v_ashrrev_i32_e32 v9, 31, v5
	s_not_b64 s[48:49], s[50:51]
	v_sub_co_u32 v2, vcc_lo, v2, v8
	v_sub_co_ci_u32_e32 v3, vcc_lo, v3, v8, vcc_lo
	v_xor_b32_e32 v4, v4, v9
	v_xor_b32_e32 v5, v5, v9
	s_add_u32 s36, s36, s48
	s_addc_u32 s37, s37, s49
	s_add_u32 s36, s36, s57
	v_sub_co_u32 v4, vcc_lo, v4, v9
	v_sub_co_ci_u32_e32 v5, vcc_lo, v5, v9, vcc_lo
	s_addc_u32 s37, s37, s56
	s_delay_alu instid0(VALU_DEP_2) | instskip(NEXT) | instid1(VALU_DEP_2)
	v_add_co_u32 v4, vcc_lo, v10, v4
	v_add_co_ci_u32_e32 v5, vcc_lo, v11, v5, vcc_lo
	v_sub_co_u32 v8, vcc_lo, v0, s38
	s_add_u32 s20, s36, s20
	v_subrev_co_ci_u32_e32 v9, vcc_lo, s39, v1, vcc_lo
	s_addc_u32 s21, s37, s21
	v_sub_co_u32 v4, vcc_lo, s20, v4
	s_add_u32 s20, s18, s38
	v_sub_co_ci_u32_e32 v5, vcc_lo, s21, v5, vcc_lo
	s_addc_u32 s21, s19, s39
	v_sub_co_u32 v13, vcc_lo, v0, s20
	v_subrev_co_ci_u32_e32 v14, vcc_lo, s21, v1, vcc_lo
	v_ashrrev_i32_e32 v12, 31, v9
	s_delay_alu instid0(VALU_DEP_3) | instskip(NEXT) | instid1(VALU_DEP_3)
	v_add_co_u32 v13, vcc_lo, v13, 1
	v_add_co_ci_u32_e32 v14, vcc_lo, 0, v14, vcc_lo
	v_add_co_u32 v15, vcc_lo, v4, v2
	v_add_co_ci_u32_e32 v16, vcc_lo, v5, v3, vcc_lo
	s_delay_alu instid0(VALU_DEP_3)
	v_ashrrev_i32_e32 v3, 31, v14
	v_xor_b32_e32 v8, v8, v12
	v_xor_b32_e32 v2, v9, v12
	s_lshl_b64 s[20:21], s[38:39], 1
	s_not_b64 s[34:35], s[34:35]
	v_xor_b32_e32 v5, v13, v3
	v_sub_co_u32 v4, vcc_lo, v8, v12
	v_xor_b32_e32 v8, v14, v3
	v_sub_co_ci_u32_e32 v2, vcc_lo, v2, v12, vcc_lo
	s_delay_alu instid0(VALU_DEP_4) | instskip(NEXT) | instid1(VALU_DEP_3)
	v_sub_co_u32 v5, vcc_lo, v5, v3
	v_sub_co_ci_u32_e32 v3, vcc_lo, v8, v3, vcc_lo
	s_add_u32 s20, s20, s34
	s_delay_alu instid0(VALU_DEP_2)
	v_add_co_u32 v5, vcc_lo, v0, v5
	s_addc_u32 s21, s21, s35
	s_add_u32 s20, s20, s54
	v_add_co_ci_u32_e32 v3, vcc_lo, v1, v3, vcc_lo
	s_addc_u32 s21, s21, s33
	v_sub_co_u32 v8, vcc_lo, v6, s40
	s_add_u32 s18, s20, s18
	v_subrev_co_ci_u32_e32 v9, vcc_lo, s41, v7, vcc_lo
	s_addc_u32 s19, s21, s19
	v_sub_co_u32 v5, vcc_lo, s18, v5
	s_add_u32 s18, s16, s40
	v_sub_co_ci_u32_e32 v3, vcc_lo, s19, v3, vcc_lo
	s_addc_u32 s19, s17, s41
	v_sub_co_u32 v13, vcc_lo, v6, s18
	v_subrev_co_ci_u32_e32 v14, vcc_lo, s19, v7, vcc_lo
	v_ashrrev_i32_e32 v12, 31, v9
	s_delay_alu instid0(VALU_DEP_3) | instskip(NEXT) | instid1(VALU_DEP_3)
	v_add_co_u32 v13, vcc_lo, v13, 1
	v_add_co_ci_u32_e32 v14, vcc_lo, 0, v14, vcc_lo
	v_add_co_u32 v17, vcc_lo, v5, v4
	s_delay_alu instid0(VALU_DEP_4) | instskip(SKIP_1) | instid1(VALU_DEP_4)
	v_xor_b32_e32 v8, v8, v12
	v_add_co_ci_u32_e32 v4, vcc_lo, v3, v2, vcc_lo
	v_ashrrev_i32_e32 v3, 31, v14
	v_xor_b32_e32 v2, v9, v12
	s_delay_alu instid0(VALU_DEP_4) | instskip(SKIP_1) | instid1(VALU_DEP_3)
	v_sub_co_u32 v5, vcc_lo, v8, v12
	s_lshl_b64 s[18:19], s[40:41], 1
	v_xor_b32_e32 v8, v13, v3
	v_xor_b32_e32 v9, v14, v3
	v_sub_co_ci_u32_e32 v2, vcc_lo, v2, v12, vcc_lo
	s_not_b64 s[2:3], s[2:3]
	s_delay_alu instid0(VALU_DEP_3) | instskip(NEXT) | instid1(VALU_DEP_3)
	v_sub_co_u32 v8, vcc_lo, v8, v3
	v_sub_co_ci_u32_e32 v3, vcc_lo, v9, v3, vcc_lo
	s_add_u32 s2, s18, s2
	s_addc_u32 s3, s19, s3
	s_delay_alu instid0(VALU_DEP_2)
	v_add_co_u32 v8, vcc_lo, v6, v8
	s_add_u32 s2, s2, s55
	s_addc_u32 s3, s3, s52
	v_add_co_ci_u32_e32 v3, vcc_lo, v7, v3, vcc_lo
	s_add_u32 s2, s2, s16
	s_addc_u32 s3, s3, s17
	v_sub_co_u32 v8, vcc_lo, s2, v8
	s_delay_alu instid0(VALU_DEP_2) | instskip(SKIP_1) | instid1(VALU_DEP_2)
	v_sub_co_ci_u32_e32 v3, vcc_lo, s3, v3, vcc_lo
	s_add_u32 s14, s14, s42
	v_add_co_u32 v5, vcc_lo, v8, v5
	s_delay_alu instid0(VALU_DEP_2)
	v_add_co_ci_u32_e32 v2, vcc_lo, v3, v2, vcc_lo
	s_addc_u32 s16, 0, s43
	s_add_u32 s15, s15, s0
	s_addc_u32 s17, 0, s1
	s_mul_hi_u32 s1, s22, s15
	s_mul_i32 s0, s22, s17
	v_mul_lo_u32 v8, v2, s26
	v_mul_lo_u32 v9, v5, s27
	v_mad_u64_u32 v[2:3], null, v5, s26, 0
	s_add_i32 s0, s1, s0
	s_mul_i32 s1, s23, s15
	v_mul_lo_u32 v12, v4, s28
	s_add_i32 s1, s0, s1
	s_mul_i32 s0, s22, s15
	v_mul_lo_u32 v13, v17, s29
	v_mad_u64_u32 v[4:5], null, v17, s28, 0
	s_lshl_b64 s[0:1], s[0:1], 1
	v_add3_u32 v3, v3, v9, v8
	s_add_u32 s2, s46, s0
	s_addc_u32 s3, s47, s1
	s_mul_i32 s0, s24, s16
	s_mul_hi_u32 s1, s24, s14
	v_mul_lo_u32 v14, v16, s30
	v_mul_lo_u32 v16, v15, s31
	v_mad_u64_u32 v[8:9], null, v15, s30, 0
	s_add_i32 s0, s1, s0
	s_mul_i32 s1, s25, s14
	v_add3_u32 v5, v5, v13, v12
	s_add_i32 s1, s0, s1
	s_mul_i32 s0, s24, s14
	v_lshlrev_b64 v[2:3], 1, v[2:3]
	s_lshl_b64 s[0:1], s[0:1], 1
	v_lshlrev_b64 v[4:5], 1, v[4:5]
	s_add_u32 s0, s2, s0
	v_add3_u32 v9, v9, v16, v14
	s_addc_u32 s1, s3, s1
	v_add_co_u32 v12, vcc_lo, s0, v2
	v_add_co_ci_u32_e32 v13, vcc_lo, s1, v3, vcc_lo
	s_delay_alu instid0(VALU_DEP_3) | instskip(NEXT) | instid1(VALU_DEP_3)
	v_lshlrev_b64 v[2:3], 1, v[8:9]
	v_add_co_u32 v4, vcc_lo, v12, v4
	s_delay_alu instid0(VALU_DEP_3) | instskip(SKIP_1) | instid1(VALU_DEP_2)
	v_add_co_ci_u32_e32 v5, vcc_lo, v13, v5, vcc_lo
	s_mul_i32 s0, s4, s17
	v_add_co_u32 v2, vcc_lo, v4, v2
	s_delay_alu instid0(VALU_DEP_2)
	v_add_co_ci_u32_e32 v3, vcc_lo, v5, v3, vcc_lo
	s_mul_hi_u32 s1, s4, s15
	v_mul_lo_u32 v7, v7, s8
	v_mul_lo_u32 v9, v6, s9
	global_load_u16 v8, v[2:3], off
	v_mad_u64_u32 v[2:3], null, v6, s8, 0
	s_add_i32 s0, s1, s0
	s_mul_i32 s1, s5, s15
	v_mul_lo_u32 v6, v1, s10
	s_add_i32 s1, s0, s1
	s_mul_i32 s0, s4, s15
	v_mul_lo_u32 v12, v0, s11
	v_mad_u64_u32 v[4:5], null, v0, s10, 0
	s_lshl_b64 s[0:1], s[0:1], 1
	v_add3_u32 v3, v3, v9, v7
	s_add_u32 s2, s44, s0
	s_addc_u32 s3, s45, s1
	s_mul_i32 s0, s6, s16
	s_mul_hi_u32 s1, s6, s14
	v_mul_lo_u32 v7, v11, s12
	v_mul_lo_u32 v9, v10, s13
	v_mad_u64_u32 v[0:1], null, v10, s12, 0
	s_add_i32 s0, s1, s0
	s_mul_i32 s1, s7, s14
	v_add3_u32 v5, v5, v12, v6
	s_add_i32 s1, s0, s1
	s_mul_i32 s0, s6, s14
	v_lshlrev_b64 v[2:3], 1, v[2:3]
	s_lshl_b64 s[0:1], s[0:1], 1
	v_lshlrev_b64 v[4:5], 1, v[4:5]
	s_add_u32 s0, s2, s0
	v_add3_u32 v1, v1, v9, v7
	s_addc_u32 s1, s3, s1
	v_add_co_u32 v2, vcc_lo, s0, v2
	v_add_co_ci_u32_e32 v3, vcc_lo, s1, v3, vcc_lo
	s_delay_alu instid0(VALU_DEP_3) | instskip(NEXT) | instid1(VALU_DEP_3)
	v_lshlrev_b64 v[0:1], 1, v[0:1]
	v_add_co_u32 v2, vcc_lo, v2, v4
	s_delay_alu instid0(VALU_DEP_3) | instskip(NEXT) | instid1(VALU_DEP_2)
	v_add_co_ci_u32_e32 v3, vcc_lo, v3, v5, vcc_lo
	v_add_co_u32 v0, vcc_lo, v2, v0
	s_delay_alu instid0(VALU_DEP_2)
	v_add_co_ci_u32_e32 v1, vcc_lo, v3, v1, vcc_lo
	s_waitcnt vmcnt(0)
	global_store_b16 v[0:1], v8, off
.LBB61_14:
	s_nop 0
	s_sendmsg sendmsg(MSG_DEALLOC_VGPRS)
	s_endpgm
	.section	.rodata,"a",@progbits
	.p2align	6, 0x0
	.amdhsa_kernel _ZN2at6native12_GLOBAL__N_127reflection_pad3d_out_kernelIsEEvN5torch10headeronly6detail27GenericPackedTensorAccessorINS5_14TensorAccessorIN3c108ArrayRefIlEEKT_Lm4ENS4_16DefaultPtrTraitsElEENS_6detail16IndexBoundsCheckILm5ElEESC_Lm5ESD_lEENS6_INS7_ISA_SB_Lm4ESD_lEESH_SB_Lm5ESD_lEElllll
		.amdhsa_group_segment_fixed_size 0
		.amdhsa_private_segment_fixed_size 0
		.amdhsa_kernarg_size 472
		.amdhsa_user_sgpr_count 13
		.amdhsa_user_sgpr_dispatch_ptr 0
		.amdhsa_user_sgpr_queue_ptr 0
		.amdhsa_user_sgpr_kernarg_segment_ptr 1
		.amdhsa_user_sgpr_dispatch_id 0
		.amdhsa_user_sgpr_private_segment_size 0
		.amdhsa_wavefront_size32 1
		.amdhsa_uses_dynamic_stack 0
		.amdhsa_enable_private_segment 0
		.amdhsa_system_sgpr_workgroup_id_x 1
		.amdhsa_system_sgpr_workgroup_id_y 1
		.amdhsa_system_sgpr_workgroup_id_z 1
		.amdhsa_system_sgpr_workgroup_info 0
		.amdhsa_system_vgpr_workitem_id 0
		.amdhsa_next_free_vgpr 18
		.amdhsa_next_free_sgpr 58
		.amdhsa_reserve_vcc 1
		.amdhsa_float_round_mode_32 0
		.amdhsa_float_round_mode_16_64 0
		.amdhsa_float_denorm_mode_32 3
		.amdhsa_float_denorm_mode_16_64 3
		.amdhsa_dx10_clamp 1
		.amdhsa_ieee_mode 1
		.amdhsa_fp16_overflow 0
		.amdhsa_workgroup_processor_mode 1
		.amdhsa_memory_ordered 1
		.amdhsa_forward_progress 0
		.amdhsa_shared_vgpr_count 0
		.amdhsa_exception_fp_ieee_invalid_op 0
		.amdhsa_exception_fp_denorm_src 0
		.amdhsa_exception_fp_ieee_div_zero 0
		.amdhsa_exception_fp_ieee_overflow 0
		.amdhsa_exception_fp_ieee_underflow 0
		.amdhsa_exception_fp_ieee_inexact 0
		.amdhsa_exception_int_div_zero 0
	.end_amdhsa_kernel
	.section	.text._ZN2at6native12_GLOBAL__N_127reflection_pad3d_out_kernelIsEEvN5torch10headeronly6detail27GenericPackedTensorAccessorINS5_14TensorAccessorIN3c108ArrayRefIlEEKT_Lm4ENS4_16DefaultPtrTraitsElEENS_6detail16IndexBoundsCheckILm5ElEESC_Lm5ESD_lEENS6_INS7_ISA_SB_Lm4ESD_lEESH_SB_Lm5ESD_lEElllll,"axG",@progbits,_ZN2at6native12_GLOBAL__N_127reflection_pad3d_out_kernelIsEEvN5torch10headeronly6detail27GenericPackedTensorAccessorINS5_14TensorAccessorIN3c108ArrayRefIlEEKT_Lm4ENS4_16DefaultPtrTraitsElEENS_6detail16IndexBoundsCheckILm5ElEESC_Lm5ESD_lEENS6_INS7_ISA_SB_Lm4ESD_lEESH_SB_Lm5ESD_lEElllll,comdat
.Lfunc_end61:
	.size	_ZN2at6native12_GLOBAL__N_127reflection_pad3d_out_kernelIsEEvN5torch10headeronly6detail27GenericPackedTensorAccessorINS5_14TensorAccessorIN3c108ArrayRefIlEEKT_Lm4ENS4_16DefaultPtrTraitsElEENS_6detail16IndexBoundsCheckILm5ElEESC_Lm5ESD_lEENS6_INS7_ISA_SB_Lm4ESD_lEESH_SB_Lm5ESD_lEElllll, .Lfunc_end61-_ZN2at6native12_GLOBAL__N_127reflection_pad3d_out_kernelIsEEvN5torch10headeronly6detail27GenericPackedTensorAccessorINS5_14TensorAccessorIN3c108ArrayRefIlEEKT_Lm4ENS4_16DefaultPtrTraitsElEENS_6detail16IndexBoundsCheckILm5ElEESC_Lm5ESD_lEENS6_INS7_ISA_SB_Lm4ESD_lEESH_SB_Lm5ESD_lEElllll
                                        ; -- End function
	.section	.AMDGPU.csdata,"",@progbits
; Kernel info:
; codeLenInByte = 4444
; NumSgprs: 60
; NumVgprs: 18
; ScratchSize: 0
; MemoryBound: 0
; FloatMode: 240
; IeeeMode: 1
; LDSByteSize: 0 bytes/workgroup (compile time only)
; SGPRBlocks: 7
; VGPRBlocks: 2
; NumSGPRsForWavesPerEU: 60
; NumVGPRsForWavesPerEU: 18
; Occupancy: 16
; WaveLimiterHint : 0
; COMPUTE_PGM_RSRC2:SCRATCH_EN: 0
; COMPUTE_PGM_RSRC2:USER_SGPR: 13
; COMPUTE_PGM_RSRC2:TRAP_HANDLER: 0
; COMPUTE_PGM_RSRC2:TGID_X_EN: 1
; COMPUTE_PGM_RSRC2:TGID_Y_EN: 1
; COMPUTE_PGM_RSRC2:TGID_Z_EN: 1
; COMPUTE_PGM_RSRC2:TIDIG_COMP_CNT: 0
	.section	.text._ZN2at6native12_GLOBAL__N_127reflection_pad3d_out_kernelIdEEvN5torch10headeronly6detail27GenericPackedTensorAccessorINS5_14TensorAccessorIN3c108ArrayRefIlEEKT_Lm4ENS4_16DefaultPtrTraitsElEENS_6detail16IndexBoundsCheckILm5ElEESC_Lm5ESD_lEENS6_INS7_ISA_SB_Lm4ESD_lEESH_SB_Lm5ESD_lEElllll,"axG",@progbits,_ZN2at6native12_GLOBAL__N_127reflection_pad3d_out_kernelIdEEvN5torch10headeronly6detail27GenericPackedTensorAccessorINS5_14TensorAccessorIN3c108ArrayRefIlEEKT_Lm4ENS4_16DefaultPtrTraitsElEENS_6detail16IndexBoundsCheckILm5ElEESC_Lm5ESD_lEENS6_INS7_ISA_SB_Lm4ESD_lEESH_SB_Lm5ESD_lEElllll,comdat
	.globl	_ZN2at6native12_GLOBAL__N_127reflection_pad3d_out_kernelIdEEvN5torch10headeronly6detail27GenericPackedTensorAccessorINS5_14TensorAccessorIN3c108ArrayRefIlEEKT_Lm4ENS4_16DefaultPtrTraitsElEENS_6detail16IndexBoundsCheckILm5ElEESC_Lm5ESD_lEENS6_INS7_ISA_SB_Lm4ESD_lEESH_SB_Lm5ESD_lEElllll ; -- Begin function _ZN2at6native12_GLOBAL__N_127reflection_pad3d_out_kernelIdEEvN5torch10headeronly6detail27GenericPackedTensorAccessorINS5_14TensorAccessorIN3c108ArrayRefIlEEKT_Lm4ENS4_16DefaultPtrTraitsElEENS_6detail16IndexBoundsCheckILm5ElEESC_Lm5ESD_lEENS6_INS7_ISA_SB_Lm4ESD_lEESH_SB_Lm5ESD_lEElllll
	.p2align	8
	.type	_ZN2at6native12_GLOBAL__N_127reflection_pad3d_out_kernelIdEEvN5torch10headeronly6detail27GenericPackedTensorAccessorINS5_14TensorAccessorIN3c108ArrayRefIlEEKT_Lm4ENS4_16DefaultPtrTraitsElEENS_6detail16IndexBoundsCheckILm5ElEESC_Lm5ESD_lEENS6_INS7_ISA_SB_Lm4ESD_lEESH_SB_Lm5ESD_lEElllll,@function
_ZN2at6native12_GLOBAL__N_127reflection_pad3d_out_kernelIdEEvN5torch10headeronly6detail27GenericPackedTensorAccessorINS5_14TensorAccessorIN3c108ArrayRefIlEEKT_Lm4ENS4_16DefaultPtrTraitsElEENS_6detail16IndexBoundsCheckILm5ElEESC_Lm5ESD_lEENS6_INS7_ISA_SB_Lm4ESD_lEESH_SB_Lm5ESD_lEElllll: ; @_ZN2at6native12_GLOBAL__N_127reflection_pad3d_out_kernelIdEEvN5torch10headeronly6detail27GenericPackedTensorAccessorINS5_14TensorAccessorIN3c108ArrayRefIlEEKT_Lm4ENS4_16DefaultPtrTraitsElEENS_6detail16IndexBoundsCheckILm5ElEESC_Lm5ESD_lEENS6_INS7_ISA_SB_Lm4ESD_lEESH_SB_Lm5ESD_lEElllll
; %bb.0:
	s_clause 0x2
	s_load_b32 s2, s[0:1], 0xe4
	s_load_b128 s[16:19], s[0:1], 0x70
	s_load_b64 s[34:35], s[0:1], 0x80
	v_mov_b32_e32 v4, 0
	s_delay_alu instid0(VALU_DEP_1)
	v_mov_b32_e32 v1, v4
	s_waitcnt lgkmcnt(0)
	s_and_b32 s2, s2, 0xffff
	s_mul_i32 s4, s34, s19
	s_mul_hi_u32 s5, s34, s18
	s_mul_i32 s6, s35, s18
	s_mul_i32 s3, s34, s18
	v_mad_u64_u32 v[2:3], null, s2, s13, v[0:1]
	s_add_i32 s20, s5, s4
	s_mul_i32 s2, s3, s17
	s_mul_hi_u32 s4, s3, s16
	s_add_i32 s20, s20, s6
	s_add_i32 s2, s4, s2
	s_mul_i32 s4, s20, s16
	s_delay_alu instid0(SALU_CYCLE_1)
	s_add_i32 s5, s2, s4
	s_mul_i32 s4, s3, s16
	s_mov_b32 s2, exec_lo
	v_cmpx_gt_i64_e64 s[4:5], v[2:3]
	s_cbranch_execz .LBB62_14
; %bb.1:
	v_or_b32_e32 v5, s35, v3
	s_delay_alu instid0(VALU_DEP_1) | instskip(SKIP_1) | instid1(SALU_CYCLE_1)
	v_cmp_ne_u64_e32 vcc_lo, 0, v[4:5]
                                        ; implicit-def: $vgpr4_vgpr5
	s_and_saveexec_b32 s2, vcc_lo
	s_xor_b32 s8, exec_lo, s2
	s_cbranch_execz .LBB62_3
; %bb.2:
	s_ashr_i32 s4, s35, 31
	s_delay_alu instid0(SALU_CYCLE_1) | instskip(SKIP_2) | instid1(SALU_CYCLE_1)
	s_add_u32 s6, s34, s4
	s_mov_b32 s5, s4
	s_addc_u32 s7, s35, s4
	s_xor_b64 s[6:7], s[6:7], s[4:5]
	s_delay_alu instid0(SALU_CYCLE_1) | instskip(SKIP_3) | instid1(VALU_DEP_1)
	v_cvt_f32_u32_e32 v0, s6
	v_cvt_f32_u32_e32 v1, s7
	s_sub_u32 s2, 0, s6
	s_subb_u32 s5, 0, s7
	v_fmamk_f32 v0, v1, 0x4f800000, v0
	s_delay_alu instid0(VALU_DEP_1) | instskip(SKIP_2) | instid1(VALU_DEP_1)
	v_rcp_f32_e32 v0, v0
	s_waitcnt_depctr 0xfff
	v_mul_f32_e32 v0, 0x5f7ffffc, v0
	v_mul_f32_e32 v1, 0x2f800000, v0
	s_delay_alu instid0(VALU_DEP_1) | instskip(NEXT) | instid1(VALU_DEP_1)
	v_trunc_f32_e32 v1, v1
	v_fmamk_f32 v0, v1, 0xcf800000, v0
	v_cvt_u32_f32_e32 v1, v1
	s_delay_alu instid0(VALU_DEP_2) | instskip(NEXT) | instid1(VALU_DEP_2)
	v_cvt_u32_f32_e32 v0, v0
	v_mul_lo_u32 v4, s2, v1
	s_delay_alu instid0(VALU_DEP_2) | instskip(SKIP_1) | instid1(VALU_DEP_2)
	v_mul_hi_u32 v5, s2, v0
	v_mul_lo_u32 v6, s5, v0
	v_add_nc_u32_e32 v4, v5, v4
	v_mul_lo_u32 v5, s2, v0
	s_delay_alu instid0(VALU_DEP_2) | instskip(NEXT) | instid1(VALU_DEP_2)
	v_add_nc_u32_e32 v4, v4, v6
	v_mul_hi_u32 v6, v0, v5
	s_delay_alu instid0(VALU_DEP_2)
	v_mul_lo_u32 v7, v0, v4
	v_mul_hi_u32 v8, v0, v4
	v_mul_hi_u32 v9, v1, v5
	v_mul_lo_u32 v5, v1, v5
	v_mul_hi_u32 v10, v1, v4
	v_mul_lo_u32 v4, v1, v4
	v_add_co_u32 v6, vcc_lo, v6, v7
	v_add_co_ci_u32_e32 v7, vcc_lo, 0, v8, vcc_lo
	s_delay_alu instid0(VALU_DEP_2) | instskip(NEXT) | instid1(VALU_DEP_2)
	v_add_co_u32 v5, vcc_lo, v6, v5
	v_add_co_ci_u32_e32 v5, vcc_lo, v7, v9, vcc_lo
	v_add_co_ci_u32_e32 v6, vcc_lo, 0, v10, vcc_lo
	v_ashrrev_i32_e32 v9, 31, v3
	s_delay_alu instid0(VALU_DEP_3) | instskip(NEXT) | instid1(VALU_DEP_3)
	v_add_co_u32 v4, vcc_lo, v5, v4
	v_add_co_ci_u32_e32 v5, vcc_lo, 0, v6, vcc_lo
	s_delay_alu instid0(VALU_DEP_2) | instskip(NEXT) | instid1(VALU_DEP_2)
	v_add_co_u32 v0, vcc_lo, v0, v4
	v_add_co_ci_u32_e32 v1, vcc_lo, v1, v5, vcc_lo
	s_delay_alu instid0(VALU_DEP_2) | instskip(SKIP_1) | instid1(VALU_DEP_3)
	v_mul_hi_u32 v4, s2, v0
	v_mul_lo_u32 v6, s5, v0
	v_mul_lo_u32 v5, s2, v1
	s_delay_alu instid0(VALU_DEP_1) | instskip(SKIP_1) | instid1(VALU_DEP_2)
	v_add_nc_u32_e32 v4, v4, v5
	v_mul_lo_u32 v5, s2, v0
	v_add_nc_u32_e32 v4, v4, v6
	s_delay_alu instid0(VALU_DEP_2) | instskip(NEXT) | instid1(VALU_DEP_2)
	v_mul_hi_u32 v6, v0, v5
	v_mul_lo_u32 v7, v0, v4
	v_mul_hi_u32 v8, v0, v4
	v_mul_hi_u32 v10, v1, v5
	v_mul_lo_u32 v5, v1, v5
	v_mul_hi_u32 v11, v1, v4
	v_mul_lo_u32 v4, v1, v4
	v_add_co_u32 v6, vcc_lo, v6, v7
	v_add_co_ci_u32_e32 v7, vcc_lo, 0, v8, vcc_lo
	s_delay_alu instid0(VALU_DEP_2) | instskip(NEXT) | instid1(VALU_DEP_2)
	v_add_co_u32 v5, vcc_lo, v6, v5
	v_add_co_ci_u32_e32 v5, vcc_lo, v7, v10, vcc_lo
	v_add_co_ci_u32_e32 v6, vcc_lo, 0, v11, vcc_lo
	v_add_co_u32 v7, vcc_lo, v2, v9
	v_add_co_ci_u32_e32 v8, vcc_lo, v3, v9, vcc_lo
	s_delay_alu instid0(VALU_DEP_4) | instskip(NEXT) | instid1(VALU_DEP_4)
	v_add_co_u32 v4, vcc_lo, v5, v4
	v_add_co_ci_u32_e32 v5, vcc_lo, 0, v6, vcc_lo
	s_delay_alu instid0(VALU_DEP_4) | instskip(NEXT) | instid1(VALU_DEP_3)
	v_xor_b32_e32 v10, v7, v9
	v_add_co_u32 v6, vcc_lo, v0, v4
	s_delay_alu instid0(VALU_DEP_3) | instskip(SKIP_1) | instid1(VALU_DEP_3)
	v_add_co_ci_u32_e32 v11, vcc_lo, v1, v5, vcc_lo
	v_xor_b32_e32 v8, v8, v9
	v_mul_hi_u32 v12, v10, v6
	s_delay_alu instid0(VALU_DEP_3) | instskip(NEXT) | instid1(VALU_DEP_3)
	v_mad_u64_u32 v[0:1], null, v10, v11, 0
	v_mad_u64_u32 v[4:5], null, v8, v6, 0
	;; [unrolled: 1-line block ×3, first 2 shown]
	s_delay_alu instid0(VALU_DEP_3) | instskip(NEXT) | instid1(VALU_DEP_4)
	v_add_co_u32 v0, vcc_lo, v12, v0
	v_add_co_ci_u32_e32 v1, vcc_lo, 0, v1, vcc_lo
	s_delay_alu instid0(VALU_DEP_2) | instskip(NEXT) | instid1(VALU_DEP_2)
	v_add_co_u32 v0, vcc_lo, v0, v4
	v_add_co_ci_u32_e32 v0, vcc_lo, v1, v5, vcc_lo
	v_add_co_ci_u32_e32 v1, vcc_lo, 0, v7, vcc_lo
	s_delay_alu instid0(VALU_DEP_2) | instskip(NEXT) | instid1(VALU_DEP_2)
	v_add_co_u32 v4, vcc_lo, v0, v6
	v_add_co_ci_u32_e32 v5, vcc_lo, 0, v1, vcc_lo
	s_delay_alu instid0(VALU_DEP_2) | instskip(SKIP_1) | instid1(VALU_DEP_3)
	v_mul_lo_u32 v6, s7, v4
	v_mad_u64_u32 v[0:1], null, s6, v4, 0
	v_mul_lo_u32 v7, s6, v5
	s_delay_alu instid0(VALU_DEP_2) | instskip(NEXT) | instid1(VALU_DEP_2)
	v_sub_co_u32 v0, vcc_lo, v10, v0
	v_add3_u32 v1, v1, v7, v6
	s_delay_alu instid0(VALU_DEP_1) | instskip(NEXT) | instid1(VALU_DEP_1)
	v_sub_nc_u32_e32 v6, v8, v1
	v_subrev_co_ci_u32_e64 v6, s2, s7, v6, vcc_lo
	v_add_co_u32 v7, s2, v4, 2
	s_delay_alu instid0(VALU_DEP_1) | instskip(SKIP_3) | instid1(VALU_DEP_3)
	v_add_co_ci_u32_e64 v10, s2, 0, v5, s2
	v_sub_co_u32 v11, s2, v0, s6
	v_sub_co_ci_u32_e32 v1, vcc_lo, v8, v1, vcc_lo
	v_subrev_co_ci_u32_e64 v6, s2, 0, v6, s2
	v_cmp_le_u32_e32 vcc_lo, s6, v11
	s_delay_alu instid0(VALU_DEP_3) | instskip(SKIP_1) | instid1(VALU_DEP_4)
	v_cmp_eq_u32_e64 s2, s7, v1
	v_cndmask_b32_e64 v8, 0, -1, vcc_lo
	v_cmp_le_u32_e32 vcc_lo, s7, v6
	v_cndmask_b32_e64 v11, 0, -1, vcc_lo
	v_cmp_le_u32_e32 vcc_lo, s6, v0
	;; [unrolled: 2-line block ×3, first 2 shown]
	v_cndmask_b32_e64 v12, 0, -1, vcc_lo
	v_cmp_eq_u32_e32 vcc_lo, s7, v6
	s_delay_alu instid0(VALU_DEP_2) | instskip(SKIP_3) | instid1(VALU_DEP_3)
	v_cndmask_b32_e64 v0, v12, v0, s2
	v_cndmask_b32_e32 v6, v11, v8, vcc_lo
	v_add_co_u32 v8, vcc_lo, v4, 1
	v_add_co_ci_u32_e32 v11, vcc_lo, 0, v5, vcc_lo
	v_cmp_ne_u32_e32 vcc_lo, 0, v6
	s_delay_alu instid0(VALU_DEP_2) | instskip(SKIP_2) | instid1(VALU_DEP_3)
	v_dual_cndmask_b32 v1, v11, v10 :: v_dual_cndmask_b32 v6, v8, v7
	v_cmp_ne_u32_e32 vcc_lo, 0, v0
	v_xor_b32_e32 v0, s4, v9
	v_dual_cndmask_b32 v4, v4, v6 :: v_dual_cndmask_b32 v1, v5, v1
	s_delay_alu instid0(VALU_DEP_1) | instskip(NEXT) | instid1(VALU_DEP_2)
	v_xor_b32_e32 v4, v4, v0
	v_xor_b32_e32 v1, v1, v0
	s_delay_alu instid0(VALU_DEP_2) | instskip(NEXT) | instid1(VALU_DEP_2)
	v_sub_co_u32 v4, vcc_lo, v4, v0
	v_sub_co_ci_u32_e32 v5, vcc_lo, v1, v0, vcc_lo
.LBB62_3:
	s_and_not1_saveexec_b32 s2, s8
	s_cbranch_execz .LBB62_5
; %bb.4:
	v_cvt_f32_u32_e32 v0, s34
	s_sub_i32 s4, 0, s34
	s_delay_alu instid0(VALU_DEP_1) | instskip(SKIP_2) | instid1(VALU_DEP_1)
	v_rcp_iflag_f32_e32 v0, v0
	s_waitcnt_depctr 0xfff
	v_mul_f32_e32 v0, 0x4f7ffffe, v0
	v_cvt_u32_f32_e32 v0, v0
	s_delay_alu instid0(VALU_DEP_1) | instskip(NEXT) | instid1(VALU_DEP_1)
	v_mul_lo_u32 v1, s4, v0
	v_mul_hi_u32 v1, v0, v1
	s_delay_alu instid0(VALU_DEP_1) | instskip(NEXT) | instid1(VALU_DEP_1)
	v_add_nc_u32_e32 v0, v0, v1
	v_mul_hi_u32 v0, v2, v0
	s_delay_alu instid0(VALU_DEP_1) | instskip(SKIP_1) | instid1(VALU_DEP_2)
	v_mul_lo_u32 v1, v0, s34
	v_add_nc_u32_e32 v4, 1, v0
	v_sub_nc_u32_e32 v1, v2, v1
	s_delay_alu instid0(VALU_DEP_1) | instskip(SKIP_1) | instid1(VALU_DEP_2)
	v_subrev_nc_u32_e32 v5, s34, v1
	v_cmp_le_u32_e32 vcc_lo, s34, v1
	v_cndmask_b32_e32 v1, v1, v5, vcc_lo
	v_dual_mov_b32 v5, 0 :: v_dual_cndmask_b32 v0, v0, v4
	s_delay_alu instid0(VALU_DEP_2) | instskip(NEXT) | instid1(VALU_DEP_2)
	v_cmp_le_u32_e32 vcc_lo, s34, v1
	v_add_nc_u32_e32 v4, 1, v0
	s_delay_alu instid0(VALU_DEP_1)
	v_cndmask_b32_e32 v4, v0, v4, vcc_lo
.LBB62_5:
	s_or_b32 exec_lo, exec_lo, s2
	s_delay_alu instid0(VALU_DEP_1) | instskip(SKIP_1) | instid1(VALU_DEP_1)
	v_or_b32_e32 v1, s19, v5
	v_mov_b32_e32 v0, 0
	v_cmp_ne_u64_e32 vcc_lo, 0, v[0:1]
                                        ; implicit-def: $vgpr0_vgpr1
	s_and_saveexec_b32 s2, vcc_lo
	s_delay_alu instid0(SALU_CYCLE_1)
	s_xor_b32 s6, exec_lo, s2
	s_cbranch_execz .LBB62_7
; %bb.6:
	s_ashr_i32 s4, s19, 31
	s_delay_alu instid0(SALU_CYCLE_1) | instskip(SKIP_2) | instid1(SALU_CYCLE_1)
	s_add_u32 s8, s18, s4
	s_mov_b32 s5, s4
	s_addc_u32 s9, s19, s4
	s_xor_b64 s[4:5], s[8:9], s[4:5]
	s_delay_alu instid0(SALU_CYCLE_1) | instskip(SKIP_3) | instid1(VALU_DEP_1)
	v_cvt_f32_u32_e32 v0, s4
	v_cvt_f32_u32_e32 v1, s5
	s_sub_u32 s2, 0, s4
	s_subb_u32 s7, 0, s5
	v_fmamk_f32 v0, v1, 0x4f800000, v0
	s_delay_alu instid0(VALU_DEP_1) | instskip(SKIP_2) | instid1(VALU_DEP_1)
	v_rcp_f32_e32 v0, v0
	s_waitcnt_depctr 0xfff
	v_mul_f32_e32 v0, 0x5f7ffffc, v0
	v_mul_f32_e32 v1, 0x2f800000, v0
	s_delay_alu instid0(VALU_DEP_1) | instskip(NEXT) | instid1(VALU_DEP_1)
	v_trunc_f32_e32 v1, v1
	v_fmamk_f32 v0, v1, 0xcf800000, v0
	v_cvt_u32_f32_e32 v1, v1
	s_delay_alu instid0(VALU_DEP_2) | instskip(NEXT) | instid1(VALU_DEP_2)
	v_cvt_u32_f32_e32 v0, v0
	v_mul_lo_u32 v6, s2, v1
	s_delay_alu instid0(VALU_DEP_2) | instskip(SKIP_1) | instid1(VALU_DEP_2)
	v_mul_hi_u32 v7, s2, v0
	v_mul_lo_u32 v8, s7, v0
	v_add_nc_u32_e32 v6, v7, v6
	v_mul_lo_u32 v7, s2, v0
	s_delay_alu instid0(VALU_DEP_2) | instskip(NEXT) | instid1(VALU_DEP_2)
	v_add_nc_u32_e32 v6, v6, v8
	v_mul_hi_u32 v8, v0, v7
	s_delay_alu instid0(VALU_DEP_2)
	v_mul_lo_u32 v9, v0, v6
	v_mul_hi_u32 v10, v0, v6
	v_mul_hi_u32 v11, v1, v7
	v_mul_lo_u32 v7, v1, v7
	v_mul_hi_u32 v12, v1, v6
	v_mul_lo_u32 v6, v1, v6
	v_add_co_u32 v8, vcc_lo, v8, v9
	v_add_co_ci_u32_e32 v9, vcc_lo, 0, v10, vcc_lo
	s_delay_alu instid0(VALU_DEP_2) | instskip(NEXT) | instid1(VALU_DEP_2)
	v_add_co_u32 v7, vcc_lo, v8, v7
	v_add_co_ci_u32_e32 v7, vcc_lo, v9, v11, vcc_lo
	v_add_co_ci_u32_e32 v8, vcc_lo, 0, v12, vcc_lo
	v_ashrrev_i32_e32 v11, 31, v5
	s_delay_alu instid0(VALU_DEP_3) | instskip(NEXT) | instid1(VALU_DEP_3)
	v_add_co_u32 v6, vcc_lo, v7, v6
	v_add_co_ci_u32_e32 v7, vcc_lo, 0, v8, vcc_lo
	s_delay_alu instid0(VALU_DEP_2) | instskip(NEXT) | instid1(VALU_DEP_2)
	v_add_co_u32 v0, vcc_lo, v0, v6
	v_add_co_ci_u32_e32 v1, vcc_lo, v1, v7, vcc_lo
	s_delay_alu instid0(VALU_DEP_2) | instskip(SKIP_1) | instid1(VALU_DEP_3)
	v_mul_hi_u32 v6, s2, v0
	v_mul_lo_u32 v8, s7, v0
	v_mul_lo_u32 v7, s2, v1
	s_delay_alu instid0(VALU_DEP_1) | instskip(SKIP_1) | instid1(VALU_DEP_2)
	v_add_nc_u32_e32 v6, v6, v7
	v_mul_lo_u32 v7, s2, v0
	v_add_nc_u32_e32 v6, v6, v8
	s_delay_alu instid0(VALU_DEP_2) | instskip(NEXT) | instid1(VALU_DEP_2)
	v_mul_hi_u32 v8, v0, v7
	v_mul_lo_u32 v9, v0, v6
	v_mul_hi_u32 v10, v0, v6
	v_mul_hi_u32 v12, v1, v7
	v_mul_lo_u32 v7, v1, v7
	v_mul_hi_u32 v13, v1, v6
	v_mul_lo_u32 v6, v1, v6
	v_add_co_u32 v8, vcc_lo, v8, v9
	v_add_co_ci_u32_e32 v9, vcc_lo, 0, v10, vcc_lo
	s_delay_alu instid0(VALU_DEP_2) | instskip(NEXT) | instid1(VALU_DEP_2)
	v_add_co_u32 v7, vcc_lo, v8, v7
	v_add_co_ci_u32_e32 v7, vcc_lo, v9, v12, vcc_lo
	v_add_co_ci_u32_e32 v8, vcc_lo, 0, v13, vcc_lo
	v_add_co_u32 v9, vcc_lo, v4, v11
	v_add_co_ci_u32_e32 v10, vcc_lo, v5, v11, vcc_lo
	s_delay_alu instid0(VALU_DEP_4) | instskip(NEXT) | instid1(VALU_DEP_4)
	v_add_co_u32 v6, vcc_lo, v7, v6
	v_add_co_ci_u32_e32 v7, vcc_lo, 0, v8, vcc_lo
	s_delay_alu instid0(VALU_DEP_4) | instskip(NEXT) | instid1(VALU_DEP_3)
	v_xor_b32_e32 v12, v9, v11
	v_add_co_u32 v8, vcc_lo, v0, v6
	s_delay_alu instid0(VALU_DEP_3) | instskip(SKIP_1) | instid1(VALU_DEP_3)
	v_add_co_ci_u32_e32 v13, vcc_lo, v1, v7, vcc_lo
	v_xor_b32_e32 v10, v10, v11
	v_mul_hi_u32 v14, v12, v8
	s_delay_alu instid0(VALU_DEP_3) | instskip(NEXT) | instid1(VALU_DEP_3)
	v_mad_u64_u32 v[0:1], null, v12, v13, 0
	v_mad_u64_u32 v[6:7], null, v10, v8, 0
	;; [unrolled: 1-line block ×3, first 2 shown]
	s_delay_alu instid0(VALU_DEP_3) | instskip(NEXT) | instid1(VALU_DEP_4)
	v_add_co_u32 v0, vcc_lo, v14, v0
	v_add_co_ci_u32_e32 v1, vcc_lo, 0, v1, vcc_lo
	s_delay_alu instid0(VALU_DEP_2) | instskip(NEXT) | instid1(VALU_DEP_2)
	v_add_co_u32 v0, vcc_lo, v0, v6
	v_add_co_ci_u32_e32 v0, vcc_lo, v1, v7, vcc_lo
	v_add_co_ci_u32_e32 v1, vcc_lo, 0, v9, vcc_lo
	s_delay_alu instid0(VALU_DEP_2) | instskip(NEXT) | instid1(VALU_DEP_2)
	v_add_co_u32 v6, vcc_lo, v0, v8
	v_add_co_ci_u32_e32 v7, vcc_lo, 0, v1, vcc_lo
	s_delay_alu instid0(VALU_DEP_2) | instskip(SKIP_1) | instid1(VALU_DEP_3)
	v_mul_lo_u32 v8, s5, v6
	v_mad_u64_u32 v[0:1], null, s4, v6, 0
	v_mul_lo_u32 v6, s4, v7
	s_delay_alu instid0(VALU_DEP_2) | instskip(NEXT) | instid1(VALU_DEP_2)
	v_sub_co_u32 v0, vcc_lo, v12, v0
	v_add3_u32 v1, v1, v6, v8
	s_delay_alu instid0(VALU_DEP_1) | instskip(NEXT) | instid1(VALU_DEP_1)
	v_sub_nc_u32_e32 v6, v10, v1
	v_subrev_co_ci_u32_e64 v6, s2, s5, v6, vcc_lo
	v_sub_co_ci_u32_e32 v1, vcc_lo, v10, v1, vcc_lo
	v_sub_co_u32 v7, vcc_lo, v0, s4
	s_delay_alu instid0(VALU_DEP_1) | instskip(SKIP_3) | instid1(VALU_DEP_3)
	v_subrev_co_ci_u32_e64 v8, s2, 0, v6, vcc_lo
	v_cmp_le_u32_e64 s2, s4, v0
	v_subrev_co_ci_u32_e32 v6, vcc_lo, s5, v6, vcc_lo
	v_cmp_le_u32_e32 vcc_lo, s5, v1
	v_cndmask_b32_e64 v9, 0, -1, s2
	v_cmp_le_u32_e64 s2, s4, v7
	v_cndmask_b32_e64 v13, 0, -1, vcc_lo
	v_cmp_eq_u32_e32 vcc_lo, s5, v8
	s_delay_alu instid0(VALU_DEP_3) | instskip(SKIP_1) | instid1(VALU_DEP_1)
	v_cndmask_b32_e64 v10, 0, -1, s2
	v_cmp_le_u32_e64 s2, s5, v8
	v_cndmask_b32_e64 v12, 0, -1, s2
	v_cmp_eq_u32_e64 s2, s5, v1
	s_delay_alu instid0(VALU_DEP_2) | instskip(SKIP_2) | instid1(VALU_DEP_3)
	v_cndmask_b32_e32 v10, v12, v10, vcc_lo
	v_sub_co_u32 v12, vcc_lo, v7, s4
	v_subrev_co_ci_u32_e32 v6, vcc_lo, 0, v6, vcc_lo
	v_cmp_ne_u32_e32 vcc_lo, 0, v10
	v_cndmask_b32_e64 v9, v13, v9, s2
	s_delay_alu instid0(VALU_DEP_3) | instskip(NEXT) | instid1(VALU_DEP_2)
	v_dual_cndmask_b32 v6, v8, v6 :: v_dual_cndmask_b32 v7, v7, v12
	v_cmp_ne_u32_e32 vcc_lo, 0, v9
	s_delay_alu instid0(VALU_DEP_2) | instskip(NEXT) | instid1(VALU_DEP_1)
	v_dual_cndmask_b32 v0, v0, v7 :: v_dual_cndmask_b32 v1, v1, v6
	v_xor_b32_e32 v0, v0, v11
	s_delay_alu instid0(VALU_DEP_2) | instskip(NEXT) | instid1(VALU_DEP_2)
	v_xor_b32_e32 v1, v1, v11
	v_sub_co_u32 v0, vcc_lo, v0, v11
	s_delay_alu instid0(VALU_DEP_2)
	v_sub_co_ci_u32_e32 v1, vcc_lo, v1, v11, vcc_lo
.LBB62_7:
	s_or_saveexec_b32 s2, s6
	s_clause 0x1
	s_load_b64 s[12:13], s[0:1], 0xa8
	s_load_b256 s[4:11], s[0:1], 0x88
	s_xor_b32 exec_lo, exec_lo, s2
	s_cbranch_execz .LBB62_9
; %bb.8:
	v_cvt_f32_u32_e32 v0, s18
	s_sub_i32 s16, 0, s18
	s_delay_alu instid0(VALU_DEP_1) | instskip(SKIP_2) | instid1(VALU_DEP_1)
	v_rcp_iflag_f32_e32 v0, v0
	s_waitcnt_depctr 0xfff
	v_mul_f32_e32 v0, 0x4f7ffffe, v0
	v_cvt_u32_f32_e32 v0, v0
	s_delay_alu instid0(VALU_DEP_1) | instskip(NEXT) | instid1(VALU_DEP_1)
	v_mul_lo_u32 v1, s16, v0
	v_mul_hi_u32 v1, v0, v1
	s_delay_alu instid0(VALU_DEP_1) | instskip(NEXT) | instid1(VALU_DEP_1)
	v_add_nc_u32_e32 v0, v0, v1
	v_mul_hi_u32 v0, v4, v0
	s_delay_alu instid0(VALU_DEP_1) | instskip(NEXT) | instid1(VALU_DEP_1)
	v_mul_lo_u32 v0, v0, s18
	v_sub_nc_u32_e32 v0, v4, v0
	s_delay_alu instid0(VALU_DEP_1) | instskip(SKIP_1) | instid1(VALU_DEP_2)
	v_subrev_nc_u32_e32 v1, s18, v0
	v_cmp_le_u32_e32 vcc_lo, s18, v0
	v_cndmask_b32_e32 v0, v0, v1, vcc_lo
	s_delay_alu instid0(VALU_DEP_1) | instskip(SKIP_1) | instid1(VALU_DEP_2)
	v_subrev_nc_u32_e32 v1, s18, v0
	v_cmp_le_u32_e32 vcc_lo, s18, v0
	v_dual_cndmask_b32 v0, v0, v1 :: v_dual_mov_b32 v1, 0
.LBB62_9:
	s_or_b32 exec_lo, exec_lo, s2
	s_clause 0x1
	s_load_b64 s[44:45], s[0:1], 0x58
	s_load_b64 s[46:47], s[0:1], 0x0
	v_or_b32_e32 v7, s20, v3
	v_mov_b32_e32 v6, 0
	s_delay_alu instid0(VALU_DEP_1) | instskip(SKIP_1) | instid1(SALU_CYCLE_1)
	v_cmp_ne_u64_e32 vcc_lo, 0, v[6:7]
                                        ; implicit-def: $vgpr6_vgpr7
	s_and_saveexec_b32 s2, vcc_lo
	s_xor_b32 s21, exec_lo, s2
	s_cbranch_execz .LBB62_11
; %bb.10:
	s_ashr_i32 s16, s20, 31
	s_delay_alu instid0(SALU_CYCLE_1) | instskip(SKIP_2) | instid1(SALU_CYCLE_1)
	s_add_u32 s18, s3, s16
	s_mov_b32 s17, s16
	s_addc_u32 s19, s20, s16
	s_xor_b64 s[18:19], s[18:19], s[16:17]
	s_delay_alu instid0(SALU_CYCLE_1) | instskip(SKIP_3) | instid1(VALU_DEP_1)
	v_cvt_f32_u32_e32 v6, s18
	v_cvt_f32_u32_e32 v7, s19
	s_sub_u32 s2, 0, s18
	s_subb_u32 s17, 0, s19
	v_fmamk_f32 v6, v7, 0x4f800000, v6
	s_delay_alu instid0(VALU_DEP_1) | instskip(SKIP_2) | instid1(VALU_DEP_1)
	v_rcp_f32_e32 v6, v6
	s_waitcnt_depctr 0xfff
	v_mul_f32_e32 v6, 0x5f7ffffc, v6
	v_mul_f32_e32 v7, 0x2f800000, v6
	s_delay_alu instid0(VALU_DEP_1) | instskip(NEXT) | instid1(VALU_DEP_1)
	v_trunc_f32_e32 v7, v7
	v_fmamk_f32 v6, v7, 0xcf800000, v6
	v_cvt_u32_f32_e32 v7, v7
	s_delay_alu instid0(VALU_DEP_2) | instskip(NEXT) | instid1(VALU_DEP_2)
	v_cvt_u32_f32_e32 v6, v6
	v_mul_lo_u32 v8, s2, v7
	s_delay_alu instid0(VALU_DEP_2) | instskip(SKIP_1) | instid1(VALU_DEP_2)
	v_mul_hi_u32 v9, s2, v6
	v_mul_lo_u32 v10, s17, v6
	v_add_nc_u32_e32 v8, v9, v8
	v_mul_lo_u32 v9, s2, v6
	s_delay_alu instid0(VALU_DEP_2) | instskip(NEXT) | instid1(VALU_DEP_2)
	v_add_nc_u32_e32 v8, v8, v10
	v_mul_hi_u32 v10, v6, v9
	s_delay_alu instid0(VALU_DEP_2)
	v_mul_lo_u32 v11, v6, v8
	v_mul_hi_u32 v12, v6, v8
	v_mul_hi_u32 v13, v7, v9
	v_mul_lo_u32 v9, v7, v9
	v_mul_hi_u32 v14, v7, v8
	v_mul_lo_u32 v8, v7, v8
	v_add_co_u32 v10, vcc_lo, v10, v11
	v_add_co_ci_u32_e32 v11, vcc_lo, 0, v12, vcc_lo
	s_delay_alu instid0(VALU_DEP_2) | instskip(NEXT) | instid1(VALU_DEP_2)
	v_add_co_u32 v9, vcc_lo, v10, v9
	v_add_co_ci_u32_e32 v9, vcc_lo, v11, v13, vcc_lo
	v_add_co_ci_u32_e32 v10, vcc_lo, 0, v14, vcc_lo
	v_ashrrev_i32_e32 v13, 31, v3
	s_delay_alu instid0(VALU_DEP_3) | instskip(NEXT) | instid1(VALU_DEP_3)
	v_add_co_u32 v8, vcc_lo, v9, v8
	v_add_co_ci_u32_e32 v9, vcc_lo, 0, v10, vcc_lo
	s_delay_alu instid0(VALU_DEP_2) | instskip(NEXT) | instid1(VALU_DEP_2)
	v_add_co_u32 v6, vcc_lo, v6, v8
	v_add_co_ci_u32_e32 v7, vcc_lo, v7, v9, vcc_lo
	s_delay_alu instid0(VALU_DEP_2) | instskip(SKIP_1) | instid1(VALU_DEP_3)
	v_mul_hi_u32 v8, s2, v6
	v_mul_lo_u32 v10, s17, v6
	v_mul_lo_u32 v9, s2, v7
	s_delay_alu instid0(VALU_DEP_1) | instskip(SKIP_1) | instid1(VALU_DEP_2)
	v_add_nc_u32_e32 v8, v8, v9
	v_mul_lo_u32 v9, s2, v6
	v_add_nc_u32_e32 v8, v8, v10
	s_delay_alu instid0(VALU_DEP_2) | instskip(NEXT) | instid1(VALU_DEP_2)
	v_mul_hi_u32 v10, v6, v9
	v_mul_lo_u32 v11, v6, v8
	v_mul_hi_u32 v12, v6, v8
	v_mul_hi_u32 v14, v7, v9
	v_mul_lo_u32 v9, v7, v9
	v_mul_hi_u32 v15, v7, v8
	v_mul_lo_u32 v8, v7, v8
	v_add_co_u32 v10, vcc_lo, v10, v11
	v_add_co_ci_u32_e32 v11, vcc_lo, 0, v12, vcc_lo
	s_delay_alu instid0(VALU_DEP_2) | instskip(NEXT) | instid1(VALU_DEP_2)
	v_add_co_u32 v9, vcc_lo, v10, v9
	v_add_co_ci_u32_e32 v9, vcc_lo, v11, v14, vcc_lo
	v_add_co_ci_u32_e32 v10, vcc_lo, 0, v15, vcc_lo
	v_add_co_u32 v11, vcc_lo, v2, v13
	v_add_co_ci_u32_e32 v12, vcc_lo, v3, v13, vcc_lo
	s_delay_alu instid0(VALU_DEP_4) | instskip(NEXT) | instid1(VALU_DEP_4)
	v_add_co_u32 v8, vcc_lo, v9, v8
	v_add_co_ci_u32_e32 v9, vcc_lo, 0, v10, vcc_lo
	s_delay_alu instid0(VALU_DEP_4) | instskip(NEXT) | instid1(VALU_DEP_3)
	v_xor_b32_e32 v14, v11, v13
	v_add_co_u32 v10, vcc_lo, v6, v8
	s_delay_alu instid0(VALU_DEP_3) | instskip(SKIP_1) | instid1(VALU_DEP_3)
	v_add_co_ci_u32_e32 v15, vcc_lo, v7, v9, vcc_lo
	v_xor_b32_e32 v12, v12, v13
	v_mul_hi_u32 v16, v14, v10
	s_delay_alu instid0(VALU_DEP_3) | instskip(NEXT) | instid1(VALU_DEP_3)
	v_mad_u64_u32 v[6:7], null, v14, v15, 0
	v_mad_u64_u32 v[8:9], null, v12, v10, 0
	;; [unrolled: 1-line block ×3, first 2 shown]
	s_delay_alu instid0(VALU_DEP_3) | instskip(NEXT) | instid1(VALU_DEP_4)
	v_add_co_u32 v6, vcc_lo, v16, v6
	v_add_co_ci_u32_e32 v7, vcc_lo, 0, v7, vcc_lo
	s_delay_alu instid0(VALU_DEP_2) | instskip(NEXT) | instid1(VALU_DEP_2)
	v_add_co_u32 v6, vcc_lo, v6, v8
	v_add_co_ci_u32_e32 v6, vcc_lo, v7, v9, vcc_lo
	v_add_co_ci_u32_e32 v7, vcc_lo, 0, v11, vcc_lo
	s_delay_alu instid0(VALU_DEP_2) | instskip(NEXT) | instid1(VALU_DEP_2)
	v_add_co_u32 v8, vcc_lo, v6, v10
	v_add_co_ci_u32_e32 v9, vcc_lo, 0, v7, vcc_lo
	s_delay_alu instid0(VALU_DEP_2) | instskip(SKIP_1) | instid1(VALU_DEP_3)
	v_mul_lo_u32 v10, s19, v8
	v_mad_u64_u32 v[6:7], null, s18, v8, 0
	v_mul_lo_u32 v11, s18, v9
	s_delay_alu instid0(VALU_DEP_2) | instskip(NEXT) | instid1(VALU_DEP_2)
	v_sub_co_u32 v6, vcc_lo, v14, v6
	v_add3_u32 v7, v7, v11, v10
	s_delay_alu instid0(VALU_DEP_1) | instskip(NEXT) | instid1(VALU_DEP_1)
	v_sub_nc_u32_e32 v10, v12, v7
	v_subrev_co_ci_u32_e64 v10, s2, s19, v10, vcc_lo
	v_add_co_u32 v11, s2, v8, 2
	s_delay_alu instid0(VALU_DEP_1) | instskip(SKIP_3) | instid1(VALU_DEP_3)
	v_add_co_ci_u32_e64 v14, s2, 0, v9, s2
	v_sub_co_u32 v15, s2, v6, s18
	v_sub_co_ci_u32_e32 v7, vcc_lo, v12, v7, vcc_lo
	v_subrev_co_ci_u32_e64 v10, s2, 0, v10, s2
	v_cmp_le_u32_e32 vcc_lo, s18, v15
	s_delay_alu instid0(VALU_DEP_3) | instskip(SKIP_1) | instid1(VALU_DEP_4)
	v_cmp_eq_u32_e64 s2, s19, v7
	v_cndmask_b32_e64 v12, 0, -1, vcc_lo
	v_cmp_le_u32_e32 vcc_lo, s19, v10
	v_cndmask_b32_e64 v15, 0, -1, vcc_lo
	v_cmp_le_u32_e32 vcc_lo, s18, v6
	;; [unrolled: 2-line block ×3, first 2 shown]
	v_cndmask_b32_e64 v16, 0, -1, vcc_lo
	v_cmp_eq_u32_e32 vcc_lo, s19, v10
	s_delay_alu instid0(VALU_DEP_2) | instskip(SKIP_3) | instid1(VALU_DEP_3)
	v_cndmask_b32_e64 v6, v16, v6, s2
	v_cndmask_b32_e32 v10, v15, v12, vcc_lo
	v_add_co_u32 v12, vcc_lo, v8, 1
	v_add_co_ci_u32_e32 v15, vcc_lo, 0, v9, vcc_lo
	v_cmp_ne_u32_e32 vcc_lo, 0, v10
	s_delay_alu instid0(VALU_DEP_2) | instskip(SKIP_2) | instid1(VALU_DEP_3)
	v_dual_cndmask_b32 v7, v15, v14 :: v_dual_cndmask_b32 v10, v12, v11
	v_cmp_ne_u32_e32 vcc_lo, 0, v6
	v_xor_b32_e32 v11, s16, v13
	v_dual_cndmask_b32 v6, v9, v7 :: v_dual_cndmask_b32 v7, v8, v10
	s_delay_alu instid0(VALU_DEP_1) | instskip(NEXT) | instid1(VALU_DEP_2)
	v_xor_b32_e32 v8, v6, v11
	v_xor_b32_e32 v7, v7, v11
	s_delay_alu instid0(VALU_DEP_1) | instskip(NEXT) | instid1(VALU_DEP_3)
	v_sub_co_u32 v6, vcc_lo, v7, v11
	v_sub_co_ci_u32_e32 v7, vcc_lo, v8, v11, vcc_lo
.LBB62_11:
	s_or_saveexec_b32 s2, s21
	s_load_b512 s[16:31], s[0:1], 0x18
	s_xor_b32 exec_lo, exec_lo, s2
	s_cbranch_execz .LBB62_13
; %bb.12:
	v_cvt_f32_u32_e32 v6, s3
	s_sub_i32 s33, 0, s3
	s_delay_alu instid0(VALU_DEP_1) | instskip(SKIP_2) | instid1(VALU_DEP_1)
	v_rcp_iflag_f32_e32 v6, v6
	s_waitcnt_depctr 0xfff
	v_mul_f32_e32 v6, 0x4f7ffffe, v6
	v_cvt_u32_f32_e32 v6, v6
	s_delay_alu instid0(VALU_DEP_1) | instskip(NEXT) | instid1(VALU_DEP_1)
	v_mul_lo_u32 v7, s33, v6
	v_mul_hi_u32 v7, v6, v7
	s_delay_alu instid0(VALU_DEP_1) | instskip(NEXT) | instid1(VALU_DEP_1)
	v_add_nc_u32_e32 v6, v6, v7
	v_mul_hi_u32 v6, v2, v6
	s_delay_alu instid0(VALU_DEP_1) | instskip(SKIP_1) | instid1(VALU_DEP_2)
	v_mul_lo_u32 v7, v6, s3
	v_add_nc_u32_e32 v8, 1, v6
	v_sub_nc_u32_e32 v7, v2, v7
	s_delay_alu instid0(VALU_DEP_1) | instskip(SKIP_1) | instid1(VALU_DEP_2)
	v_subrev_nc_u32_e32 v9, s3, v7
	v_cmp_le_u32_e32 vcc_lo, s3, v7
	v_dual_cndmask_b32 v7, v7, v9 :: v_dual_cndmask_b32 v6, v6, v8
	s_delay_alu instid0(VALU_DEP_1) | instskip(NEXT) | instid1(VALU_DEP_2)
	v_cmp_le_u32_e32 vcc_lo, s3, v7
	v_dual_mov_b32 v7, 0 :: v_dual_add_nc_u32 v8, 1, v6
	s_delay_alu instid0(VALU_DEP_1)
	v_cndmask_b32_e32 v6, v6, v8, vcc_lo
.LBB62_13:
	s_or_b32 exec_lo, exec_lo, s2
	s_load_b256 s[36:43], s[0:1], 0xb0
	v_mul_lo_u32 v5, v5, s34
	v_mul_lo_u32 v10, v4, s35
	v_mad_u64_u32 v[8:9], null, v4, s34, 0
	s_load_b64 s[0:1], s[0:1], 0xd0
	s_delay_alu instid0(VALU_DEP_1) | instskip(NEXT) | instid1(VALU_DEP_2)
	v_add3_u32 v4, v9, v10, v5
	v_sub_co_u32 v10, vcc_lo, v2, v8
	s_delay_alu instid0(VALU_DEP_2)
	v_sub_co_ci_u32_e32 v11, vcc_lo, v3, v4, vcc_lo
	s_waitcnt lgkmcnt(0)
	s_sub_u32 s2, 0, s36
	s_subb_u32 s3, 0, s37
	s_sub_u32 s34, 0, s38
	v_cmp_gt_i64_e64 s50, s[2:3], 0
	s_subb_u32 s35, 0, s39
	v_cmp_gt_i64_e64 s33, s[36:37], 0
	s_sub_u32 s48, 0, s40
	s_subb_u32 s49, 0, s41
	v_cmp_gt_i64_e64 s54, s[34:35], 0
	v_cmp_gt_i64_e64 s52, s[38:39], 0
	;; [unrolled: 1-line block ×4, first 2 shown]
	s_and_b32 s50, s50, exec_lo
	s_cselect_b32 s56, s3, 0
	s_cselect_b32 s57, s2, 0
	s_and_b32 s2, s33, exec_lo
	s_cselect_b32 s51, s37, 0
	s_cselect_b32 s50, s36, 0
	;; [unrolled: 3-line block ×5, first 2 shown]
	s_and_b32 s2, s53, exec_lo
	v_sub_co_u32 v2, vcc_lo, v10, s36
	s_cselect_b32 s3, s41, 0
	s_cselect_b32 s2, s40, 0
	s_add_u32 s48, s20, s36
	v_subrev_co_ci_u32_e32 v3, vcc_lo, s37, v11, vcc_lo
	s_addc_u32 s49, s21, s37
	v_sub_co_u32 v4, vcc_lo, v10, s48
	v_subrev_co_ci_u32_e32 v5, vcc_lo, s49, v11, vcc_lo
	s_delay_alu instid0(VALU_DEP_3) | instskip(NEXT) | instid1(VALU_DEP_3)
	v_ashrrev_i32_e32 v8, 31, v3
	v_add_co_u32 v4, vcc_lo, v4, 1
	s_delay_alu instid0(VALU_DEP_3) | instskip(NEXT) | instid1(VALU_DEP_3)
	v_add_co_ci_u32_e32 v5, vcc_lo, 0, v5, vcc_lo
	v_xor_b32_e32 v2, v2, v8
	v_xor_b32_e32 v3, v3, v8
	s_lshl_b64 s[36:37], s[36:37], 1
	s_delay_alu instid0(VALU_DEP_3) | instskip(SKIP_3) | instid1(VALU_DEP_3)
	v_ashrrev_i32_e32 v9, 31, v5
	s_not_b64 s[48:49], s[50:51]
	v_sub_co_u32 v2, vcc_lo, v2, v8
	v_sub_co_ci_u32_e32 v3, vcc_lo, v3, v8, vcc_lo
	v_xor_b32_e32 v4, v4, v9
	v_xor_b32_e32 v5, v5, v9
	s_add_u32 s36, s36, s48
	s_addc_u32 s37, s37, s49
	s_add_u32 s36, s36, s57
	v_sub_co_u32 v4, vcc_lo, v4, v9
	v_sub_co_ci_u32_e32 v5, vcc_lo, v5, v9, vcc_lo
	s_addc_u32 s37, s37, s56
	s_delay_alu instid0(VALU_DEP_2) | instskip(NEXT) | instid1(VALU_DEP_2)
	v_add_co_u32 v4, vcc_lo, v10, v4
	v_add_co_ci_u32_e32 v5, vcc_lo, v11, v5, vcc_lo
	v_sub_co_u32 v8, vcc_lo, v0, s38
	s_add_u32 s20, s36, s20
	v_subrev_co_ci_u32_e32 v9, vcc_lo, s39, v1, vcc_lo
	s_addc_u32 s21, s37, s21
	v_sub_co_u32 v4, vcc_lo, s20, v4
	s_add_u32 s20, s18, s38
	v_sub_co_ci_u32_e32 v5, vcc_lo, s21, v5, vcc_lo
	s_addc_u32 s21, s19, s39
	v_sub_co_u32 v13, vcc_lo, v0, s20
	v_subrev_co_ci_u32_e32 v14, vcc_lo, s21, v1, vcc_lo
	v_ashrrev_i32_e32 v12, 31, v9
	s_delay_alu instid0(VALU_DEP_3) | instskip(NEXT) | instid1(VALU_DEP_3)
	v_add_co_u32 v13, vcc_lo, v13, 1
	v_add_co_ci_u32_e32 v14, vcc_lo, 0, v14, vcc_lo
	v_add_co_u32 v15, vcc_lo, v4, v2
	v_add_co_ci_u32_e32 v16, vcc_lo, v5, v3, vcc_lo
	s_delay_alu instid0(VALU_DEP_3)
	v_ashrrev_i32_e32 v3, 31, v14
	v_xor_b32_e32 v8, v8, v12
	v_xor_b32_e32 v2, v9, v12
	s_lshl_b64 s[20:21], s[38:39], 1
	s_not_b64 s[34:35], s[34:35]
	v_xor_b32_e32 v5, v13, v3
	v_sub_co_u32 v4, vcc_lo, v8, v12
	v_xor_b32_e32 v8, v14, v3
	v_sub_co_ci_u32_e32 v2, vcc_lo, v2, v12, vcc_lo
	s_delay_alu instid0(VALU_DEP_4) | instskip(NEXT) | instid1(VALU_DEP_3)
	v_sub_co_u32 v5, vcc_lo, v5, v3
	v_sub_co_ci_u32_e32 v3, vcc_lo, v8, v3, vcc_lo
	s_add_u32 s20, s20, s34
	s_delay_alu instid0(VALU_DEP_2)
	v_add_co_u32 v5, vcc_lo, v0, v5
	s_addc_u32 s21, s21, s35
	s_add_u32 s20, s20, s54
	v_add_co_ci_u32_e32 v3, vcc_lo, v1, v3, vcc_lo
	s_addc_u32 s21, s21, s33
	v_sub_co_u32 v8, vcc_lo, v6, s40
	s_add_u32 s18, s20, s18
	v_subrev_co_ci_u32_e32 v9, vcc_lo, s41, v7, vcc_lo
	s_addc_u32 s19, s21, s19
	v_sub_co_u32 v5, vcc_lo, s18, v5
	s_add_u32 s18, s16, s40
	v_sub_co_ci_u32_e32 v3, vcc_lo, s19, v3, vcc_lo
	s_addc_u32 s19, s17, s41
	v_sub_co_u32 v13, vcc_lo, v6, s18
	v_subrev_co_ci_u32_e32 v14, vcc_lo, s19, v7, vcc_lo
	v_ashrrev_i32_e32 v12, 31, v9
	s_delay_alu instid0(VALU_DEP_3) | instskip(NEXT) | instid1(VALU_DEP_3)
	v_add_co_u32 v13, vcc_lo, v13, 1
	v_add_co_ci_u32_e32 v14, vcc_lo, 0, v14, vcc_lo
	v_add_co_u32 v17, vcc_lo, v5, v4
	s_delay_alu instid0(VALU_DEP_4) | instskip(SKIP_1) | instid1(VALU_DEP_4)
	v_xor_b32_e32 v8, v8, v12
	v_add_co_ci_u32_e32 v4, vcc_lo, v3, v2, vcc_lo
	v_ashrrev_i32_e32 v3, 31, v14
	v_xor_b32_e32 v2, v9, v12
	s_delay_alu instid0(VALU_DEP_4) | instskip(SKIP_1) | instid1(VALU_DEP_3)
	v_sub_co_u32 v5, vcc_lo, v8, v12
	s_lshl_b64 s[18:19], s[40:41], 1
	v_xor_b32_e32 v8, v13, v3
	v_xor_b32_e32 v9, v14, v3
	v_sub_co_ci_u32_e32 v2, vcc_lo, v2, v12, vcc_lo
	s_not_b64 s[2:3], s[2:3]
	s_delay_alu instid0(VALU_DEP_3) | instskip(NEXT) | instid1(VALU_DEP_3)
	v_sub_co_u32 v8, vcc_lo, v8, v3
	v_sub_co_ci_u32_e32 v3, vcc_lo, v9, v3, vcc_lo
	s_add_u32 s2, s18, s2
	s_addc_u32 s3, s19, s3
	s_delay_alu instid0(VALU_DEP_2)
	v_add_co_u32 v8, vcc_lo, v6, v8
	s_add_u32 s2, s2, s55
	s_addc_u32 s3, s3, s52
	v_add_co_ci_u32_e32 v3, vcc_lo, v7, v3, vcc_lo
	s_add_u32 s2, s2, s16
	s_addc_u32 s3, s3, s17
	v_sub_co_u32 v8, vcc_lo, s2, v8
	s_delay_alu instid0(VALU_DEP_2) | instskip(SKIP_1) | instid1(VALU_DEP_2)
	v_sub_co_ci_u32_e32 v3, vcc_lo, s3, v3, vcc_lo
	s_add_u32 s14, s14, s42
	v_add_co_u32 v5, vcc_lo, v8, v5
	s_delay_alu instid0(VALU_DEP_2)
	v_add_co_ci_u32_e32 v2, vcc_lo, v3, v2, vcc_lo
	s_addc_u32 s16, 0, s43
	s_add_u32 s15, s15, s0
	s_addc_u32 s17, 0, s1
	s_mul_hi_u32 s1, s22, s15
	s_mul_i32 s0, s22, s17
	v_mul_lo_u32 v8, v2, s26
	v_mul_lo_u32 v9, v5, s27
	v_mad_u64_u32 v[2:3], null, v5, s26, 0
	s_add_i32 s0, s1, s0
	s_mul_i32 s1, s23, s15
	v_mul_lo_u32 v12, v4, s28
	s_add_i32 s1, s0, s1
	s_mul_i32 s0, s22, s15
	v_mul_lo_u32 v13, v17, s29
	v_mad_u64_u32 v[4:5], null, v17, s28, 0
	s_lshl_b64 s[0:1], s[0:1], 3
	v_add3_u32 v3, v3, v9, v8
	s_add_u32 s2, s46, s0
	s_addc_u32 s3, s47, s1
	s_mul_i32 s0, s24, s16
	s_mul_hi_u32 s1, s24, s14
	v_mul_lo_u32 v14, v16, s30
	v_mul_lo_u32 v16, v15, s31
	v_mad_u64_u32 v[8:9], null, v15, s30, 0
	s_add_i32 s0, s1, s0
	s_mul_i32 s1, s25, s14
	v_add3_u32 v5, v5, v13, v12
	s_add_i32 s1, s0, s1
	s_mul_i32 s0, s24, s14
	v_lshlrev_b64 v[2:3], 3, v[2:3]
	s_lshl_b64 s[0:1], s[0:1], 3
	v_lshlrev_b64 v[4:5], 3, v[4:5]
	s_add_u32 s0, s2, s0
	v_add3_u32 v9, v9, v16, v14
	s_addc_u32 s1, s3, s1
	v_add_co_u32 v12, vcc_lo, s0, v2
	v_add_co_ci_u32_e32 v13, vcc_lo, s1, v3, vcc_lo
	s_delay_alu instid0(VALU_DEP_3) | instskip(NEXT) | instid1(VALU_DEP_3)
	v_lshlrev_b64 v[2:3], 3, v[8:9]
	v_add_co_u32 v4, vcc_lo, v12, v4
	s_delay_alu instid0(VALU_DEP_3) | instskip(SKIP_1) | instid1(VALU_DEP_2)
	v_add_co_ci_u32_e32 v5, vcc_lo, v13, v5, vcc_lo
	s_mul_i32 s0, s4, s17
	v_add_co_u32 v2, vcc_lo, v4, v2
	s_delay_alu instid0(VALU_DEP_2)
	v_add_co_ci_u32_e32 v3, vcc_lo, v5, v3, vcc_lo
	s_mul_hi_u32 s1, s4, s15
	v_mul_lo_u32 v8, v7, s8
	v_mul_lo_u32 v9, v6, s9
	global_load_b64 v[2:3], v[2:3], off
	v_mad_u64_u32 v[4:5], null, v6, s8, 0
	s_add_i32 s0, s1, s0
	s_mul_i32 s1, s5, s15
	v_mul_lo_u32 v12, v1, s10
	s_add_i32 s1, s0, s1
	s_mul_i32 s0, s4, s15
	v_mul_lo_u32 v13, v0, s11
	v_mad_u64_u32 v[6:7], null, v0, s10, 0
	s_lshl_b64 s[0:1], s[0:1], 3
	v_add3_u32 v5, v5, v9, v8
	s_add_u32 s2, s44, s0
	s_addc_u32 s3, s45, s1
	s_mul_i32 s0, s6, s16
	s_mul_hi_u32 s1, s6, s14
	v_mul_lo_u32 v8, v11, s12
	v_mul_lo_u32 v9, v10, s13
	v_mad_u64_u32 v[0:1], null, v10, s12, 0
	s_add_i32 s0, s1, s0
	s_mul_i32 s1, s7, s14
	v_add3_u32 v7, v7, v13, v12
	s_add_i32 s1, s0, s1
	s_mul_i32 s0, s6, s14
	v_lshlrev_b64 v[4:5], 3, v[4:5]
	s_lshl_b64 s[0:1], s[0:1], 3
	v_lshlrev_b64 v[6:7], 3, v[6:7]
	s_add_u32 s0, s2, s0
	v_add3_u32 v1, v1, v9, v8
	s_addc_u32 s1, s3, s1
	v_add_co_u32 v4, vcc_lo, s0, v4
	v_add_co_ci_u32_e32 v5, vcc_lo, s1, v5, vcc_lo
	s_delay_alu instid0(VALU_DEP_3) | instskip(NEXT) | instid1(VALU_DEP_3)
	v_lshlrev_b64 v[0:1], 3, v[0:1]
	v_add_co_u32 v4, vcc_lo, v4, v6
	s_delay_alu instid0(VALU_DEP_3) | instskip(NEXT) | instid1(VALU_DEP_2)
	v_add_co_ci_u32_e32 v5, vcc_lo, v5, v7, vcc_lo
	v_add_co_u32 v0, vcc_lo, v4, v0
	s_delay_alu instid0(VALU_DEP_2)
	v_add_co_ci_u32_e32 v1, vcc_lo, v5, v1, vcc_lo
	s_waitcnt vmcnt(0)
	global_store_b64 v[0:1], v[2:3], off
.LBB62_14:
	s_nop 0
	s_sendmsg sendmsg(MSG_DEALLOC_VGPRS)
	s_endpgm
	.section	.rodata,"a",@progbits
	.p2align	6, 0x0
	.amdhsa_kernel _ZN2at6native12_GLOBAL__N_127reflection_pad3d_out_kernelIdEEvN5torch10headeronly6detail27GenericPackedTensorAccessorINS5_14TensorAccessorIN3c108ArrayRefIlEEKT_Lm4ENS4_16DefaultPtrTraitsElEENS_6detail16IndexBoundsCheckILm5ElEESC_Lm5ESD_lEENS6_INS7_ISA_SB_Lm4ESD_lEESH_SB_Lm5ESD_lEElllll
		.amdhsa_group_segment_fixed_size 0
		.amdhsa_private_segment_fixed_size 0
		.amdhsa_kernarg_size 472
		.amdhsa_user_sgpr_count 13
		.amdhsa_user_sgpr_dispatch_ptr 0
		.amdhsa_user_sgpr_queue_ptr 0
		.amdhsa_user_sgpr_kernarg_segment_ptr 1
		.amdhsa_user_sgpr_dispatch_id 0
		.amdhsa_user_sgpr_private_segment_size 0
		.amdhsa_wavefront_size32 1
		.amdhsa_uses_dynamic_stack 0
		.amdhsa_enable_private_segment 0
		.amdhsa_system_sgpr_workgroup_id_x 1
		.amdhsa_system_sgpr_workgroup_id_y 1
		.amdhsa_system_sgpr_workgroup_id_z 1
		.amdhsa_system_sgpr_workgroup_info 0
		.amdhsa_system_vgpr_workitem_id 0
		.amdhsa_next_free_vgpr 18
		.amdhsa_next_free_sgpr 58
		.amdhsa_reserve_vcc 1
		.amdhsa_float_round_mode_32 0
		.amdhsa_float_round_mode_16_64 0
		.amdhsa_float_denorm_mode_32 3
		.amdhsa_float_denorm_mode_16_64 3
		.amdhsa_dx10_clamp 1
		.amdhsa_ieee_mode 1
		.amdhsa_fp16_overflow 0
		.amdhsa_workgroup_processor_mode 1
		.amdhsa_memory_ordered 1
		.amdhsa_forward_progress 0
		.amdhsa_shared_vgpr_count 0
		.amdhsa_exception_fp_ieee_invalid_op 0
		.amdhsa_exception_fp_denorm_src 0
		.amdhsa_exception_fp_ieee_div_zero 0
		.amdhsa_exception_fp_ieee_overflow 0
		.amdhsa_exception_fp_ieee_underflow 0
		.amdhsa_exception_fp_ieee_inexact 0
		.amdhsa_exception_int_div_zero 0
	.end_amdhsa_kernel
	.section	.text._ZN2at6native12_GLOBAL__N_127reflection_pad3d_out_kernelIdEEvN5torch10headeronly6detail27GenericPackedTensorAccessorINS5_14TensorAccessorIN3c108ArrayRefIlEEKT_Lm4ENS4_16DefaultPtrTraitsElEENS_6detail16IndexBoundsCheckILm5ElEESC_Lm5ESD_lEENS6_INS7_ISA_SB_Lm4ESD_lEESH_SB_Lm5ESD_lEElllll,"axG",@progbits,_ZN2at6native12_GLOBAL__N_127reflection_pad3d_out_kernelIdEEvN5torch10headeronly6detail27GenericPackedTensorAccessorINS5_14TensorAccessorIN3c108ArrayRefIlEEKT_Lm4ENS4_16DefaultPtrTraitsElEENS_6detail16IndexBoundsCheckILm5ElEESC_Lm5ESD_lEENS6_INS7_ISA_SB_Lm4ESD_lEESH_SB_Lm5ESD_lEElllll,comdat
.Lfunc_end62:
	.size	_ZN2at6native12_GLOBAL__N_127reflection_pad3d_out_kernelIdEEvN5torch10headeronly6detail27GenericPackedTensorAccessorINS5_14TensorAccessorIN3c108ArrayRefIlEEKT_Lm4ENS4_16DefaultPtrTraitsElEENS_6detail16IndexBoundsCheckILm5ElEESC_Lm5ESD_lEENS6_INS7_ISA_SB_Lm4ESD_lEESH_SB_Lm5ESD_lEElllll, .Lfunc_end62-_ZN2at6native12_GLOBAL__N_127reflection_pad3d_out_kernelIdEEvN5torch10headeronly6detail27GenericPackedTensorAccessorINS5_14TensorAccessorIN3c108ArrayRefIlEEKT_Lm4ENS4_16DefaultPtrTraitsElEENS_6detail16IndexBoundsCheckILm5ElEESC_Lm5ESD_lEENS6_INS7_ISA_SB_Lm4ESD_lEESH_SB_Lm5ESD_lEElllll
                                        ; -- End function
	.section	.AMDGPU.csdata,"",@progbits
; Kernel info:
; codeLenInByte = 4444
; NumSgprs: 60
; NumVgprs: 18
; ScratchSize: 0
; MemoryBound: 0
; FloatMode: 240
; IeeeMode: 1
; LDSByteSize: 0 bytes/workgroup (compile time only)
; SGPRBlocks: 7
; VGPRBlocks: 2
; NumSGPRsForWavesPerEU: 60
; NumVGPRsForWavesPerEU: 18
; Occupancy: 16
; WaveLimiterHint : 0
; COMPUTE_PGM_RSRC2:SCRATCH_EN: 0
; COMPUTE_PGM_RSRC2:USER_SGPR: 13
; COMPUTE_PGM_RSRC2:TRAP_HANDLER: 0
; COMPUTE_PGM_RSRC2:TGID_X_EN: 1
; COMPUTE_PGM_RSRC2:TGID_Y_EN: 1
; COMPUTE_PGM_RSRC2:TGID_Z_EN: 1
; COMPUTE_PGM_RSRC2:TIDIG_COMP_CNT: 0
	.section	.text._ZN2at6native12_GLOBAL__N_127reflection_pad3d_out_kernelIfEEvN5torch10headeronly6detail27GenericPackedTensorAccessorINS5_14TensorAccessorIN3c108ArrayRefIlEEKT_Lm4ENS4_16DefaultPtrTraitsElEENS_6detail16IndexBoundsCheckILm5ElEESC_Lm5ESD_lEENS6_INS7_ISA_SB_Lm4ESD_lEESH_SB_Lm5ESD_lEElllll,"axG",@progbits,_ZN2at6native12_GLOBAL__N_127reflection_pad3d_out_kernelIfEEvN5torch10headeronly6detail27GenericPackedTensorAccessorINS5_14TensorAccessorIN3c108ArrayRefIlEEKT_Lm4ENS4_16DefaultPtrTraitsElEENS_6detail16IndexBoundsCheckILm5ElEESC_Lm5ESD_lEENS6_INS7_ISA_SB_Lm4ESD_lEESH_SB_Lm5ESD_lEElllll,comdat
	.globl	_ZN2at6native12_GLOBAL__N_127reflection_pad3d_out_kernelIfEEvN5torch10headeronly6detail27GenericPackedTensorAccessorINS5_14TensorAccessorIN3c108ArrayRefIlEEKT_Lm4ENS4_16DefaultPtrTraitsElEENS_6detail16IndexBoundsCheckILm5ElEESC_Lm5ESD_lEENS6_INS7_ISA_SB_Lm4ESD_lEESH_SB_Lm5ESD_lEElllll ; -- Begin function _ZN2at6native12_GLOBAL__N_127reflection_pad3d_out_kernelIfEEvN5torch10headeronly6detail27GenericPackedTensorAccessorINS5_14TensorAccessorIN3c108ArrayRefIlEEKT_Lm4ENS4_16DefaultPtrTraitsElEENS_6detail16IndexBoundsCheckILm5ElEESC_Lm5ESD_lEENS6_INS7_ISA_SB_Lm4ESD_lEESH_SB_Lm5ESD_lEElllll
	.p2align	8
	.type	_ZN2at6native12_GLOBAL__N_127reflection_pad3d_out_kernelIfEEvN5torch10headeronly6detail27GenericPackedTensorAccessorINS5_14TensorAccessorIN3c108ArrayRefIlEEKT_Lm4ENS4_16DefaultPtrTraitsElEENS_6detail16IndexBoundsCheckILm5ElEESC_Lm5ESD_lEENS6_INS7_ISA_SB_Lm4ESD_lEESH_SB_Lm5ESD_lEElllll,@function
_ZN2at6native12_GLOBAL__N_127reflection_pad3d_out_kernelIfEEvN5torch10headeronly6detail27GenericPackedTensorAccessorINS5_14TensorAccessorIN3c108ArrayRefIlEEKT_Lm4ENS4_16DefaultPtrTraitsElEENS_6detail16IndexBoundsCheckILm5ElEESC_Lm5ESD_lEENS6_INS7_ISA_SB_Lm4ESD_lEESH_SB_Lm5ESD_lEElllll: ; @_ZN2at6native12_GLOBAL__N_127reflection_pad3d_out_kernelIfEEvN5torch10headeronly6detail27GenericPackedTensorAccessorINS5_14TensorAccessorIN3c108ArrayRefIlEEKT_Lm4ENS4_16DefaultPtrTraitsElEENS_6detail16IndexBoundsCheckILm5ElEESC_Lm5ESD_lEENS6_INS7_ISA_SB_Lm4ESD_lEESH_SB_Lm5ESD_lEElllll
; %bb.0:
	s_clause 0x2
	s_load_b32 s2, s[0:1], 0xe4
	s_load_b128 s[16:19], s[0:1], 0x70
	s_load_b64 s[34:35], s[0:1], 0x80
	v_mov_b32_e32 v4, 0
	s_delay_alu instid0(VALU_DEP_1)
	v_mov_b32_e32 v1, v4
	s_waitcnt lgkmcnt(0)
	s_and_b32 s2, s2, 0xffff
	s_mul_i32 s4, s34, s19
	s_mul_hi_u32 s5, s34, s18
	s_mul_i32 s6, s35, s18
	s_mul_i32 s3, s34, s18
	v_mad_u64_u32 v[2:3], null, s2, s13, v[0:1]
	s_add_i32 s20, s5, s4
	s_mul_i32 s2, s3, s17
	s_mul_hi_u32 s4, s3, s16
	s_add_i32 s20, s20, s6
	s_add_i32 s2, s4, s2
	s_mul_i32 s4, s20, s16
	s_delay_alu instid0(SALU_CYCLE_1)
	s_add_i32 s5, s2, s4
	s_mul_i32 s4, s3, s16
	s_mov_b32 s2, exec_lo
	v_cmpx_gt_i64_e64 s[4:5], v[2:3]
	s_cbranch_execz .LBB63_14
; %bb.1:
	v_or_b32_e32 v5, s35, v3
	s_delay_alu instid0(VALU_DEP_1) | instskip(SKIP_1) | instid1(SALU_CYCLE_1)
	v_cmp_ne_u64_e32 vcc_lo, 0, v[4:5]
                                        ; implicit-def: $vgpr4_vgpr5
	s_and_saveexec_b32 s2, vcc_lo
	s_xor_b32 s8, exec_lo, s2
	s_cbranch_execz .LBB63_3
; %bb.2:
	s_ashr_i32 s4, s35, 31
	s_delay_alu instid0(SALU_CYCLE_1) | instskip(SKIP_2) | instid1(SALU_CYCLE_1)
	s_add_u32 s6, s34, s4
	s_mov_b32 s5, s4
	s_addc_u32 s7, s35, s4
	s_xor_b64 s[6:7], s[6:7], s[4:5]
	s_delay_alu instid0(SALU_CYCLE_1) | instskip(SKIP_3) | instid1(VALU_DEP_1)
	v_cvt_f32_u32_e32 v0, s6
	v_cvt_f32_u32_e32 v1, s7
	s_sub_u32 s2, 0, s6
	s_subb_u32 s5, 0, s7
	v_fmamk_f32 v0, v1, 0x4f800000, v0
	s_delay_alu instid0(VALU_DEP_1) | instskip(SKIP_2) | instid1(VALU_DEP_1)
	v_rcp_f32_e32 v0, v0
	s_waitcnt_depctr 0xfff
	v_mul_f32_e32 v0, 0x5f7ffffc, v0
	v_mul_f32_e32 v1, 0x2f800000, v0
	s_delay_alu instid0(VALU_DEP_1) | instskip(NEXT) | instid1(VALU_DEP_1)
	v_trunc_f32_e32 v1, v1
	v_fmamk_f32 v0, v1, 0xcf800000, v0
	v_cvt_u32_f32_e32 v1, v1
	s_delay_alu instid0(VALU_DEP_2) | instskip(NEXT) | instid1(VALU_DEP_2)
	v_cvt_u32_f32_e32 v0, v0
	v_mul_lo_u32 v4, s2, v1
	s_delay_alu instid0(VALU_DEP_2) | instskip(SKIP_1) | instid1(VALU_DEP_2)
	v_mul_hi_u32 v5, s2, v0
	v_mul_lo_u32 v6, s5, v0
	v_add_nc_u32_e32 v4, v5, v4
	v_mul_lo_u32 v5, s2, v0
	s_delay_alu instid0(VALU_DEP_2) | instskip(NEXT) | instid1(VALU_DEP_2)
	v_add_nc_u32_e32 v4, v4, v6
	v_mul_hi_u32 v6, v0, v5
	s_delay_alu instid0(VALU_DEP_2)
	v_mul_lo_u32 v7, v0, v4
	v_mul_hi_u32 v8, v0, v4
	v_mul_hi_u32 v9, v1, v5
	v_mul_lo_u32 v5, v1, v5
	v_mul_hi_u32 v10, v1, v4
	v_mul_lo_u32 v4, v1, v4
	v_add_co_u32 v6, vcc_lo, v6, v7
	v_add_co_ci_u32_e32 v7, vcc_lo, 0, v8, vcc_lo
	s_delay_alu instid0(VALU_DEP_2) | instskip(NEXT) | instid1(VALU_DEP_2)
	v_add_co_u32 v5, vcc_lo, v6, v5
	v_add_co_ci_u32_e32 v5, vcc_lo, v7, v9, vcc_lo
	v_add_co_ci_u32_e32 v6, vcc_lo, 0, v10, vcc_lo
	v_ashrrev_i32_e32 v9, 31, v3
	s_delay_alu instid0(VALU_DEP_3) | instskip(NEXT) | instid1(VALU_DEP_3)
	v_add_co_u32 v4, vcc_lo, v5, v4
	v_add_co_ci_u32_e32 v5, vcc_lo, 0, v6, vcc_lo
	s_delay_alu instid0(VALU_DEP_2) | instskip(NEXT) | instid1(VALU_DEP_2)
	v_add_co_u32 v0, vcc_lo, v0, v4
	v_add_co_ci_u32_e32 v1, vcc_lo, v1, v5, vcc_lo
	s_delay_alu instid0(VALU_DEP_2) | instskip(SKIP_1) | instid1(VALU_DEP_3)
	v_mul_hi_u32 v4, s2, v0
	v_mul_lo_u32 v6, s5, v0
	v_mul_lo_u32 v5, s2, v1
	s_delay_alu instid0(VALU_DEP_1) | instskip(SKIP_1) | instid1(VALU_DEP_2)
	v_add_nc_u32_e32 v4, v4, v5
	v_mul_lo_u32 v5, s2, v0
	v_add_nc_u32_e32 v4, v4, v6
	s_delay_alu instid0(VALU_DEP_2) | instskip(NEXT) | instid1(VALU_DEP_2)
	v_mul_hi_u32 v6, v0, v5
	v_mul_lo_u32 v7, v0, v4
	v_mul_hi_u32 v8, v0, v4
	v_mul_hi_u32 v10, v1, v5
	v_mul_lo_u32 v5, v1, v5
	v_mul_hi_u32 v11, v1, v4
	v_mul_lo_u32 v4, v1, v4
	v_add_co_u32 v6, vcc_lo, v6, v7
	v_add_co_ci_u32_e32 v7, vcc_lo, 0, v8, vcc_lo
	s_delay_alu instid0(VALU_DEP_2) | instskip(NEXT) | instid1(VALU_DEP_2)
	v_add_co_u32 v5, vcc_lo, v6, v5
	v_add_co_ci_u32_e32 v5, vcc_lo, v7, v10, vcc_lo
	v_add_co_ci_u32_e32 v6, vcc_lo, 0, v11, vcc_lo
	v_add_co_u32 v7, vcc_lo, v2, v9
	v_add_co_ci_u32_e32 v8, vcc_lo, v3, v9, vcc_lo
	s_delay_alu instid0(VALU_DEP_4) | instskip(NEXT) | instid1(VALU_DEP_4)
	v_add_co_u32 v4, vcc_lo, v5, v4
	v_add_co_ci_u32_e32 v5, vcc_lo, 0, v6, vcc_lo
	s_delay_alu instid0(VALU_DEP_4) | instskip(NEXT) | instid1(VALU_DEP_3)
	v_xor_b32_e32 v10, v7, v9
	v_add_co_u32 v6, vcc_lo, v0, v4
	s_delay_alu instid0(VALU_DEP_3) | instskip(SKIP_1) | instid1(VALU_DEP_3)
	v_add_co_ci_u32_e32 v11, vcc_lo, v1, v5, vcc_lo
	v_xor_b32_e32 v8, v8, v9
	v_mul_hi_u32 v12, v10, v6
	s_delay_alu instid0(VALU_DEP_3) | instskip(NEXT) | instid1(VALU_DEP_3)
	v_mad_u64_u32 v[0:1], null, v10, v11, 0
	v_mad_u64_u32 v[4:5], null, v8, v6, 0
	;; [unrolled: 1-line block ×3, first 2 shown]
	s_delay_alu instid0(VALU_DEP_3) | instskip(NEXT) | instid1(VALU_DEP_4)
	v_add_co_u32 v0, vcc_lo, v12, v0
	v_add_co_ci_u32_e32 v1, vcc_lo, 0, v1, vcc_lo
	s_delay_alu instid0(VALU_DEP_2) | instskip(NEXT) | instid1(VALU_DEP_2)
	v_add_co_u32 v0, vcc_lo, v0, v4
	v_add_co_ci_u32_e32 v0, vcc_lo, v1, v5, vcc_lo
	v_add_co_ci_u32_e32 v1, vcc_lo, 0, v7, vcc_lo
	s_delay_alu instid0(VALU_DEP_2) | instskip(NEXT) | instid1(VALU_DEP_2)
	v_add_co_u32 v4, vcc_lo, v0, v6
	v_add_co_ci_u32_e32 v5, vcc_lo, 0, v1, vcc_lo
	s_delay_alu instid0(VALU_DEP_2) | instskip(SKIP_1) | instid1(VALU_DEP_3)
	v_mul_lo_u32 v6, s7, v4
	v_mad_u64_u32 v[0:1], null, s6, v4, 0
	v_mul_lo_u32 v7, s6, v5
	s_delay_alu instid0(VALU_DEP_2) | instskip(NEXT) | instid1(VALU_DEP_2)
	v_sub_co_u32 v0, vcc_lo, v10, v0
	v_add3_u32 v1, v1, v7, v6
	s_delay_alu instid0(VALU_DEP_1) | instskip(NEXT) | instid1(VALU_DEP_1)
	v_sub_nc_u32_e32 v6, v8, v1
	v_subrev_co_ci_u32_e64 v6, s2, s7, v6, vcc_lo
	v_add_co_u32 v7, s2, v4, 2
	s_delay_alu instid0(VALU_DEP_1) | instskip(SKIP_3) | instid1(VALU_DEP_3)
	v_add_co_ci_u32_e64 v10, s2, 0, v5, s2
	v_sub_co_u32 v11, s2, v0, s6
	v_sub_co_ci_u32_e32 v1, vcc_lo, v8, v1, vcc_lo
	v_subrev_co_ci_u32_e64 v6, s2, 0, v6, s2
	v_cmp_le_u32_e32 vcc_lo, s6, v11
	s_delay_alu instid0(VALU_DEP_3) | instskip(SKIP_1) | instid1(VALU_DEP_4)
	v_cmp_eq_u32_e64 s2, s7, v1
	v_cndmask_b32_e64 v8, 0, -1, vcc_lo
	v_cmp_le_u32_e32 vcc_lo, s7, v6
	v_cndmask_b32_e64 v11, 0, -1, vcc_lo
	v_cmp_le_u32_e32 vcc_lo, s6, v0
	;; [unrolled: 2-line block ×3, first 2 shown]
	v_cndmask_b32_e64 v12, 0, -1, vcc_lo
	v_cmp_eq_u32_e32 vcc_lo, s7, v6
	s_delay_alu instid0(VALU_DEP_2) | instskip(SKIP_3) | instid1(VALU_DEP_3)
	v_cndmask_b32_e64 v0, v12, v0, s2
	v_cndmask_b32_e32 v6, v11, v8, vcc_lo
	v_add_co_u32 v8, vcc_lo, v4, 1
	v_add_co_ci_u32_e32 v11, vcc_lo, 0, v5, vcc_lo
	v_cmp_ne_u32_e32 vcc_lo, 0, v6
	s_delay_alu instid0(VALU_DEP_2) | instskip(SKIP_2) | instid1(VALU_DEP_3)
	v_dual_cndmask_b32 v1, v11, v10 :: v_dual_cndmask_b32 v6, v8, v7
	v_cmp_ne_u32_e32 vcc_lo, 0, v0
	v_xor_b32_e32 v0, s4, v9
	v_dual_cndmask_b32 v4, v4, v6 :: v_dual_cndmask_b32 v1, v5, v1
	s_delay_alu instid0(VALU_DEP_1) | instskip(NEXT) | instid1(VALU_DEP_2)
	v_xor_b32_e32 v4, v4, v0
	v_xor_b32_e32 v1, v1, v0
	s_delay_alu instid0(VALU_DEP_2) | instskip(NEXT) | instid1(VALU_DEP_2)
	v_sub_co_u32 v4, vcc_lo, v4, v0
	v_sub_co_ci_u32_e32 v5, vcc_lo, v1, v0, vcc_lo
.LBB63_3:
	s_and_not1_saveexec_b32 s2, s8
	s_cbranch_execz .LBB63_5
; %bb.4:
	v_cvt_f32_u32_e32 v0, s34
	s_sub_i32 s4, 0, s34
	s_delay_alu instid0(VALU_DEP_1) | instskip(SKIP_2) | instid1(VALU_DEP_1)
	v_rcp_iflag_f32_e32 v0, v0
	s_waitcnt_depctr 0xfff
	v_mul_f32_e32 v0, 0x4f7ffffe, v0
	v_cvt_u32_f32_e32 v0, v0
	s_delay_alu instid0(VALU_DEP_1) | instskip(NEXT) | instid1(VALU_DEP_1)
	v_mul_lo_u32 v1, s4, v0
	v_mul_hi_u32 v1, v0, v1
	s_delay_alu instid0(VALU_DEP_1) | instskip(NEXT) | instid1(VALU_DEP_1)
	v_add_nc_u32_e32 v0, v0, v1
	v_mul_hi_u32 v0, v2, v0
	s_delay_alu instid0(VALU_DEP_1) | instskip(SKIP_1) | instid1(VALU_DEP_2)
	v_mul_lo_u32 v1, v0, s34
	v_add_nc_u32_e32 v4, 1, v0
	v_sub_nc_u32_e32 v1, v2, v1
	s_delay_alu instid0(VALU_DEP_1) | instskip(SKIP_1) | instid1(VALU_DEP_2)
	v_subrev_nc_u32_e32 v5, s34, v1
	v_cmp_le_u32_e32 vcc_lo, s34, v1
	v_cndmask_b32_e32 v1, v1, v5, vcc_lo
	v_dual_mov_b32 v5, 0 :: v_dual_cndmask_b32 v0, v0, v4
	s_delay_alu instid0(VALU_DEP_2) | instskip(NEXT) | instid1(VALU_DEP_2)
	v_cmp_le_u32_e32 vcc_lo, s34, v1
	v_add_nc_u32_e32 v4, 1, v0
	s_delay_alu instid0(VALU_DEP_1)
	v_cndmask_b32_e32 v4, v0, v4, vcc_lo
.LBB63_5:
	s_or_b32 exec_lo, exec_lo, s2
	s_delay_alu instid0(VALU_DEP_1) | instskip(SKIP_1) | instid1(VALU_DEP_1)
	v_or_b32_e32 v1, s19, v5
	v_mov_b32_e32 v0, 0
	v_cmp_ne_u64_e32 vcc_lo, 0, v[0:1]
                                        ; implicit-def: $vgpr0_vgpr1
	s_and_saveexec_b32 s2, vcc_lo
	s_delay_alu instid0(SALU_CYCLE_1)
	s_xor_b32 s6, exec_lo, s2
	s_cbranch_execz .LBB63_7
; %bb.6:
	s_ashr_i32 s4, s19, 31
	s_delay_alu instid0(SALU_CYCLE_1) | instskip(SKIP_2) | instid1(SALU_CYCLE_1)
	s_add_u32 s8, s18, s4
	s_mov_b32 s5, s4
	s_addc_u32 s9, s19, s4
	s_xor_b64 s[4:5], s[8:9], s[4:5]
	s_delay_alu instid0(SALU_CYCLE_1) | instskip(SKIP_3) | instid1(VALU_DEP_1)
	v_cvt_f32_u32_e32 v0, s4
	v_cvt_f32_u32_e32 v1, s5
	s_sub_u32 s2, 0, s4
	s_subb_u32 s7, 0, s5
	v_fmamk_f32 v0, v1, 0x4f800000, v0
	s_delay_alu instid0(VALU_DEP_1) | instskip(SKIP_2) | instid1(VALU_DEP_1)
	v_rcp_f32_e32 v0, v0
	s_waitcnt_depctr 0xfff
	v_mul_f32_e32 v0, 0x5f7ffffc, v0
	v_mul_f32_e32 v1, 0x2f800000, v0
	s_delay_alu instid0(VALU_DEP_1) | instskip(NEXT) | instid1(VALU_DEP_1)
	v_trunc_f32_e32 v1, v1
	v_fmamk_f32 v0, v1, 0xcf800000, v0
	v_cvt_u32_f32_e32 v1, v1
	s_delay_alu instid0(VALU_DEP_2) | instskip(NEXT) | instid1(VALU_DEP_2)
	v_cvt_u32_f32_e32 v0, v0
	v_mul_lo_u32 v6, s2, v1
	s_delay_alu instid0(VALU_DEP_2) | instskip(SKIP_1) | instid1(VALU_DEP_2)
	v_mul_hi_u32 v7, s2, v0
	v_mul_lo_u32 v8, s7, v0
	v_add_nc_u32_e32 v6, v7, v6
	v_mul_lo_u32 v7, s2, v0
	s_delay_alu instid0(VALU_DEP_2) | instskip(NEXT) | instid1(VALU_DEP_2)
	v_add_nc_u32_e32 v6, v6, v8
	v_mul_hi_u32 v8, v0, v7
	s_delay_alu instid0(VALU_DEP_2)
	v_mul_lo_u32 v9, v0, v6
	v_mul_hi_u32 v10, v0, v6
	v_mul_hi_u32 v11, v1, v7
	v_mul_lo_u32 v7, v1, v7
	v_mul_hi_u32 v12, v1, v6
	v_mul_lo_u32 v6, v1, v6
	v_add_co_u32 v8, vcc_lo, v8, v9
	v_add_co_ci_u32_e32 v9, vcc_lo, 0, v10, vcc_lo
	s_delay_alu instid0(VALU_DEP_2) | instskip(NEXT) | instid1(VALU_DEP_2)
	v_add_co_u32 v7, vcc_lo, v8, v7
	v_add_co_ci_u32_e32 v7, vcc_lo, v9, v11, vcc_lo
	v_add_co_ci_u32_e32 v8, vcc_lo, 0, v12, vcc_lo
	v_ashrrev_i32_e32 v11, 31, v5
	s_delay_alu instid0(VALU_DEP_3) | instskip(NEXT) | instid1(VALU_DEP_3)
	v_add_co_u32 v6, vcc_lo, v7, v6
	v_add_co_ci_u32_e32 v7, vcc_lo, 0, v8, vcc_lo
	s_delay_alu instid0(VALU_DEP_2) | instskip(NEXT) | instid1(VALU_DEP_2)
	v_add_co_u32 v0, vcc_lo, v0, v6
	v_add_co_ci_u32_e32 v1, vcc_lo, v1, v7, vcc_lo
	s_delay_alu instid0(VALU_DEP_2) | instskip(SKIP_1) | instid1(VALU_DEP_3)
	v_mul_hi_u32 v6, s2, v0
	v_mul_lo_u32 v8, s7, v0
	v_mul_lo_u32 v7, s2, v1
	s_delay_alu instid0(VALU_DEP_1) | instskip(SKIP_1) | instid1(VALU_DEP_2)
	v_add_nc_u32_e32 v6, v6, v7
	v_mul_lo_u32 v7, s2, v0
	v_add_nc_u32_e32 v6, v6, v8
	s_delay_alu instid0(VALU_DEP_2) | instskip(NEXT) | instid1(VALU_DEP_2)
	v_mul_hi_u32 v8, v0, v7
	v_mul_lo_u32 v9, v0, v6
	v_mul_hi_u32 v10, v0, v6
	v_mul_hi_u32 v12, v1, v7
	v_mul_lo_u32 v7, v1, v7
	v_mul_hi_u32 v13, v1, v6
	v_mul_lo_u32 v6, v1, v6
	v_add_co_u32 v8, vcc_lo, v8, v9
	v_add_co_ci_u32_e32 v9, vcc_lo, 0, v10, vcc_lo
	s_delay_alu instid0(VALU_DEP_2) | instskip(NEXT) | instid1(VALU_DEP_2)
	v_add_co_u32 v7, vcc_lo, v8, v7
	v_add_co_ci_u32_e32 v7, vcc_lo, v9, v12, vcc_lo
	v_add_co_ci_u32_e32 v8, vcc_lo, 0, v13, vcc_lo
	v_add_co_u32 v9, vcc_lo, v4, v11
	v_add_co_ci_u32_e32 v10, vcc_lo, v5, v11, vcc_lo
	s_delay_alu instid0(VALU_DEP_4) | instskip(NEXT) | instid1(VALU_DEP_4)
	v_add_co_u32 v6, vcc_lo, v7, v6
	v_add_co_ci_u32_e32 v7, vcc_lo, 0, v8, vcc_lo
	s_delay_alu instid0(VALU_DEP_4) | instskip(NEXT) | instid1(VALU_DEP_3)
	v_xor_b32_e32 v12, v9, v11
	v_add_co_u32 v8, vcc_lo, v0, v6
	s_delay_alu instid0(VALU_DEP_3) | instskip(SKIP_1) | instid1(VALU_DEP_3)
	v_add_co_ci_u32_e32 v13, vcc_lo, v1, v7, vcc_lo
	v_xor_b32_e32 v10, v10, v11
	v_mul_hi_u32 v14, v12, v8
	s_delay_alu instid0(VALU_DEP_3) | instskip(NEXT) | instid1(VALU_DEP_3)
	v_mad_u64_u32 v[0:1], null, v12, v13, 0
	v_mad_u64_u32 v[6:7], null, v10, v8, 0
	;; [unrolled: 1-line block ×3, first 2 shown]
	s_delay_alu instid0(VALU_DEP_3) | instskip(NEXT) | instid1(VALU_DEP_4)
	v_add_co_u32 v0, vcc_lo, v14, v0
	v_add_co_ci_u32_e32 v1, vcc_lo, 0, v1, vcc_lo
	s_delay_alu instid0(VALU_DEP_2) | instskip(NEXT) | instid1(VALU_DEP_2)
	v_add_co_u32 v0, vcc_lo, v0, v6
	v_add_co_ci_u32_e32 v0, vcc_lo, v1, v7, vcc_lo
	v_add_co_ci_u32_e32 v1, vcc_lo, 0, v9, vcc_lo
	s_delay_alu instid0(VALU_DEP_2) | instskip(NEXT) | instid1(VALU_DEP_2)
	v_add_co_u32 v6, vcc_lo, v0, v8
	v_add_co_ci_u32_e32 v7, vcc_lo, 0, v1, vcc_lo
	s_delay_alu instid0(VALU_DEP_2) | instskip(SKIP_1) | instid1(VALU_DEP_3)
	v_mul_lo_u32 v8, s5, v6
	v_mad_u64_u32 v[0:1], null, s4, v6, 0
	v_mul_lo_u32 v6, s4, v7
	s_delay_alu instid0(VALU_DEP_2) | instskip(NEXT) | instid1(VALU_DEP_2)
	v_sub_co_u32 v0, vcc_lo, v12, v0
	v_add3_u32 v1, v1, v6, v8
	s_delay_alu instid0(VALU_DEP_1) | instskip(NEXT) | instid1(VALU_DEP_1)
	v_sub_nc_u32_e32 v6, v10, v1
	v_subrev_co_ci_u32_e64 v6, s2, s5, v6, vcc_lo
	v_sub_co_ci_u32_e32 v1, vcc_lo, v10, v1, vcc_lo
	v_sub_co_u32 v7, vcc_lo, v0, s4
	s_delay_alu instid0(VALU_DEP_1) | instskip(SKIP_3) | instid1(VALU_DEP_3)
	v_subrev_co_ci_u32_e64 v8, s2, 0, v6, vcc_lo
	v_cmp_le_u32_e64 s2, s4, v0
	v_subrev_co_ci_u32_e32 v6, vcc_lo, s5, v6, vcc_lo
	v_cmp_le_u32_e32 vcc_lo, s5, v1
	v_cndmask_b32_e64 v9, 0, -1, s2
	v_cmp_le_u32_e64 s2, s4, v7
	v_cndmask_b32_e64 v13, 0, -1, vcc_lo
	v_cmp_eq_u32_e32 vcc_lo, s5, v8
	s_delay_alu instid0(VALU_DEP_3) | instskip(SKIP_1) | instid1(VALU_DEP_1)
	v_cndmask_b32_e64 v10, 0, -1, s2
	v_cmp_le_u32_e64 s2, s5, v8
	v_cndmask_b32_e64 v12, 0, -1, s2
	v_cmp_eq_u32_e64 s2, s5, v1
	s_delay_alu instid0(VALU_DEP_2) | instskip(SKIP_2) | instid1(VALU_DEP_3)
	v_cndmask_b32_e32 v10, v12, v10, vcc_lo
	v_sub_co_u32 v12, vcc_lo, v7, s4
	v_subrev_co_ci_u32_e32 v6, vcc_lo, 0, v6, vcc_lo
	v_cmp_ne_u32_e32 vcc_lo, 0, v10
	v_cndmask_b32_e64 v9, v13, v9, s2
	s_delay_alu instid0(VALU_DEP_3) | instskip(NEXT) | instid1(VALU_DEP_2)
	v_dual_cndmask_b32 v6, v8, v6 :: v_dual_cndmask_b32 v7, v7, v12
	v_cmp_ne_u32_e32 vcc_lo, 0, v9
	s_delay_alu instid0(VALU_DEP_2) | instskip(NEXT) | instid1(VALU_DEP_1)
	v_dual_cndmask_b32 v0, v0, v7 :: v_dual_cndmask_b32 v1, v1, v6
	v_xor_b32_e32 v0, v0, v11
	s_delay_alu instid0(VALU_DEP_2) | instskip(NEXT) | instid1(VALU_DEP_2)
	v_xor_b32_e32 v1, v1, v11
	v_sub_co_u32 v0, vcc_lo, v0, v11
	s_delay_alu instid0(VALU_DEP_2)
	v_sub_co_ci_u32_e32 v1, vcc_lo, v1, v11, vcc_lo
.LBB63_7:
	s_or_saveexec_b32 s2, s6
	s_clause 0x1
	s_load_b64 s[12:13], s[0:1], 0xa8
	s_load_b256 s[4:11], s[0:1], 0x88
	s_xor_b32 exec_lo, exec_lo, s2
	s_cbranch_execz .LBB63_9
; %bb.8:
	v_cvt_f32_u32_e32 v0, s18
	s_sub_i32 s16, 0, s18
	s_delay_alu instid0(VALU_DEP_1) | instskip(SKIP_2) | instid1(VALU_DEP_1)
	v_rcp_iflag_f32_e32 v0, v0
	s_waitcnt_depctr 0xfff
	v_mul_f32_e32 v0, 0x4f7ffffe, v0
	v_cvt_u32_f32_e32 v0, v0
	s_delay_alu instid0(VALU_DEP_1) | instskip(NEXT) | instid1(VALU_DEP_1)
	v_mul_lo_u32 v1, s16, v0
	v_mul_hi_u32 v1, v0, v1
	s_delay_alu instid0(VALU_DEP_1) | instskip(NEXT) | instid1(VALU_DEP_1)
	v_add_nc_u32_e32 v0, v0, v1
	v_mul_hi_u32 v0, v4, v0
	s_delay_alu instid0(VALU_DEP_1) | instskip(NEXT) | instid1(VALU_DEP_1)
	v_mul_lo_u32 v0, v0, s18
	v_sub_nc_u32_e32 v0, v4, v0
	s_delay_alu instid0(VALU_DEP_1) | instskip(SKIP_1) | instid1(VALU_DEP_2)
	v_subrev_nc_u32_e32 v1, s18, v0
	v_cmp_le_u32_e32 vcc_lo, s18, v0
	v_cndmask_b32_e32 v0, v0, v1, vcc_lo
	s_delay_alu instid0(VALU_DEP_1) | instskip(SKIP_1) | instid1(VALU_DEP_2)
	v_subrev_nc_u32_e32 v1, s18, v0
	v_cmp_le_u32_e32 vcc_lo, s18, v0
	v_dual_cndmask_b32 v0, v0, v1 :: v_dual_mov_b32 v1, 0
.LBB63_9:
	s_or_b32 exec_lo, exec_lo, s2
	s_clause 0x1
	s_load_b64 s[44:45], s[0:1], 0x58
	s_load_b64 s[46:47], s[0:1], 0x0
	v_or_b32_e32 v7, s20, v3
	v_mov_b32_e32 v6, 0
	s_delay_alu instid0(VALU_DEP_1) | instskip(SKIP_1) | instid1(SALU_CYCLE_1)
	v_cmp_ne_u64_e32 vcc_lo, 0, v[6:7]
                                        ; implicit-def: $vgpr6_vgpr7
	s_and_saveexec_b32 s2, vcc_lo
	s_xor_b32 s21, exec_lo, s2
	s_cbranch_execz .LBB63_11
; %bb.10:
	s_ashr_i32 s16, s20, 31
	s_delay_alu instid0(SALU_CYCLE_1) | instskip(SKIP_2) | instid1(SALU_CYCLE_1)
	s_add_u32 s18, s3, s16
	s_mov_b32 s17, s16
	s_addc_u32 s19, s20, s16
	s_xor_b64 s[18:19], s[18:19], s[16:17]
	s_delay_alu instid0(SALU_CYCLE_1) | instskip(SKIP_3) | instid1(VALU_DEP_1)
	v_cvt_f32_u32_e32 v6, s18
	v_cvt_f32_u32_e32 v7, s19
	s_sub_u32 s2, 0, s18
	s_subb_u32 s17, 0, s19
	v_fmamk_f32 v6, v7, 0x4f800000, v6
	s_delay_alu instid0(VALU_DEP_1) | instskip(SKIP_2) | instid1(VALU_DEP_1)
	v_rcp_f32_e32 v6, v6
	s_waitcnt_depctr 0xfff
	v_mul_f32_e32 v6, 0x5f7ffffc, v6
	v_mul_f32_e32 v7, 0x2f800000, v6
	s_delay_alu instid0(VALU_DEP_1) | instskip(NEXT) | instid1(VALU_DEP_1)
	v_trunc_f32_e32 v7, v7
	v_fmamk_f32 v6, v7, 0xcf800000, v6
	v_cvt_u32_f32_e32 v7, v7
	s_delay_alu instid0(VALU_DEP_2) | instskip(NEXT) | instid1(VALU_DEP_2)
	v_cvt_u32_f32_e32 v6, v6
	v_mul_lo_u32 v8, s2, v7
	s_delay_alu instid0(VALU_DEP_2) | instskip(SKIP_1) | instid1(VALU_DEP_2)
	v_mul_hi_u32 v9, s2, v6
	v_mul_lo_u32 v10, s17, v6
	v_add_nc_u32_e32 v8, v9, v8
	v_mul_lo_u32 v9, s2, v6
	s_delay_alu instid0(VALU_DEP_2) | instskip(NEXT) | instid1(VALU_DEP_2)
	v_add_nc_u32_e32 v8, v8, v10
	v_mul_hi_u32 v10, v6, v9
	s_delay_alu instid0(VALU_DEP_2)
	v_mul_lo_u32 v11, v6, v8
	v_mul_hi_u32 v12, v6, v8
	v_mul_hi_u32 v13, v7, v9
	v_mul_lo_u32 v9, v7, v9
	v_mul_hi_u32 v14, v7, v8
	v_mul_lo_u32 v8, v7, v8
	v_add_co_u32 v10, vcc_lo, v10, v11
	v_add_co_ci_u32_e32 v11, vcc_lo, 0, v12, vcc_lo
	s_delay_alu instid0(VALU_DEP_2) | instskip(NEXT) | instid1(VALU_DEP_2)
	v_add_co_u32 v9, vcc_lo, v10, v9
	v_add_co_ci_u32_e32 v9, vcc_lo, v11, v13, vcc_lo
	v_add_co_ci_u32_e32 v10, vcc_lo, 0, v14, vcc_lo
	v_ashrrev_i32_e32 v13, 31, v3
	s_delay_alu instid0(VALU_DEP_3) | instskip(NEXT) | instid1(VALU_DEP_3)
	v_add_co_u32 v8, vcc_lo, v9, v8
	v_add_co_ci_u32_e32 v9, vcc_lo, 0, v10, vcc_lo
	s_delay_alu instid0(VALU_DEP_2) | instskip(NEXT) | instid1(VALU_DEP_2)
	v_add_co_u32 v6, vcc_lo, v6, v8
	v_add_co_ci_u32_e32 v7, vcc_lo, v7, v9, vcc_lo
	s_delay_alu instid0(VALU_DEP_2) | instskip(SKIP_1) | instid1(VALU_DEP_3)
	v_mul_hi_u32 v8, s2, v6
	v_mul_lo_u32 v10, s17, v6
	v_mul_lo_u32 v9, s2, v7
	s_delay_alu instid0(VALU_DEP_1) | instskip(SKIP_1) | instid1(VALU_DEP_2)
	v_add_nc_u32_e32 v8, v8, v9
	v_mul_lo_u32 v9, s2, v6
	v_add_nc_u32_e32 v8, v8, v10
	s_delay_alu instid0(VALU_DEP_2) | instskip(NEXT) | instid1(VALU_DEP_2)
	v_mul_hi_u32 v10, v6, v9
	v_mul_lo_u32 v11, v6, v8
	v_mul_hi_u32 v12, v6, v8
	v_mul_hi_u32 v14, v7, v9
	v_mul_lo_u32 v9, v7, v9
	v_mul_hi_u32 v15, v7, v8
	v_mul_lo_u32 v8, v7, v8
	v_add_co_u32 v10, vcc_lo, v10, v11
	v_add_co_ci_u32_e32 v11, vcc_lo, 0, v12, vcc_lo
	s_delay_alu instid0(VALU_DEP_2) | instskip(NEXT) | instid1(VALU_DEP_2)
	v_add_co_u32 v9, vcc_lo, v10, v9
	v_add_co_ci_u32_e32 v9, vcc_lo, v11, v14, vcc_lo
	v_add_co_ci_u32_e32 v10, vcc_lo, 0, v15, vcc_lo
	v_add_co_u32 v11, vcc_lo, v2, v13
	v_add_co_ci_u32_e32 v12, vcc_lo, v3, v13, vcc_lo
	s_delay_alu instid0(VALU_DEP_4) | instskip(NEXT) | instid1(VALU_DEP_4)
	v_add_co_u32 v8, vcc_lo, v9, v8
	v_add_co_ci_u32_e32 v9, vcc_lo, 0, v10, vcc_lo
	s_delay_alu instid0(VALU_DEP_4) | instskip(NEXT) | instid1(VALU_DEP_3)
	v_xor_b32_e32 v14, v11, v13
	v_add_co_u32 v10, vcc_lo, v6, v8
	s_delay_alu instid0(VALU_DEP_3) | instskip(SKIP_1) | instid1(VALU_DEP_3)
	v_add_co_ci_u32_e32 v15, vcc_lo, v7, v9, vcc_lo
	v_xor_b32_e32 v12, v12, v13
	v_mul_hi_u32 v16, v14, v10
	s_delay_alu instid0(VALU_DEP_3) | instskip(NEXT) | instid1(VALU_DEP_3)
	v_mad_u64_u32 v[6:7], null, v14, v15, 0
	v_mad_u64_u32 v[8:9], null, v12, v10, 0
	;; [unrolled: 1-line block ×3, first 2 shown]
	s_delay_alu instid0(VALU_DEP_3) | instskip(NEXT) | instid1(VALU_DEP_4)
	v_add_co_u32 v6, vcc_lo, v16, v6
	v_add_co_ci_u32_e32 v7, vcc_lo, 0, v7, vcc_lo
	s_delay_alu instid0(VALU_DEP_2) | instskip(NEXT) | instid1(VALU_DEP_2)
	v_add_co_u32 v6, vcc_lo, v6, v8
	v_add_co_ci_u32_e32 v6, vcc_lo, v7, v9, vcc_lo
	v_add_co_ci_u32_e32 v7, vcc_lo, 0, v11, vcc_lo
	s_delay_alu instid0(VALU_DEP_2) | instskip(NEXT) | instid1(VALU_DEP_2)
	v_add_co_u32 v8, vcc_lo, v6, v10
	v_add_co_ci_u32_e32 v9, vcc_lo, 0, v7, vcc_lo
	s_delay_alu instid0(VALU_DEP_2) | instskip(SKIP_1) | instid1(VALU_DEP_3)
	v_mul_lo_u32 v10, s19, v8
	v_mad_u64_u32 v[6:7], null, s18, v8, 0
	v_mul_lo_u32 v11, s18, v9
	s_delay_alu instid0(VALU_DEP_2) | instskip(NEXT) | instid1(VALU_DEP_2)
	v_sub_co_u32 v6, vcc_lo, v14, v6
	v_add3_u32 v7, v7, v11, v10
	s_delay_alu instid0(VALU_DEP_1) | instskip(NEXT) | instid1(VALU_DEP_1)
	v_sub_nc_u32_e32 v10, v12, v7
	v_subrev_co_ci_u32_e64 v10, s2, s19, v10, vcc_lo
	v_add_co_u32 v11, s2, v8, 2
	s_delay_alu instid0(VALU_DEP_1) | instskip(SKIP_3) | instid1(VALU_DEP_3)
	v_add_co_ci_u32_e64 v14, s2, 0, v9, s2
	v_sub_co_u32 v15, s2, v6, s18
	v_sub_co_ci_u32_e32 v7, vcc_lo, v12, v7, vcc_lo
	v_subrev_co_ci_u32_e64 v10, s2, 0, v10, s2
	v_cmp_le_u32_e32 vcc_lo, s18, v15
	s_delay_alu instid0(VALU_DEP_3) | instskip(SKIP_1) | instid1(VALU_DEP_4)
	v_cmp_eq_u32_e64 s2, s19, v7
	v_cndmask_b32_e64 v12, 0, -1, vcc_lo
	v_cmp_le_u32_e32 vcc_lo, s19, v10
	v_cndmask_b32_e64 v15, 0, -1, vcc_lo
	v_cmp_le_u32_e32 vcc_lo, s18, v6
	;; [unrolled: 2-line block ×3, first 2 shown]
	v_cndmask_b32_e64 v16, 0, -1, vcc_lo
	v_cmp_eq_u32_e32 vcc_lo, s19, v10
	s_delay_alu instid0(VALU_DEP_2) | instskip(SKIP_3) | instid1(VALU_DEP_3)
	v_cndmask_b32_e64 v6, v16, v6, s2
	v_cndmask_b32_e32 v10, v15, v12, vcc_lo
	v_add_co_u32 v12, vcc_lo, v8, 1
	v_add_co_ci_u32_e32 v15, vcc_lo, 0, v9, vcc_lo
	v_cmp_ne_u32_e32 vcc_lo, 0, v10
	s_delay_alu instid0(VALU_DEP_2) | instskip(SKIP_2) | instid1(VALU_DEP_3)
	v_dual_cndmask_b32 v7, v15, v14 :: v_dual_cndmask_b32 v10, v12, v11
	v_cmp_ne_u32_e32 vcc_lo, 0, v6
	v_xor_b32_e32 v11, s16, v13
	v_dual_cndmask_b32 v6, v9, v7 :: v_dual_cndmask_b32 v7, v8, v10
	s_delay_alu instid0(VALU_DEP_1) | instskip(NEXT) | instid1(VALU_DEP_2)
	v_xor_b32_e32 v8, v6, v11
	v_xor_b32_e32 v7, v7, v11
	s_delay_alu instid0(VALU_DEP_1) | instskip(NEXT) | instid1(VALU_DEP_3)
	v_sub_co_u32 v6, vcc_lo, v7, v11
	v_sub_co_ci_u32_e32 v7, vcc_lo, v8, v11, vcc_lo
.LBB63_11:
	s_or_saveexec_b32 s2, s21
	s_load_b512 s[16:31], s[0:1], 0x18
	s_xor_b32 exec_lo, exec_lo, s2
	s_cbranch_execz .LBB63_13
; %bb.12:
	v_cvt_f32_u32_e32 v6, s3
	s_sub_i32 s33, 0, s3
	s_delay_alu instid0(VALU_DEP_1) | instskip(SKIP_2) | instid1(VALU_DEP_1)
	v_rcp_iflag_f32_e32 v6, v6
	s_waitcnt_depctr 0xfff
	v_mul_f32_e32 v6, 0x4f7ffffe, v6
	v_cvt_u32_f32_e32 v6, v6
	s_delay_alu instid0(VALU_DEP_1) | instskip(NEXT) | instid1(VALU_DEP_1)
	v_mul_lo_u32 v7, s33, v6
	v_mul_hi_u32 v7, v6, v7
	s_delay_alu instid0(VALU_DEP_1) | instskip(NEXT) | instid1(VALU_DEP_1)
	v_add_nc_u32_e32 v6, v6, v7
	v_mul_hi_u32 v6, v2, v6
	s_delay_alu instid0(VALU_DEP_1) | instskip(SKIP_1) | instid1(VALU_DEP_2)
	v_mul_lo_u32 v7, v6, s3
	v_add_nc_u32_e32 v8, 1, v6
	v_sub_nc_u32_e32 v7, v2, v7
	s_delay_alu instid0(VALU_DEP_1) | instskip(SKIP_1) | instid1(VALU_DEP_2)
	v_subrev_nc_u32_e32 v9, s3, v7
	v_cmp_le_u32_e32 vcc_lo, s3, v7
	v_dual_cndmask_b32 v7, v7, v9 :: v_dual_cndmask_b32 v6, v6, v8
	s_delay_alu instid0(VALU_DEP_1) | instskip(NEXT) | instid1(VALU_DEP_2)
	v_cmp_le_u32_e32 vcc_lo, s3, v7
	v_dual_mov_b32 v7, 0 :: v_dual_add_nc_u32 v8, 1, v6
	s_delay_alu instid0(VALU_DEP_1)
	v_cndmask_b32_e32 v6, v6, v8, vcc_lo
.LBB63_13:
	s_or_b32 exec_lo, exec_lo, s2
	s_load_b256 s[36:43], s[0:1], 0xb0
	v_mul_lo_u32 v5, v5, s34
	v_mul_lo_u32 v10, v4, s35
	v_mad_u64_u32 v[8:9], null, v4, s34, 0
	s_load_b64 s[0:1], s[0:1], 0xd0
	s_delay_alu instid0(VALU_DEP_1) | instskip(NEXT) | instid1(VALU_DEP_2)
	v_add3_u32 v4, v9, v10, v5
	v_sub_co_u32 v10, vcc_lo, v2, v8
	s_delay_alu instid0(VALU_DEP_2)
	v_sub_co_ci_u32_e32 v11, vcc_lo, v3, v4, vcc_lo
	s_waitcnt lgkmcnt(0)
	s_sub_u32 s2, 0, s36
	s_subb_u32 s3, 0, s37
	s_sub_u32 s34, 0, s38
	v_cmp_gt_i64_e64 s50, s[2:3], 0
	s_subb_u32 s35, 0, s39
	v_cmp_gt_i64_e64 s33, s[36:37], 0
	s_sub_u32 s48, 0, s40
	s_subb_u32 s49, 0, s41
	v_cmp_gt_i64_e64 s54, s[34:35], 0
	v_cmp_gt_i64_e64 s52, s[38:39], 0
	;; [unrolled: 1-line block ×4, first 2 shown]
	s_and_b32 s50, s50, exec_lo
	s_cselect_b32 s56, s3, 0
	s_cselect_b32 s57, s2, 0
	s_and_b32 s2, s33, exec_lo
	s_cselect_b32 s51, s37, 0
	s_cselect_b32 s50, s36, 0
	;; [unrolled: 3-line block ×5, first 2 shown]
	s_and_b32 s2, s53, exec_lo
	v_sub_co_u32 v2, vcc_lo, v10, s36
	s_cselect_b32 s3, s41, 0
	s_cselect_b32 s2, s40, 0
	s_add_u32 s48, s20, s36
	v_subrev_co_ci_u32_e32 v3, vcc_lo, s37, v11, vcc_lo
	s_addc_u32 s49, s21, s37
	v_sub_co_u32 v4, vcc_lo, v10, s48
	v_subrev_co_ci_u32_e32 v5, vcc_lo, s49, v11, vcc_lo
	s_delay_alu instid0(VALU_DEP_3) | instskip(NEXT) | instid1(VALU_DEP_3)
	v_ashrrev_i32_e32 v8, 31, v3
	v_add_co_u32 v4, vcc_lo, v4, 1
	s_delay_alu instid0(VALU_DEP_3) | instskip(NEXT) | instid1(VALU_DEP_3)
	v_add_co_ci_u32_e32 v5, vcc_lo, 0, v5, vcc_lo
	v_xor_b32_e32 v2, v2, v8
	v_xor_b32_e32 v3, v3, v8
	s_lshl_b64 s[36:37], s[36:37], 1
	s_delay_alu instid0(VALU_DEP_3) | instskip(SKIP_3) | instid1(VALU_DEP_3)
	v_ashrrev_i32_e32 v9, 31, v5
	s_not_b64 s[48:49], s[50:51]
	v_sub_co_u32 v2, vcc_lo, v2, v8
	v_sub_co_ci_u32_e32 v3, vcc_lo, v3, v8, vcc_lo
	v_xor_b32_e32 v4, v4, v9
	v_xor_b32_e32 v5, v5, v9
	s_add_u32 s36, s36, s48
	s_addc_u32 s37, s37, s49
	s_add_u32 s36, s36, s57
	v_sub_co_u32 v4, vcc_lo, v4, v9
	v_sub_co_ci_u32_e32 v5, vcc_lo, v5, v9, vcc_lo
	s_addc_u32 s37, s37, s56
	s_delay_alu instid0(VALU_DEP_2) | instskip(NEXT) | instid1(VALU_DEP_2)
	v_add_co_u32 v4, vcc_lo, v10, v4
	v_add_co_ci_u32_e32 v5, vcc_lo, v11, v5, vcc_lo
	v_sub_co_u32 v8, vcc_lo, v0, s38
	s_add_u32 s20, s36, s20
	v_subrev_co_ci_u32_e32 v9, vcc_lo, s39, v1, vcc_lo
	s_addc_u32 s21, s37, s21
	v_sub_co_u32 v4, vcc_lo, s20, v4
	s_add_u32 s20, s18, s38
	v_sub_co_ci_u32_e32 v5, vcc_lo, s21, v5, vcc_lo
	s_addc_u32 s21, s19, s39
	v_sub_co_u32 v13, vcc_lo, v0, s20
	v_subrev_co_ci_u32_e32 v14, vcc_lo, s21, v1, vcc_lo
	v_ashrrev_i32_e32 v12, 31, v9
	s_delay_alu instid0(VALU_DEP_3) | instskip(NEXT) | instid1(VALU_DEP_3)
	v_add_co_u32 v13, vcc_lo, v13, 1
	v_add_co_ci_u32_e32 v14, vcc_lo, 0, v14, vcc_lo
	v_add_co_u32 v15, vcc_lo, v4, v2
	v_add_co_ci_u32_e32 v16, vcc_lo, v5, v3, vcc_lo
	s_delay_alu instid0(VALU_DEP_3)
	v_ashrrev_i32_e32 v3, 31, v14
	v_xor_b32_e32 v8, v8, v12
	v_xor_b32_e32 v2, v9, v12
	s_lshl_b64 s[20:21], s[38:39], 1
	s_not_b64 s[34:35], s[34:35]
	v_xor_b32_e32 v5, v13, v3
	v_sub_co_u32 v4, vcc_lo, v8, v12
	v_xor_b32_e32 v8, v14, v3
	v_sub_co_ci_u32_e32 v2, vcc_lo, v2, v12, vcc_lo
	s_delay_alu instid0(VALU_DEP_4) | instskip(NEXT) | instid1(VALU_DEP_3)
	v_sub_co_u32 v5, vcc_lo, v5, v3
	v_sub_co_ci_u32_e32 v3, vcc_lo, v8, v3, vcc_lo
	s_add_u32 s20, s20, s34
	s_delay_alu instid0(VALU_DEP_2)
	v_add_co_u32 v5, vcc_lo, v0, v5
	s_addc_u32 s21, s21, s35
	s_add_u32 s20, s20, s54
	v_add_co_ci_u32_e32 v3, vcc_lo, v1, v3, vcc_lo
	s_addc_u32 s21, s21, s33
	v_sub_co_u32 v8, vcc_lo, v6, s40
	s_add_u32 s18, s20, s18
	v_subrev_co_ci_u32_e32 v9, vcc_lo, s41, v7, vcc_lo
	s_addc_u32 s19, s21, s19
	v_sub_co_u32 v5, vcc_lo, s18, v5
	s_add_u32 s18, s16, s40
	v_sub_co_ci_u32_e32 v3, vcc_lo, s19, v3, vcc_lo
	s_addc_u32 s19, s17, s41
	v_sub_co_u32 v13, vcc_lo, v6, s18
	v_subrev_co_ci_u32_e32 v14, vcc_lo, s19, v7, vcc_lo
	v_ashrrev_i32_e32 v12, 31, v9
	s_delay_alu instid0(VALU_DEP_3) | instskip(NEXT) | instid1(VALU_DEP_3)
	v_add_co_u32 v13, vcc_lo, v13, 1
	v_add_co_ci_u32_e32 v14, vcc_lo, 0, v14, vcc_lo
	v_add_co_u32 v17, vcc_lo, v5, v4
	s_delay_alu instid0(VALU_DEP_4) | instskip(SKIP_1) | instid1(VALU_DEP_4)
	v_xor_b32_e32 v8, v8, v12
	v_add_co_ci_u32_e32 v4, vcc_lo, v3, v2, vcc_lo
	v_ashrrev_i32_e32 v3, 31, v14
	v_xor_b32_e32 v2, v9, v12
	s_delay_alu instid0(VALU_DEP_4) | instskip(SKIP_1) | instid1(VALU_DEP_3)
	v_sub_co_u32 v5, vcc_lo, v8, v12
	s_lshl_b64 s[18:19], s[40:41], 1
	v_xor_b32_e32 v8, v13, v3
	v_xor_b32_e32 v9, v14, v3
	v_sub_co_ci_u32_e32 v2, vcc_lo, v2, v12, vcc_lo
	s_not_b64 s[2:3], s[2:3]
	s_delay_alu instid0(VALU_DEP_3) | instskip(NEXT) | instid1(VALU_DEP_3)
	v_sub_co_u32 v8, vcc_lo, v8, v3
	v_sub_co_ci_u32_e32 v3, vcc_lo, v9, v3, vcc_lo
	s_add_u32 s2, s18, s2
	s_addc_u32 s3, s19, s3
	s_delay_alu instid0(VALU_DEP_2)
	v_add_co_u32 v8, vcc_lo, v6, v8
	s_add_u32 s2, s2, s55
	s_addc_u32 s3, s3, s52
	v_add_co_ci_u32_e32 v3, vcc_lo, v7, v3, vcc_lo
	s_add_u32 s2, s2, s16
	s_addc_u32 s3, s3, s17
	v_sub_co_u32 v8, vcc_lo, s2, v8
	s_delay_alu instid0(VALU_DEP_2) | instskip(SKIP_1) | instid1(VALU_DEP_2)
	v_sub_co_ci_u32_e32 v3, vcc_lo, s3, v3, vcc_lo
	s_add_u32 s14, s14, s42
	v_add_co_u32 v5, vcc_lo, v8, v5
	s_delay_alu instid0(VALU_DEP_2)
	v_add_co_ci_u32_e32 v2, vcc_lo, v3, v2, vcc_lo
	s_addc_u32 s16, 0, s43
	s_add_u32 s15, s15, s0
	s_addc_u32 s17, 0, s1
	s_mul_hi_u32 s1, s22, s15
	s_mul_i32 s0, s22, s17
	v_mul_lo_u32 v8, v2, s26
	v_mul_lo_u32 v9, v5, s27
	v_mad_u64_u32 v[2:3], null, v5, s26, 0
	s_add_i32 s0, s1, s0
	s_mul_i32 s1, s23, s15
	v_mul_lo_u32 v12, v4, s28
	s_add_i32 s1, s0, s1
	s_mul_i32 s0, s22, s15
	v_mul_lo_u32 v13, v17, s29
	v_mad_u64_u32 v[4:5], null, v17, s28, 0
	s_lshl_b64 s[0:1], s[0:1], 2
	v_add3_u32 v3, v3, v9, v8
	s_add_u32 s2, s46, s0
	s_addc_u32 s3, s47, s1
	s_mul_i32 s0, s24, s16
	s_mul_hi_u32 s1, s24, s14
	v_mul_lo_u32 v14, v16, s30
	v_mul_lo_u32 v16, v15, s31
	v_mad_u64_u32 v[8:9], null, v15, s30, 0
	s_add_i32 s0, s1, s0
	s_mul_i32 s1, s25, s14
	v_add3_u32 v5, v5, v13, v12
	s_add_i32 s1, s0, s1
	s_mul_i32 s0, s24, s14
	v_lshlrev_b64 v[2:3], 2, v[2:3]
	s_lshl_b64 s[0:1], s[0:1], 2
	v_lshlrev_b64 v[4:5], 2, v[4:5]
	s_add_u32 s0, s2, s0
	v_add3_u32 v9, v9, v16, v14
	s_addc_u32 s1, s3, s1
	v_add_co_u32 v12, vcc_lo, s0, v2
	v_add_co_ci_u32_e32 v13, vcc_lo, s1, v3, vcc_lo
	s_delay_alu instid0(VALU_DEP_3) | instskip(NEXT) | instid1(VALU_DEP_3)
	v_lshlrev_b64 v[2:3], 2, v[8:9]
	v_add_co_u32 v4, vcc_lo, v12, v4
	s_delay_alu instid0(VALU_DEP_3) | instskip(SKIP_1) | instid1(VALU_DEP_2)
	v_add_co_ci_u32_e32 v5, vcc_lo, v13, v5, vcc_lo
	s_mul_i32 s0, s4, s17
	v_add_co_u32 v2, vcc_lo, v4, v2
	s_delay_alu instid0(VALU_DEP_2)
	v_add_co_ci_u32_e32 v3, vcc_lo, v5, v3, vcc_lo
	s_mul_hi_u32 s1, s4, s15
	v_mul_lo_u32 v7, v7, s8
	v_mul_lo_u32 v9, v6, s9
	global_load_b32 v8, v[2:3], off
	v_mad_u64_u32 v[2:3], null, v6, s8, 0
	s_add_i32 s0, s1, s0
	s_mul_i32 s1, s5, s15
	v_mul_lo_u32 v6, v1, s10
	s_add_i32 s1, s0, s1
	s_mul_i32 s0, s4, s15
	v_mul_lo_u32 v12, v0, s11
	v_mad_u64_u32 v[4:5], null, v0, s10, 0
	s_lshl_b64 s[0:1], s[0:1], 2
	v_add3_u32 v3, v3, v9, v7
	s_add_u32 s2, s44, s0
	s_addc_u32 s3, s45, s1
	s_mul_i32 s0, s6, s16
	s_mul_hi_u32 s1, s6, s14
	v_mul_lo_u32 v7, v11, s12
	v_mul_lo_u32 v9, v10, s13
	v_mad_u64_u32 v[0:1], null, v10, s12, 0
	s_add_i32 s0, s1, s0
	s_mul_i32 s1, s7, s14
	v_add3_u32 v5, v5, v12, v6
	s_add_i32 s1, s0, s1
	s_mul_i32 s0, s6, s14
	v_lshlrev_b64 v[2:3], 2, v[2:3]
	s_lshl_b64 s[0:1], s[0:1], 2
	v_lshlrev_b64 v[4:5], 2, v[4:5]
	s_add_u32 s0, s2, s0
	v_add3_u32 v1, v1, v9, v7
	s_addc_u32 s1, s3, s1
	v_add_co_u32 v2, vcc_lo, s0, v2
	v_add_co_ci_u32_e32 v3, vcc_lo, s1, v3, vcc_lo
	s_delay_alu instid0(VALU_DEP_3) | instskip(NEXT) | instid1(VALU_DEP_3)
	v_lshlrev_b64 v[0:1], 2, v[0:1]
	v_add_co_u32 v2, vcc_lo, v2, v4
	s_delay_alu instid0(VALU_DEP_3) | instskip(NEXT) | instid1(VALU_DEP_2)
	v_add_co_ci_u32_e32 v3, vcc_lo, v3, v5, vcc_lo
	v_add_co_u32 v0, vcc_lo, v2, v0
	s_delay_alu instid0(VALU_DEP_2)
	v_add_co_ci_u32_e32 v1, vcc_lo, v3, v1, vcc_lo
	s_waitcnt vmcnt(0)
	global_store_b32 v[0:1], v8, off
.LBB63_14:
	s_nop 0
	s_sendmsg sendmsg(MSG_DEALLOC_VGPRS)
	s_endpgm
	.section	.rodata,"a",@progbits
	.p2align	6, 0x0
	.amdhsa_kernel _ZN2at6native12_GLOBAL__N_127reflection_pad3d_out_kernelIfEEvN5torch10headeronly6detail27GenericPackedTensorAccessorINS5_14TensorAccessorIN3c108ArrayRefIlEEKT_Lm4ENS4_16DefaultPtrTraitsElEENS_6detail16IndexBoundsCheckILm5ElEESC_Lm5ESD_lEENS6_INS7_ISA_SB_Lm4ESD_lEESH_SB_Lm5ESD_lEElllll
		.amdhsa_group_segment_fixed_size 0
		.amdhsa_private_segment_fixed_size 0
		.amdhsa_kernarg_size 472
		.amdhsa_user_sgpr_count 13
		.amdhsa_user_sgpr_dispatch_ptr 0
		.amdhsa_user_sgpr_queue_ptr 0
		.amdhsa_user_sgpr_kernarg_segment_ptr 1
		.amdhsa_user_sgpr_dispatch_id 0
		.amdhsa_user_sgpr_private_segment_size 0
		.amdhsa_wavefront_size32 1
		.amdhsa_uses_dynamic_stack 0
		.amdhsa_enable_private_segment 0
		.amdhsa_system_sgpr_workgroup_id_x 1
		.amdhsa_system_sgpr_workgroup_id_y 1
		.amdhsa_system_sgpr_workgroup_id_z 1
		.amdhsa_system_sgpr_workgroup_info 0
		.amdhsa_system_vgpr_workitem_id 0
		.amdhsa_next_free_vgpr 18
		.amdhsa_next_free_sgpr 58
		.amdhsa_reserve_vcc 1
		.amdhsa_float_round_mode_32 0
		.amdhsa_float_round_mode_16_64 0
		.amdhsa_float_denorm_mode_32 3
		.amdhsa_float_denorm_mode_16_64 3
		.amdhsa_dx10_clamp 1
		.amdhsa_ieee_mode 1
		.amdhsa_fp16_overflow 0
		.amdhsa_workgroup_processor_mode 1
		.amdhsa_memory_ordered 1
		.amdhsa_forward_progress 0
		.amdhsa_shared_vgpr_count 0
		.amdhsa_exception_fp_ieee_invalid_op 0
		.amdhsa_exception_fp_denorm_src 0
		.amdhsa_exception_fp_ieee_div_zero 0
		.amdhsa_exception_fp_ieee_overflow 0
		.amdhsa_exception_fp_ieee_underflow 0
		.amdhsa_exception_fp_ieee_inexact 0
		.amdhsa_exception_int_div_zero 0
	.end_amdhsa_kernel
	.section	.text._ZN2at6native12_GLOBAL__N_127reflection_pad3d_out_kernelIfEEvN5torch10headeronly6detail27GenericPackedTensorAccessorINS5_14TensorAccessorIN3c108ArrayRefIlEEKT_Lm4ENS4_16DefaultPtrTraitsElEENS_6detail16IndexBoundsCheckILm5ElEESC_Lm5ESD_lEENS6_INS7_ISA_SB_Lm4ESD_lEESH_SB_Lm5ESD_lEElllll,"axG",@progbits,_ZN2at6native12_GLOBAL__N_127reflection_pad3d_out_kernelIfEEvN5torch10headeronly6detail27GenericPackedTensorAccessorINS5_14TensorAccessorIN3c108ArrayRefIlEEKT_Lm4ENS4_16DefaultPtrTraitsElEENS_6detail16IndexBoundsCheckILm5ElEESC_Lm5ESD_lEENS6_INS7_ISA_SB_Lm4ESD_lEESH_SB_Lm5ESD_lEElllll,comdat
.Lfunc_end63:
	.size	_ZN2at6native12_GLOBAL__N_127reflection_pad3d_out_kernelIfEEvN5torch10headeronly6detail27GenericPackedTensorAccessorINS5_14TensorAccessorIN3c108ArrayRefIlEEKT_Lm4ENS4_16DefaultPtrTraitsElEENS_6detail16IndexBoundsCheckILm5ElEESC_Lm5ESD_lEENS6_INS7_ISA_SB_Lm4ESD_lEESH_SB_Lm5ESD_lEElllll, .Lfunc_end63-_ZN2at6native12_GLOBAL__N_127reflection_pad3d_out_kernelIfEEvN5torch10headeronly6detail27GenericPackedTensorAccessorINS5_14TensorAccessorIN3c108ArrayRefIlEEKT_Lm4ENS4_16DefaultPtrTraitsElEENS_6detail16IndexBoundsCheckILm5ElEESC_Lm5ESD_lEENS6_INS7_ISA_SB_Lm4ESD_lEESH_SB_Lm5ESD_lEElllll
                                        ; -- End function
	.section	.AMDGPU.csdata,"",@progbits
; Kernel info:
; codeLenInByte = 4444
; NumSgprs: 60
; NumVgprs: 18
; ScratchSize: 0
; MemoryBound: 0
; FloatMode: 240
; IeeeMode: 1
; LDSByteSize: 0 bytes/workgroup (compile time only)
; SGPRBlocks: 7
; VGPRBlocks: 2
; NumSGPRsForWavesPerEU: 60
; NumVGPRsForWavesPerEU: 18
; Occupancy: 16
; WaveLimiterHint : 0
; COMPUTE_PGM_RSRC2:SCRATCH_EN: 0
; COMPUTE_PGM_RSRC2:USER_SGPR: 13
; COMPUTE_PGM_RSRC2:TRAP_HANDLER: 0
; COMPUTE_PGM_RSRC2:TGID_X_EN: 1
; COMPUTE_PGM_RSRC2:TGID_Y_EN: 1
; COMPUTE_PGM_RSRC2:TGID_Z_EN: 1
; COMPUTE_PGM_RSRC2:TIDIG_COMP_CNT: 0
	.section	.text._ZN2at6native12_GLOBAL__N_127reflection_pad3d_out_kernelIN3c107complexIdEEEEvN5torch10headeronly6detail27GenericPackedTensorAccessorINS8_14TensorAccessorINS3_8ArrayRefIlEEKT_Lm4ENS7_16DefaultPtrTraitsElEENS_6detail16IndexBoundsCheckILm5ElEESE_Lm5ESF_lEENS9_INSA_ISC_SD_Lm4ESF_lEESJ_SD_Lm5ESF_lEElllll,"axG",@progbits,_ZN2at6native12_GLOBAL__N_127reflection_pad3d_out_kernelIN3c107complexIdEEEEvN5torch10headeronly6detail27GenericPackedTensorAccessorINS8_14TensorAccessorINS3_8ArrayRefIlEEKT_Lm4ENS7_16DefaultPtrTraitsElEENS_6detail16IndexBoundsCheckILm5ElEESE_Lm5ESF_lEENS9_INSA_ISC_SD_Lm4ESF_lEESJ_SD_Lm5ESF_lEElllll,comdat
	.globl	_ZN2at6native12_GLOBAL__N_127reflection_pad3d_out_kernelIN3c107complexIdEEEEvN5torch10headeronly6detail27GenericPackedTensorAccessorINS8_14TensorAccessorINS3_8ArrayRefIlEEKT_Lm4ENS7_16DefaultPtrTraitsElEENS_6detail16IndexBoundsCheckILm5ElEESE_Lm5ESF_lEENS9_INSA_ISC_SD_Lm4ESF_lEESJ_SD_Lm5ESF_lEElllll ; -- Begin function _ZN2at6native12_GLOBAL__N_127reflection_pad3d_out_kernelIN3c107complexIdEEEEvN5torch10headeronly6detail27GenericPackedTensorAccessorINS8_14TensorAccessorINS3_8ArrayRefIlEEKT_Lm4ENS7_16DefaultPtrTraitsElEENS_6detail16IndexBoundsCheckILm5ElEESE_Lm5ESF_lEENS9_INSA_ISC_SD_Lm4ESF_lEESJ_SD_Lm5ESF_lEElllll
	.p2align	8
	.type	_ZN2at6native12_GLOBAL__N_127reflection_pad3d_out_kernelIN3c107complexIdEEEEvN5torch10headeronly6detail27GenericPackedTensorAccessorINS8_14TensorAccessorINS3_8ArrayRefIlEEKT_Lm4ENS7_16DefaultPtrTraitsElEENS_6detail16IndexBoundsCheckILm5ElEESE_Lm5ESF_lEENS9_INSA_ISC_SD_Lm4ESF_lEESJ_SD_Lm5ESF_lEElllll,@function
_ZN2at6native12_GLOBAL__N_127reflection_pad3d_out_kernelIN3c107complexIdEEEEvN5torch10headeronly6detail27GenericPackedTensorAccessorINS8_14TensorAccessorINS3_8ArrayRefIlEEKT_Lm4ENS7_16DefaultPtrTraitsElEENS_6detail16IndexBoundsCheckILm5ElEESE_Lm5ESF_lEENS9_INSA_ISC_SD_Lm4ESF_lEESJ_SD_Lm5ESF_lEElllll: ; @_ZN2at6native12_GLOBAL__N_127reflection_pad3d_out_kernelIN3c107complexIdEEEEvN5torch10headeronly6detail27GenericPackedTensorAccessorINS8_14TensorAccessorINS3_8ArrayRefIlEEKT_Lm4ENS7_16DefaultPtrTraitsElEENS_6detail16IndexBoundsCheckILm5ElEESE_Lm5ESF_lEENS9_INSA_ISC_SD_Lm4ESF_lEESJ_SD_Lm5ESF_lEElllll
; %bb.0:
	s_clause 0x2
	s_load_b32 s2, s[0:1], 0xe4
	s_load_b128 s[16:19], s[0:1], 0x70
	s_load_b64 s[34:35], s[0:1], 0x80
	v_mov_b32_e32 v4, 0
	s_delay_alu instid0(VALU_DEP_1)
	v_mov_b32_e32 v1, v4
	s_waitcnt lgkmcnt(0)
	s_and_b32 s2, s2, 0xffff
	s_mul_i32 s4, s34, s19
	s_mul_hi_u32 s5, s34, s18
	s_mul_i32 s6, s35, s18
	s_mul_i32 s3, s34, s18
	v_mad_u64_u32 v[2:3], null, s2, s13, v[0:1]
	s_add_i32 s20, s5, s4
	s_mul_i32 s2, s3, s17
	s_mul_hi_u32 s4, s3, s16
	s_add_i32 s20, s20, s6
	s_add_i32 s2, s4, s2
	s_mul_i32 s4, s20, s16
	s_delay_alu instid0(SALU_CYCLE_1)
	s_add_i32 s5, s2, s4
	s_mul_i32 s4, s3, s16
	s_mov_b32 s2, exec_lo
	v_cmpx_gt_i64_e64 s[4:5], v[2:3]
	s_cbranch_execz .LBB64_14
; %bb.1:
	v_or_b32_e32 v5, s35, v3
	s_delay_alu instid0(VALU_DEP_1) | instskip(SKIP_1) | instid1(SALU_CYCLE_1)
	v_cmp_ne_u64_e32 vcc_lo, 0, v[4:5]
                                        ; implicit-def: $vgpr4_vgpr5
	s_and_saveexec_b32 s2, vcc_lo
	s_xor_b32 s8, exec_lo, s2
	s_cbranch_execz .LBB64_3
; %bb.2:
	s_ashr_i32 s4, s35, 31
	s_delay_alu instid0(SALU_CYCLE_1) | instskip(SKIP_2) | instid1(SALU_CYCLE_1)
	s_add_u32 s6, s34, s4
	s_mov_b32 s5, s4
	s_addc_u32 s7, s35, s4
	s_xor_b64 s[6:7], s[6:7], s[4:5]
	s_delay_alu instid0(SALU_CYCLE_1) | instskip(SKIP_3) | instid1(VALU_DEP_1)
	v_cvt_f32_u32_e32 v0, s6
	v_cvt_f32_u32_e32 v1, s7
	s_sub_u32 s2, 0, s6
	s_subb_u32 s5, 0, s7
	v_fmamk_f32 v0, v1, 0x4f800000, v0
	s_delay_alu instid0(VALU_DEP_1) | instskip(SKIP_2) | instid1(VALU_DEP_1)
	v_rcp_f32_e32 v0, v0
	s_waitcnt_depctr 0xfff
	v_mul_f32_e32 v0, 0x5f7ffffc, v0
	v_mul_f32_e32 v1, 0x2f800000, v0
	s_delay_alu instid0(VALU_DEP_1) | instskip(NEXT) | instid1(VALU_DEP_1)
	v_trunc_f32_e32 v1, v1
	v_fmamk_f32 v0, v1, 0xcf800000, v0
	v_cvt_u32_f32_e32 v1, v1
	s_delay_alu instid0(VALU_DEP_2) | instskip(NEXT) | instid1(VALU_DEP_2)
	v_cvt_u32_f32_e32 v0, v0
	v_mul_lo_u32 v4, s2, v1
	s_delay_alu instid0(VALU_DEP_2) | instskip(SKIP_1) | instid1(VALU_DEP_2)
	v_mul_hi_u32 v5, s2, v0
	v_mul_lo_u32 v6, s5, v0
	v_add_nc_u32_e32 v4, v5, v4
	v_mul_lo_u32 v5, s2, v0
	s_delay_alu instid0(VALU_DEP_2) | instskip(NEXT) | instid1(VALU_DEP_2)
	v_add_nc_u32_e32 v4, v4, v6
	v_mul_hi_u32 v6, v0, v5
	s_delay_alu instid0(VALU_DEP_2)
	v_mul_lo_u32 v7, v0, v4
	v_mul_hi_u32 v8, v0, v4
	v_mul_hi_u32 v9, v1, v5
	v_mul_lo_u32 v5, v1, v5
	v_mul_hi_u32 v10, v1, v4
	v_mul_lo_u32 v4, v1, v4
	v_add_co_u32 v6, vcc_lo, v6, v7
	v_add_co_ci_u32_e32 v7, vcc_lo, 0, v8, vcc_lo
	s_delay_alu instid0(VALU_DEP_2) | instskip(NEXT) | instid1(VALU_DEP_2)
	v_add_co_u32 v5, vcc_lo, v6, v5
	v_add_co_ci_u32_e32 v5, vcc_lo, v7, v9, vcc_lo
	v_add_co_ci_u32_e32 v6, vcc_lo, 0, v10, vcc_lo
	v_ashrrev_i32_e32 v9, 31, v3
	s_delay_alu instid0(VALU_DEP_3) | instskip(NEXT) | instid1(VALU_DEP_3)
	v_add_co_u32 v4, vcc_lo, v5, v4
	v_add_co_ci_u32_e32 v5, vcc_lo, 0, v6, vcc_lo
	s_delay_alu instid0(VALU_DEP_2) | instskip(NEXT) | instid1(VALU_DEP_2)
	v_add_co_u32 v0, vcc_lo, v0, v4
	v_add_co_ci_u32_e32 v1, vcc_lo, v1, v5, vcc_lo
	s_delay_alu instid0(VALU_DEP_2) | instskip(SKIP_1) | instid1(VALU_DEP_3)
	v_mul_hi_u32 v4, s2, v0
	v_mul_lo_u32 v6, s5, v0
	v_mul_lo_u32 v5, s2, v1
	s_delay_alu instid0(VALU_DEP_1) | instskip(SKIP_1) | instid1(VALU_DEP_2)
	v_add_nc_u32_e32 v4, v4, v5
	v_mul_lo_u32 v5, s2, v0
	v_add_nc_u32_e32 v4, v4, v6
	s_delay_alu instid0(VALU_DEP_2) | instskip(NEXT) | instid1(VALU_DEP_2)
	v_mul_hi_u32 v6, v0, v5
	v_mul_lo_u32 v7, v0, v4
	v_mul_hi_u32 v8, v0, v4
	v_mul_hi_u32 v10, v1, v5
	v_mul_lo_u32 v5, v1, v5
	v_mul_hi_u32 v11, v1, v4
	v_mul_lo_u32 v4, v1, v4
	v_add_co_u32 v6, vcc_lo, v6, v7
	v_add_co_ci_u32_e32 v7, vcc_lo, 0, v8, vcc_lo
	s_delay_alu instid0(VALU_DEP_2) | instskip(NEXT) | instid1(VALU_DEP_2)
	v_add_co_u32 v5, vcc_lo, v6, v5
	v_add_co_ci_u32_e32 v5, vcc_lo, v7, v10, vcc_lo
	v_add_co_ci_u32_e32 v6, vcc_lo, 0, v11, vcc_lo
	v_add_co_u32 v7, vcc_lo, v2, v9
	v_add_co_ci_u32_e32 v8, vcc_lo, v3, v9, vcc_lo
	s_delay_alu instid0(VALU_DEP_4) | instskip(NEXT) | instid1(VALU_DEP_4)
	v_add_co_u32 v4, vcc_lo, v5, v4
	v_add_co_ci_u32_e32 v5, vcc_lo, 0, v6, vcc_lo
	s_delay_alu instid0(VALU_DEP_4) | instskip(NEXT) | instid1(VALU_DEP_3)
	v_xor_b32_e32 v10, v7, v9
	v_add_co_u32 v6, vcc_lo, v0, v4
	s_delay_alu instid0(VALU_DEP_3) | instskip(SKIP_1) | instid1(VALU_DEP_3)
	v_add_co_ci_u32_e32 v11, vcc_lo, v1, v5, vcc_lo
	v_xor_b32_e32 v8, v8, v9
	v_mul_hi_u32 v12, v10, v6
	s_delay_alu instid0(VALU_DEP_3) | instskip(NEXT) | instid1(VALU_DEP_3)
	v_mad_u64_u32 v[0:1], null, v10, v11, 0
	v_mad_u64_u32 v[4:5], null, v8, v6, 0
	;; [unrolled: 1-line block ×3, first 2 shown]
	s_delay_alu instid0(VALU_DEP_3) | instskip(NEXT) | instid1(VALU_DEP_4)
	v_add_co_u32 v0, vcc_lo, v12, v0
	v_add_co_ci_u32_e32 v1, vcc_lo, 0, v1, vcc_lo
	s_delay_alu instid0(VALU_DEP_2) | instskip(NEXT) | instid1(VALU_DEP_2)
	v_add_co_u32 v0, vcc_lo, v0, v4
	v_add_co_ci_u32_e32 v0, vcc_lo, v1, v5, vcc_lo
	v_add_co_ci_u32_e32 v1, vcc_lo, 0, v7, vcc_lo
	s_delay_alu instid0(VALU_DEP_2) | instskip(NEXT) | instid1(VALU_DEP_2)
	v_add_co_u32 v4, vcc_lo, v0, v6
	v_add_co_ci_u32_e32 v5, vcc_lo, 0, v1, vcc_lo
	s_delay_alu instid0(VALU_DEP_2) | instskip(SKIP_1) | instid1(VALU_DEP_3)
	v_mul_lo_u32 v6, s7, v4
	v_mad_u64_u32 v[0:1], null, s6, v4, 0
	v_mul_lo_u32 v7, s6, v5
	s_delay_alu instid0(VALU_DEP_2) | instskip(NEXT) | instid1(VALU_DEP_2)
	v_sub_co_u32 v0, vcc_lo, v10, v0
	v_add3_u32 v1, v1, v7, v6
	s_delay_alu instid0(VALU_DEP_1) | instskip(NEXT) | instid1(VALU_DEP_1)
	v_sub_nc_u32_e32 v6, v8, v1
	v_subrev_co_ci_u32_e64 v6, s2, s7, v6, vcc_lo
	v_add_co_u32 v7, s2, v4, 2
	s_delay_alu instid0(VALU_DEP_1) | instskip(SKIP_3) | instid1(VALU_DEP_3)
	v_add_co_ci_u32_e64 v10, s2, 0, v5, s2
	v_sub_co_u32 v11, s2, v0, s6
	v_sub_co_ci_u32_e32 v1, vcc_lo, v8, v1, vcc_lo
	v_subrev_co_ci_u32_e64 v6, s2, 0, v6, s2
	v_cmp_le_u32_e32 vcc_lo, s6, v11
	s_delay_alu instid0(VALU_DEP_3) | instskip(SKIP_1) | instid1(VALU_DEP_4)
	v_cmp_eq_u32_e64 s2, s7, v1
	v_cndmask_b32_e64 v8, 0, -1, vcc_lo
	v_cmp_le_u32_e32 vcc_lo, s7, v6
	v_cndmask_b32_e64 v11, 0, -1, vcc_lo
	v_cmp_le_u32_e32 vcc_lo, s6, v0
	;; [unrolled: 2-line block ×3, first 2 shown]
	v_cndmask_b32_e64 v12, 0, -1, vcc_lo
	v_cmp_eq_u32_e32 vcc_lo, s7, v6
	s_delay_alu instid0(VALU_DEP_2) | instskip(SKIP_3) | instid1(VALU_DEP_3)
	v_cndmask_b32_e64 v0, v12, v0, s2
	v_cndmask_b32_e32 v6, v11, v8, vcc_lo
	v_add_co_u32 v8, vcc_lo, v4, 1
	v_add_co_ci_u32_e32 v11, vcc_lo, 0, v5, vcc_lo
	v_cmp_ne_u32_e32 vcc_lo, 0, v6
	s_delay_alu instid0(VALU_DEP_2) | instskip(SKIP_2) | instid1(VALU_DEP_3)
	v_dual_cndmask_b32 v1, v11, v10 :: v_dual_cndmask_b32 v6, v8, v7
	v_cmp_ne_u32_e32 vcc_lo, 0, v0
	v_xor_b32_e32 v0, s4, v9
	v_dual_cndmask_b32 v4, v4, v6 :: v_dual_cndmask_b32 v1, v5, v1
	s_delay_alu instid0(VALU_DEP_1) | instskip(NEXT) | instid1(VALU_DEP_2)
	v_xor_b32_e32 v4, v4, v0
	v_xor_b32_e32 v1, v1, v0
	s_delay_alu instid0(VALU_DEP_2) | instskip(NEXT) | instid1(VALU_DEP_2)
	v_sub_co_u32 v4, vcc_lo, v4, v0
	v_sub_co_ci_u32_e32 v5, vcc_lo, v1, v0, vcc_lo
.LBB64_3:
	s_and_not1_saveexec_b32 s2, s8
	s_cbranch_execz .LBB64_5
; %bb.4:
	v_cvt_f32_u32_e32 v0, s34
	s_sub_i32 s4, 0, s34
	s_delay_alu instid0(VALU_DEP_1) | instskip(SKIP_2) | instid1(VALU_DEP_1)
	v_rcp_iflag_f32_e32 v0, v0
	s_waitcnt_depctr 0xfff
	v_mul_f32_e32 v0, 0x4f7ffffe, v0
	v_cvt_u32_f32_e32 v0, v0
	s_delay_alu instid0(VALU_DEP_1) | instskip(NEXT) | instid1(VALU_DEP_1)
	v_mul_lo_u32 v1, s4, v0
	v_mul_hi_u32 v1, v0, v1
	s_delay_alu instid0(VALU_DEP_1) | instskip(NEXT) | instid1(VALU_DEP_1)
	v_add_nc_u32_e32 v0, v0, v1
	v_mul_hi_u32 v0, v2, v0
	s_delay_alu instid0(VALU_DEP_1) | instskip(SKIP_1) | instid1(VALU_DEP_2)
	v_mul_lo_u32 v1, v0, s34
	v_add_nc_u32_e32 v4, 1, v0
	v_sub_nc_u32_e32 v1, v2, v1
	s_delay_alu instid0(VALU_DEP_1) | instskip(SKIP_1) | instid1(VALU_DEP_2)
	v_subrev_nc_u32_e32 v5, s34, v1
	v_cmp_le_u32_e32 vcc_lo, s34, v1
	v_cndmask_b32_e32 v1, v1, v5, vcc_lo
	v_dual_mov_b32 v5, 0 :: v_dual_cndmask_b32 v0, v0, v4
	s_delay_alu instid0(VALU_DEP_2) | instskip(NEXT) | instid1(VALU_DEP_2)
	v_cmp_le_u32_e32 vcc_lo, s34, v1
	v_add_nc_u32_e32 v4, 1, v0
	s_delay_alu instid0(VALU_DEP_1)
	v_cndmask_b32_e32 v4, v0, v4, vcc_lo
.LBB64_5:
	s_or_b32 exec_lo, exec_lo, s2
	s_delay_alu instid0(VALU_DEP_1) | instskip(SKIP_1) | instid1(VALU_DEP_1)
	v_or_b32_e32 v1, s19, v5
	v_mov_b32_e32 v0, 0
	v_cmp_ne_u64_e32 vcc_lo, 0, v[0:1]
                                        ; implicit-def: $vgpr0_vgpr1
	s_and_saveexec_b32 s2, vcc_lo
	s_delay_alu instid0(SALU_CYCLE_1)
	s_xor_b32 s6, exec_lo, s2
	s_cbranch_execz .LBB64_7
; %bb.6:
	s_ashr_i32 s4, s19, 31
	s_delay_alu instid0(SALU_CYCLE_1) | instskip(SKIP_2) | instid1(SALU_CYCLE_1)
	s_add_u32 s8, s18, s4
	s_mov_b32 s5, s4
	s_addc_u32 s9, s19, s4
	s_xor_b64 s[4:5], s[8:9], s[4:5]
	s_delay_alu instid0(SALU_CYCLE_1) | instskip(SKIP_3) | instid1(VALU_DEP_1)
	v_cvt_f32_u32_e32 v0, s4
	v_cvt_f32_u32_e32 v1, s5
	s_sub_u32 s2, 0, s4
	s_subb_u32 s7, 0, s5
	v_fmamk_f32 v0, v1, 0x4f800000, v0
	s_delay_alu instid0(VALU_DEP_1) | instskip(SKIP_2) | instid1(VALU_DEP_1)
	v_rcp_f32_e32 v0, v0
	s_waitcnt_depctr 0xfff
	v_mul_f32_e32 v0, 0x5f7ffffc, v0
	v_mul_f32_e32 v1, 0x2f800000, v0
	s_delay_alu instid0(VALU_DEP_1) | instskip(NEXT) | instid1(VALU_DEP_1)
	v_trunc_f32_e32 v1, v1
	v_fmamk_f32 v0, v1, 0xcf800000, v0
	v_cvt_u32_f32_e32 v1, v1
	s_delay_alu instid0(VALU_DEP_2) | instskip(NEXT) | instid1(VALU_DEP_2)
	v_cvt_u32_f32_e32 v0, v0
	v_mul_lo_u32 v6, s2, v1
	s_delay_alu instid0(VALU_DEP_2) | instskip(SKIP_1) | instid1(VALU_DEP_2)
	v_mul_hi_u32 v7, s2, v0
	v_mul_lo_u32 v8, s7, v0
	v_add_nc_u32_e32 v6, v7, v6
	v_mul_lo_u32 v7, s2, v0
	s_delay_alu instid0(VALU_DEP_2) | instskip(NEXT) | instid1(VALU_DEP_2)
	v_add_nc_u32_e32 v6, v6, v8
	v_mul_hi_u32 v8, v0, v7
	s_delay_alu instid0(VALU_DEP_2)
	v_mul_lo_u32 v9, v0, v6
	v_mul_hi_u32 v10, v0, v6
	v_mul_hi_u32 v11, v1, v7
	v_mul_lo_u32 v7, v1, v7
	v_mul_hi_u32 v12, v1, v6
	v_mul_lo_u32 v6, v1, v6
	v_add_co_u32 v8, vcc_lo, v8, v9
	v_add_co_ci_u32_e32 v9, vcc_lo, 0, v10, vcc_lo
	s_delay_alu instid0(VALU_DEP_2) | instskip(NEXT) | instid1(VALU_DEP_2)
	v_add_co_u32 v7, vcc_lo, v8, v7
	v_add_co_ci_u32_e32 v7, vcc_lo, v9, v11, vcc_lo
	v_add_co_ci_u32_e32 v8, vcc_lo, 0, v12, vcc_lo
	v_ashrrev_i32_e32 v11, 31, v5
	s_delay_alu instid0(VALU_DEP_3) | instskip(NEXT) | instid1(VALU_DEP_3)
	v_add_co_u32 v6, vcc_lo, v7, v6
	v_add_co_ci_u32_e32 v7, vcc_lo, 0, v8, vcc_lo
	s_delay_alu instid0(VALU_DEP_2) | instskip(NEXT) | instid1(VALU_DEP_2)
	v_add_co_u32 v0, vcc_lo, v0, v6
	v_add_co_ci_u32_e32 v1, vcc_lo, v1, v7, vcc_lo
	s_delay_alu instid0(VALU_DEP_2) | instskip(SKIP_1) | instid1(VALU_DEP_3)
	v_mul_hi_u32 v6, s2, v0
	v_mul_lo_u32 v8, s7, v0
	v_mul_lo_u32 v7, s2, v1
	s_delay_alu instid0(VALU_DEP_1) | instskip(SKIP_1) | instid1(VALU_DEP_2)
	v_add_nc_u32_e32 v6, v6, v7
	v_mul_lo_u32 v7, s2, v0
	v_add_nc_u32_e32 v6, v6, v8
	s_delay_alu instid0(VALU_DEP_2) | instskip(NEXT) | instid1(VALU_DEP_2)
	v_mul_hi_u32 v8, v0, v7
	v_mul_lo_u32 v9, v0, v6
	v_mul_hi_u32 v10, v0, v6
	v_mul_hi_u32 v12, v1, v7
	v_mul_lo_u32 v7, v1, v7
	v_mul_hi_u32 v13, v1, v6
	v_mul_lo_u32 v6, v1, v6
	v_add_co_u32 v8, vcc_lo, v8, v9
	v_add_co_ci_u32_e32 v9, vcc_lo, 0, v10, vcc_lo
	s_delay_alu instid0(VALU_DEP_2) | instskip(NEXT) | instid1(VALU_DEP_2)
	v_add_co_u32 v7, vcc_lo, v8, v7
	v_add_co_ci_u32_e32 v7, vcc_lo, v9, v12, vcc_lo
	v_add_co_ci_u32_e32 v8, vcc_lo, 0, v13, vcc_lo
	v_add_co_u32 v9, vcc_lo, v4, v11
	v_add_co_ci_u32_e32 v10, vcc_lo, v5, v11, vcc_lo
	s_delay_alu instid0(VALU_DEP_4) | instskip(NEXT) | instid1(VALU_DEP_4)
	v_add_co_u32 v6, vcc_lo, v7, v6
	v_add_co_ci_u32_e32 v7, vcc_lo, 0, v8, vcc_lo
	s_delay_alu instid0(VALU_DEP_4) | instskip(NEXT) | instid1(VALU_DEP_3)
	v_xor_b32_e32 v12, v9, v11
	v_add_co_u32 v8, vcc_lo, v0, v6
	s_delay_alu instid0(VALU_DEP_3) | instskip(SKIP_1) | instid1(VALU_DEP_3)
	v_add_co_ci_u32_e32 v13, vcc_lo, v1, v7, vcc_lo
	v_xor_b32_e32 v10, v10, v11
	v_mul_hi_u32 v14, v12, v8
	s_delay_alu instid0(VALU_DEP_3) | instskip(NEXT) | instid1(VALU_DEP_3)
	v_mad_u64_u32 v[0:1], null, v12, v13, 0
	v_mad_u64_u32 v[6:7], null, v10, v8, 0
	;; [unrolled: 1-line block ×3, first 2 shown]
	s_delay_alu instid0(VALU_DEP_3) | instskip(NEXT) | instid1(VALU_DEP_4)
	v_add_co_u32 v0, vcc_lo, v14, v0
	v_add_co_ci_u32_e32 v1, vcc_lo, 0, v1, vcc_lo
	s_delay_alu instid0(VALU_DEP_2) | instskip(NEXT) | instid1(VALU_DEP_2)
	v_add_co_u32 v0, vcc_lo, v0, v6
	v_add_co_ci_u32_e32 v0, vcc_lo, v1, v7, vcc_lo
	v_add_co_ci_u32_e32 v1, vcc_lo, 0, v9, vcc_lo
	s_delay_alu instid0(VALU_DEP_2) | instskip(NEXT) | instid1(VALU_DEP_2)
	v_add_co_u32 v6, vcc_lo, v0, v8
	v_add_co_ci_u32_e32 v7, vcc_lo, 0, v1, vcc_lo
	s_delay_alu instid0(VALU_DEP_2) | instskip(SKIP_1) | instid1(VALU_DEP_3)
	v_mul_lo_u32 v8, s5, v6
	v_mad_u64_u32 v[0:1], null, s4, v6, 0
	v_mul_lo_u32 v6, s4, v7
	s_delay_alu instid0(VALU_DEP_2) | instskip(NEXT) | instid1(VALU_DEP_2)
	v_sub_co_u32 v0, vcc_lo, v12, v0
	v_add3_u32 v1, v1, v6, v8
	s_delay_alu instid0(VALU_DEP_1) | instskip(NEXT) | instid1(VALU_DEP_1)
	v_sub_nc_u32_e32 v6, v10, v1
	v_subrev_co_ci_u32_e64 v6, s2, s5, v6, vcc_lo
	v_sub_co_ci_u32_e32 v1, vcc_lo, v10, v1, vcc_lo
	v_sub_co_u32 v7, vcc_lo, v0, s4
	s_delay_alu instid0(VALU_DEP_1) | instskip(SKIP_3) | instid1(VALU_DEP_3)
	v_subrev_co_ci_u32_e64 v8, s2, 0, v6, vcc_lo
	v_cmp_le_u32_e64 s2, s4, v0
	v_subrev_co_ci_u32_e32 v6, vcc_lo, s5, v6, vcc_lo
	v_cmp_le_u32_e32 vcc_lo, s5, v1
	v_cndmask_b32_e64 v9, 0, -1, s2
	v_cmp_le_u32_e64 s2, s4, v7
	v_cndmask_b32_e64 v13, 0, -1, vcc_lo
	v_cmp_eq_u32_e32 vcc_lo, s5, v8
	s_delay_alu instid0(VALU_DEP_3) | instskip(SKIP_1) | instid1(VALU_DEP_1)
	v_cndmask_b32_e64 v10, 0, -1, s2
	v_cmp_le_u32_e64 s2, s5, v8
	v_cndmask_b32_e64 v12, 0, -1, s2
	v_cmp_eq_u32_e64 s2, s5, v1
	s_delay_alu instid0(VALU_DEP_2) | instskip(SKIP_2) | instid1(VALU_DEP_3)
	v_cndmask_b32_e32 v10, v12, v10, vcc_lo
	v_sub_co_u32 v12, vcc_lo, v7, s4
	v_subrev_co_ci_u32_e32 v6, vcc_lo, 0, v6, vcc_lo
	v_cmp_ne_u32_e32 vcc_lo, 0, v10
	v_cndmask_b32_e64 v9, v13, v9, s2
	s_delay_alu instid0(VALU_DEP_3) | instskip(NEXT) | instid1(VALU_DEP_2)
	v_dual_cndmask_b32 v6, v8, v6 :: v_dual_cndmask_b32 v7, v7, v12
	v_cmp_ne_u32_e32 vcc_lo, 0, v9
	s_delay_alu instid0(VALU_DEP_2) | instskip(NEXT) | instid1(VALU_DEP_1)
	v_dual_cndmask_b32 v0, v0, v7 :: v_dual_cndmask_b32 v1, v1, v6
	v_xor_b32_e32 v0, v0, v11
	s_delay_alu instid0(VALU_DEP_2) | instskip(NEXT) | instid1(VALU_DEP_2)
	v_xor_b32_e32 v1, v1, v11
	v_sub_co_u32 v0, vcc_lo, v0, v11
	s_delay_alu instid0(VALU_DEP_2)
	v_sub_co_ci_u32_e32 v1, vcc_lo, v1, v11, vcc_lo
.LBB64_7:
	s_or_saveexec_b32 s2, s6
	s_clause 0x1
	s_load_b64 s[12:13], s[0:1], 0xa8
	s_load_b256 s[4:11], s[0:1], 0x88
	s_xor_b32 exec_lo, exec_lo, s2
	s_cbranch_execz .LBB64_9
; %bb.8:
	v_cvt_f32_u32_e32 v0, s18
	s_sub_i32 s16, 0, s18
	s_delay_alu instid0(VALU_DEP_1) | instskip(SKIP_2) | instid1(VALU_DEP_1)
	v_rcp_iflag_f32_e32 v0, v0
	s_waitcnt_depctr 0xfff
	v_mul_f32_e32 v0, 0x4f7ffffe, v0
	v_cvt_u32_f32_e32 v0, v0
	s_delay_alu instid0(VALU_DEP_1) | instskip(NEXT) | instid1(VALU_DEP_1)
	v_mul_lo_u32 v1, s16, v0
	v_mul_hi_u32 v1, v0, v1
	s_delay_alu instid0(VALU_DEP_1) | instskip(NEXT) | instid1(VALU_DEP_1)
	v_add_nc_u32_e32 v0, v0, v1
	v_mul_hi_u32 v0, v4, v0
	s_delay_alu instid0(VALU_DEP_1) | instskip(NEXT) | instid1(VALU_DEP_1)
	v_mul_lo_u32 v0, v0, s18
	v_sub_nc_u32_e32 v0, v4, v0
	s_delay_alu instid0(VALU_DEP_1) | instskip(SKIP_1) | instid1(VALU_DEP_2)
	v_subrev_nc_u32_e32 v1, s18, v0
	v_cmp_le_u32_e32 vcc_lo, s18, v0
	v_cndmask_b32_e32 v0, v0, v1, vcc_lo
	s_delay_alu instid0(VALU_DEP_1) | instskip(SKIP_1) | instid1(VALU_DEP_2)
	v_subrev_nc_u32_e32 v1, s18, v0
	v_cmp_le_u32_e32 vcc_lo, s18, v0
	v_dual_cndmask_b32 v0, v0, v1 :: v_dual_mov_b32 v1, 0
.LBB64_9:
	s_or_b32 exec_lo, exec_lo, s2
	s_clause 0x1
	s_load_b64 s[44:45], s[0:1], 0x58
	s_load_b64 s[46:47], s[0:1], 0x0
	v_or_b32_e32 v7, s20, v3
	v_mov_b32_e32 v6, 0
	s_delay_alu instid0(VALU_DEP_1) | instskip(SKIP_1) | instid1(SALU_CYCLE_1)
	v_cmp_ne_u64_e32 vcc_lo, 0, v[6:7]
                                        ; implicit-def: $vgpr6_vgpr7
	s_and_saveexec_b32 s2, vcc_lo
	s_xor_b32 s21, exec_lo, s2
	s_cbranch_execz .LBB64_11
; %bb.10:
	s_ashr_i32 s16, s20, 31
	s_delay_alu instid0(SALU_CYCLE_1) | instskip(SKIP_2) | instid1(SALU_CYCLE_1)
	s_add_u32 s18, s3, s16
	s_mov_b32 s17, s16
	s_addc_u32 s19, s20, s16
	s_xor_b64 s[18:19], s[18:19], s[16:17]
	s_delay_alu instid0(SALU_CYCLE_1) | instskip(SKIP_3) | instid1(VALU_DEP_1)
	v_cvt_f32_u32_e32 v6, s18
	v_cvt_f32_u32_e32 v7, s19
	s_sub_u32 s2, 0, s18
	s_subb_u32 s17, 0, s19
	v_fmamk_f32 v6, v7, 0x4f800000, v6
	s_delay_alu instid0(VALU_DEP_1) | instskip(SKIP_2) | instid1(VALU_DEP_1)
	v_rcp_f32_e32 v6, v6
	s_waitcnt_depctr 0xfff
	v_mul_f32_e32 v6, 0x5f7ffffc, v6
	v_mul_f32_e32 v7, 0x2f800000, v6
	s_delay_alu instid0(VALU_DEP_1) | instskip(NEXT) | instid1(VALU_DEP_1)
	v_trunc_f32_e32 v7, v7
	v_fmamk_f32 v6, v7, 0xcf800000, v6
	v_cvt_u32_f32_e32 v7, v7
	s_delay_alu instid0(VALU_DEP_2) | instskip(NEXT) | instid1(VALU_DEP_2)
	v_cvt_u32_f32_e32 v6, v6
	v_mul_lo_u32 v8, s2, v7
	s_delay_alu instid0(VALU_DEP_2) | instskip(SKIP_1) | instid1(VALU_DEP_2)
	v_mul_hi_u32 v9, s2, v6
	v_mul_lo_u32 v10, s17, v6
	v_add_nc_u32_e32 v8, v9, v8
	v_mul_lo_u32 v9, s2, v6
	s_delay_alu instid0(VALU_DEP_2) | instskip(NEXT) | instid1(VALU_DEP_2)
	v_add_nc_u32_e32 v8, v8, v10
	v_mul_hi_u32 v10, v6, v9
	s_delay_alu instid0(VALU_DEP_2)
	v_mul_lo_u32 v11, v6, v8
	v_mul_hi_u32 v12, v6, v8
	v_mul_hi_u32 v13, v7, v9
	v_mul_lo_u32 v9, v7, v9
	v_mul_hi_u32 v14, v7, v8
	v_mul_lo_u32 v8, v7, v8
	v_add_co_u32 v10, vcc_lo, v10, v11
	v_add_co_ci_u32_e32 v11, vcc_lo, 0, v12, vcc_lo
	s_delay_alu instid0(VALU_DEP_2) | instskip(NEXT) | instid1(VALU_DEP_2)
	v_add_co_u32 v9, vcc_lo, v10, v9
	v_add_co_ci_u32_e32 v9, vcc_lo, v11, v13, vcc_lo
	v_add_co_ci_u32_e32 v10, vcc_lo, 0, v14, vcc_lo
	v_ashrrev_i32_e32 v13, 31, v3
	s_delay_alu instid0(VALU_DEP_3) | instskip(NEXT) | instid1(VALU_DEP_3)
	v_add_co_u32 v8, vcc_lo, v9, v8
	v_add_co_ci_u32_e32 v9, vcc_lo, 0, v10, vcc_lo
	s_delay_alu instid0(VALU_DEP_2) | instskip(NEXT) | instid1(VALU_DEP_2)
	v_add_co_u32 v6, vcc_lo, v6, v8
	v_add_co_ci_u32_e32 v7, vcc_lo, v7, v9, vcc_lo
	s_delay_alu instid0(VALU_DEP_2) | instskip(SKIP_1) | instid1(VALU_DEP_3)
	v_mul_hi_u32 v8, s2, v6
	v_mul_lo_u32 v10, s17, v6
	v_mul_lo_u32 v9, s2, v7
	s_delay_alu instid0(VALU_DEP_1) | instskip(SKIP_1) | instid1(VALU_DEP_2)
	v_add_nc_u32_e32 v8, v8, v9
	v_mul_lo_u32 v9, s2, v6
	v_add_nc_u32_e32 v8, v8, v10
	s_delay_alu instid0(VALU_DEP_2) | instskip(NEXT) | instid1(VALU_DEP_2)
	v_mul_hi_u32 v10, v6, v9
	v_mul_lo_u32 v11, v6, v8
	v_mul_hi_u32 v12, v6, v8
	v_mul_hi_u32 v14, v7, v9
	v_mul_lo_u32 v9, v7, v9
	v_mul_hi_u32 v15, v7, v8
	v_mul_lo_u32 v8, v7, v8
	v_add_co_u32 v10, vcc_lo, v10, v11
	v_add_co_ci_u32_e32 v11, vcc_lo, 0, v12, vcc_lo
	s_delay_alu instid0(VALU_DEP_2) | instskip(NEXT) | instid1(VALU_DEP_2)
	v_add_co_u32 v9, vcc_lo, v10, v9
	v_add_co_ci_u32_e32 v9, vcc_lo, v11, v14, vcc_lo
	v_add_co_ci_u32_e32 v10, vcc_lo, 0, v15, vcc_lo
	v_add_co_u32 v11, vcc_lo, v2, v13
	v_add_co_ci_u32_e32 v12, vcc_lo, v3, v13, vcc_lo
	s_delay_alu instid0(VALU_DEP_4) | instskip(NEXT) | instid1(VALU_DEP_4)
	v_add_co_u32 v8, vcc_lo, v9, v8
	v_add_co_ci_u32_e32 v9, vcc_lo, 0, v10, vcc_lo
	s_delay_alu instid0(VALU_DEP_4) | instskip(NEXT) | instid1(VALU_DEP_3)
	v_xor_b32_e32 v14, v11, v13
	v_add_co_u32 v10, vcc_lo, v6, v8
	s_delay_alu instid0(VALU_DEP_3) | instskip(SKIP_1) | instid1(VALU_DEP_3)
	v_add_co_ci_u32_e32 v15, vcc_lo, v7, v9, vcc_lo
	v_xor_b32_e32 v12, v12, v13
	v_mul_hi_u32 v16, v14, v10
	s_delay_alu instid0(VALU_DEP_3) | instskip(NEXT) | instid1(VALU_DEP_3)
	v_mad_u64_u32 v[6:7], null, v14, v15, 0
	v_mad_u64_u32 v[8:9], null, v12, v10, 0
	;; [unrolled: 1-line block ×3, first 2 shown]
	s_delay_alu instid0(VALU_DEP_3) | instskip(NEXT) | instid1(VALU_DEP_4)
	v_add_co_u32 v6, vcc_lo, v16, v6
	v_add_co_ci_u32_e32 v7, vcc_lo, 0, v7, vcc_lo
	s_delay_alu instid0(VALU_DEP_2) | instskip(NEXT) | instid1(VALU_DEP_2)
	v_add_co_u32 v6, vcc_lo, v6, v8
	v_add_co_ci_u32_e32 v6, vcc_lo, v7, v9, vcc_lo
	v_add_co_ci_u32_e32 v7, vcc_lo, 0, v11, vcc_lo
	s_delay_alu instid0(VALU_DEP_2) | instskip(NEXT) | instid1(VALU_DEP_2)
	v_add_co_u32 v8, vcc_lo, v6, v10
	v_add_co_ci_u32_e32 v9, vcc_lo, 0, v7, vcc_lo
	s_delay_alu instid0(VALU_DEP_2) | instskip(SKIP_1) | instid1(VALU_DEP_3)
	v_mul_lo_u32 v10, s19, v8
	v_mad_u64_u32 v[6:7], null, s18, v8, 0
	v_mul_lo_u32 v11, s18, v9
	s_delay_alu instid0(VALU_DEP_2) | instskip(NEXT) | instid1(VALU_DEP_2)
	v_sub_co_u32 v6, vcc_lo, v14, v6
	v_add3_u32 v7, v7, v11, v10
	s_delay_alu instid0(VALU_DEP_1) | instskip(NEXT) | instid1(VALU_DEP_1)
	v_sub_nc_u32_e32 v10, v12, v7
	v_subrev_co_ci_u32_e64 v10, s2, s19, v10, vcc_lo
	v_add_co_u32 v11, s2, v8, 2
	s_delay_alu instid0(VALU_DEP_1) | instskip(SKIP_3) | instid1(VALU_DEP_3)
	v_add_co_ci_u32_e64 v14, s2, 0, v9, s2
	v_sub_co_u32 v15, s2, v6, s18
	v_sub_co_ci_u32_e32 v7, vcc_lo, v12, v7, vcc_lo
	v_subrev_co_ci_u32_e64 v10, s2, 0, v10, s2
	v_cmp_le_u32_e32 vcc_lo, s18, v15
	s_delay_alu instid0(VALU_DEP_3) | instskip(SKIP_1) | instid1(VALU_DEP_4)
	v_cmp_eq_u32_e64 s2, s19, v7
	v_cndmask_b32_e64 v12, 0, -1, vcc_lo
	v_cmp_le_u32_e32 vcc_lo, s19, v10
	v_cndmask_b32_e64 v15, 0, -1, vcc_lo
	v_cmp_le_u32_e32 vcc_lo, s18, v6
	;; [unrolled: 2-line block ×3, first 2 shown]
	v_cndmask_b32_e64 v16, 0, -1, vcc_lo
	v_cmp_eq_u32_e32 vcc_lo, s19, v10
	s_delay_alu instid0(VALU_DEP_2) | instskip(SKIP_3) | instid1(VALU_DEP_3)
	v_cndmask_b32_e64 v6, v16, v6, s2
	v_cndmask_b32_e32 v10, v15, v12, vcc_lo
	v_add_co_u32 v12, vcc_lo, v8, 1
	v_add_co_ci_u32_e32 v15, vcc_lo, 0, v9, vcc_lo
	v_cmp_ne_u32_e32 vcc_lo, 0, v10
	s_delay_alu instid0(VALU_DEP_2) | instskip(SKIP_2) | instid1(VALU_DEP_3)
	v_dual_cndmask_b32 v7, v15, v14 :: v_dual_cndmask_b32 v10, v12, v11
	v_cmp_ne_u32_e32 vcc_lo, 0, v6
	v_xor_b32_e32 v11, s16, v13
	v_dual_cndmask_b32 v6, v9, v7 :: v_dual_cndmask_b32 v7, v8, v10
	s_delay_alu instid0(VALU_DEP_1) | instskip(NEXT) | instid1(VALU_DEP_2)
	v_xor_b32_e32 v8, v6, v11
	v_xor_b32_e32 v7, v7, v11
	s_delay_alu instid0(VALU_DEP_1) | instskip(NEXT) | instid1(VALU_DEP_3)
	v_sub_co_u32 v6, vcc_lo, v7, v11
	v_sub_co_ci_u32_e32 v7, vcc_lo, v8, v11, vcc_lo
.LBB64_11:
	s_or_saveexec_b32 s2, s21
	s_load_b512 s[16:31], s[0:1], 0x18
	s_xor_b32 exec_lo, exec_lo, s2
	s_cbranch_execz .LBB64_13
; %bb.12:
	v_cvt_f32_u32_e32 v6, s3
	s_sub_i32 s33, 0, s3
	s_delay_alu instid0(VALU_DEP_1) | instskip(SKIP_2) | instid1(VALU_DEP_1)
	v_rcp_iflag_f32_e32 v6, v6
	s_waitcnt_depctr 0xfff
	v_mul_f32_e32 v6, 0x4f7ffffe, v6
	v_cvt_u32_f32_e32 v6, v6
	s_delay_alu instid0(VALU_DEP_1) | instskip(NEXT) | instid1(VALU_DEP_1)
	v_mul_lo_u32 v7, s33, v6
	v_mul_hi_u32 v7, v6, v7
	s_delay_alu instid0(VALU_DEP_1) | instskip(NEXT) | instid1(VALU_DEP_1)
	v_add_nc_u32_e32 v6, v6, v7
	v_mul_hi_u32 v6, v2, v6
	s_delay_alu instid0(VALU_DEP_1) | instskip(SKIP_1) | instid1(VALU_DEP_2)
	v_mul_lo_u32 v7, v6, s3
	v_add_nc_u32_e32 v8, 1, v6
	v_sub_nc_u32_e32 v7, v2, v7
	s_delay_alu instid0(VALU_DEP_1) | instskip(SKIP_1) | instid1(VALU_DEP_2)
	v_subrev_nc_u32_e32 v9, s3, v7
	v_cmp_le_u32_e32 vcc_lo, s3, v7
	v_dual_cndmask_b32 v7, v7, v9 :: v_dual_cndmask_b32 v6, v6, v8
	s_delay_alu instid0(VALU_DEP_1) | instskip(NEXT) | instid1(VALU_DEP_2)
	v_cmp_le_u32_e32 vcc_lo, s3, v7
	v_dual_mov_b32 v7, 0 :: v_dual_add_nc_u32 v8, 1, v6
	s_delay_alu instid0(VALU_DEP_1)
	v_cndmask_b32_e32 v6, v6, v8, vcc_lo
.LBB64_13:
	s_or_b32 exec_lo, exec_lo, s2
	s_load_b256 s[36:43], s[0:1], 0xb0
	v_mul_lo_u32 v5, v5, s34
	v_mul_lo_u32 v10, v4, s35
	v_mad_u64_u32 v[8:9], null, v4, s34, 0
	s_load_b64 s[0:1], s[0:1], 0xd0
	s_delay_alu instid0(VALU_DEP_1) | instskip(NEXT) | instid1(VALU_DEP_2)
	v_add3_u32 v4, v9, v10, v5
	v_sub_co_u32 v11, vcc_lo, v2, v8
	s_delay_alu instid0(VALU_DEP_2)
	v_sub_co_ci_u32_e32 v12, vcc_lo, v3, v4, vcc_lo
	s_waitcnt lgkmcnt(0)
	s_sub_u32 s2, 0, s36
	s_subb_u32 s3, 0, s37
	s_sub_u32 s34, 0, s38
	v_cmp_gt_i64_e64 s50, s[2:3], 0
	s_subb_u32 s35, 0, s39
	v_cmp_gt_i64_e64 s33, s[36:37], 0
	s_sub_u32 s48, 0, s40
	s_subb_u32 s49, 0, s41
	v_cmp_gt_i64_e64 s54, s[34:35], 0
	v_cmp_gt_i64_e64 s52, s[38:39], 0
	;; [unrolled: 1-line block ×4, first 2 shown]
	s_and_b32 s50, s50, exec_lo
	s_cselect_b32 s56, s3, 0
	s_cselect_b32 s57, s2, 0
	s_and_b32 s2, s33, exec_lo
	s_cselect_b32 s51, s37, 0
	s_cselect_b32 s50, s36, 0
	;; [unrolled: 3-line block ×5, first 2 shown]
	s_and_b32 s2, s53, exec_lo
	v_sub_co_u32 v2, vcc_lo, v11, s36
	s_cselect_b32 s3, s41, 0
	s_cselect_b32 s2, s40, 0
	s_add_u32 s48, s20, s36
	v_subrev_co_ci_u32_e32 v3, vcc_lo, s37, v12, vcc_lo
	s_addc_u32 s49, s21, s37
	v_sub_co_u32 v4, vcc_lo, v11, s48
	v_subrev_co_ci_u32_e32 v5, vcc_lo, s49, v12, vcc_lo
	s_delay_alu instid0(VALU_DEP_3) | instskip(NEXT) | instid1(VALU_DEP_3)
	v_ashrrev_i32_e32 v8, 31, v3
	v_add_co_u32 v4, vcc_lo, v4, 1
	s_delay_alu instid0(VALU_DEP_3) | instskip(NEXT) | instid1(VALU_DEP_3)
	v_add_co_ci_u32_e32 v5, vcc_lo, 0, v5, vcc_lo
	v_xor_b32_e32 v2, v2, v8
	v_xor_b32_e32 v3, v3, v8
	s_lshl_b64 s[36:37], s[36:37], 1
	s_delay_alu instid0(VALU_DEP_3) | instskip(SKIP_3) | instid1(VALU_DEP_3)
	v_ashrrev_i32_e32 v9, 31, v5
	s_not_b64 s[48:49], s[50:51]
	v_sub_co_u32 v2, vcc_lo, v2, v8
	v_sub_co_ci_u32_e32 v3, vcc_lo, v3, v8, vcc_lo
	v_xor_b32_e32 v4, v4, v9
	v_xor_b32_e32 v5, v5, v9
	s_add_u32 s36, s36, s48
	s_addc_u32 s37, s37, s49
	s_add_u32 s36, s36, s57
	v_sub_co_u32 v4, vcc_lo, v4, v9
	v_sub_co_ci_u32_e32 v5, vcc_lo, v5, v9, vcc_lo
	s_addc_u32 s37, s37, s56
	s_delay_alu instid0(VALU_DEP_2) | instskip(NEXT) | instid1(VALU_DEP_2)
	v_add_co_u32 v4, vcc_lo, v11, v4
	v_add_co_ci_u32_e32 v5, vcc_lo, v12, v5, vcc_lo
	v_sub_co_u32 v8, vcc_lo, v0, s38
	s_add_u32 s20, s36, s20
	v_subrev_co_ci_u32_e32 v9, vcc_lo, s39, v1, vcc_lo
	s_addc_u32 s21, s37, s21
	v_sub_co_u32 v4, vcc_lo, s20, v4
	s_add_u32 s20, s18, s38
	v_sub_co_ci_u32_e32 v5, vcc_lo, s21, v5, vcc_lo
	s_addc_u32 s21, s19, s39
	v_sub_co_u32 v13, vcc_lo, v0, s20
	v_subrev_co_ci_u32_e32 v14, vcc_lo, s21, v1, vcc_lo
	v_ashrrev_i32_e32 v10, 31, v9
	s_delay_alu instid0(VALU_DEP_3) | instskip(NEXT) | instid1(VALU_DEP_3)
	v_add_co_u32 v13, vcc_lo, v13, 1
	v_add_co_ci_u32_e32 v14, vcc_lo, 0, v14, vcc_lo
	v_add_co_u32 v15, vcc_lo, v4, v2
	v_add_co_ci_u32_e32 v16, vcc_lo, v5, v3, vcc_lo
	s_delay_alu instid0(VALU_DEP_3)
	v_ashrrev_i32_e32 v3, 31, v14
	v_xor_b32_e32 v8, v8, v10
	v_xor_b32_e32 v2, v9, v10
	s_lshl_b64 s[20:21], s[38:39], 1
	s_not_b64 s[34:35], s[34:35]
	v_xor_b32_e32 v5, v13, v3
	v_sub_co_u32 v4, vcc_lo, v8, v10
	v_xor_b32_e32 v8, v14, v3
	v_sub_co_ci_u32_e32 v2, vcc_lo, v2, v10, vcc_lo
	s_delay_alu instid0(VALU_DEP_4) | instskip(NEXT) | instid1(VALU_DEP_3)
	v_sub_co_u32 v5, vcc_lo, v5, v3
	v_sub_co_ci_u32_e32 v3, vcc_lo, v8, v3, vcc_lo
	s_add_u32 s20, s20, s34
	s_delay_alu instid0(VALU_DEP_2)
	v_add_co_u32 v5, vcc_lo, v0, v5
	s_addc_u32 s21, s21, s35
	s_add_u32 s20, s20, s54
	v_add_co_ci_u32_e32 v3, vcc_lo, v1, v3, vcc_lo
	s_addc_u32 s21, s21, s33
	v_sub_co_u32 v8, vcc_lo, v6, s40
	s_add_u32 s18, s20, s18
	v_subrev_co_ci_u32_e32 v9, vcc_lo, s41, v7, vcc_lo
	s_addc_u32 s19, s21, s19
	v_sub_co_u32 v5, vcc_lo, s18, v5
	s_add_u32 s18, s16, s40
	v_sub_co_ci_u32_e32 v3, vcc_lo, s19, v3, vcc_lo
	s_addc_u32 s19, s17, s41
	v_sub_co_u32 v13, vcc_lo, v6, s18
	v_subrev_co_ci_u32_e32 v14, vcc_lo, s19, v7, vcc_lo
	v_ashrrev_i32_e32 v10, 31, v9
	s_delay_alu instid0(VALU_DEP_3) | instskip(NEXT) | instid1(VALU_DEP_3)
	v_add_co_u32 v13, vcc_lo, v13, 1
	v_add_co_ci_u32_e32 v14, vcc_lo, 0, v14, vcc_lo
	v_add_co_u32 v17, vcc_lo, v5, v4
	s_delay_alu instid0(VALU_DEP_4) | instskip(SKIP_1) | instid1(VALU_DEP_4)
	v_xor_b32_e32 v8, v8, v10
	v_add_co_ci_u32_e32 v4, vcc_lo, v3, v2, vcc_lo
	v_ashrrev_i32_e32 v3, 31, v14
	v_xor_b32_e32 v2, v9, v10
	s_delay_alu instid0(VALU_DEP_4) | instskip(SKIP_1) | instid1(VALU_DEP_3)
	v_sub_co_u32 v5, vcc_lo, v8, v10
	s_lshl_b64 s[18:19], s[40:41], 1
	v_xor_b32_e32 v8, v13, v3
	v_xor_b32_e32 v9, v14, v3
	v_sub_co_ci_u32_e32 v2, vcc_lo, v2, v10, vcc_lo
	s_not_b64 s[2:3], s[2:3]
	s_delay_alu instid0(VALU_DEP_3) | instskip(NEXT) | instid1(VALU_DEP_3)
	v_sub_co_u32 v8, vcc_lo, v8, v3
	v_sub_co_ci_u32_e32 v3, vcc_lo, v9, v3, vcc_lo
	s_add_u32 s2, s18, s2
	s_addc_u32 s3, s19, s3
	s_delay_alu instid0(VALU_DEP_2)
	v_add_co_u32 v8, vcc_lo, v6, v8
	s_add_u32 s2, s2, s55
	s_addc_u32 s3, s3, s52
	v_add_co_ci_u32_e32 v3, vcc_lo, v7, v3, vcc_lo
	s_add_u32 s2, s2, s16
	s_addc_u32 s3, s3, s17
	v_sub_co_u32 v8, vcc_lo, s2, v8
	s_delay_alu instid0(VALU_DEP_2) | instskip(SKIP_1) | instid1(VALU_DEP_2)
	v_sub_co_ci_u32_e32 v3, vcc_lo, s3, v3, vcc_lo
	s_add_u32 s14, s14, s42
	v_add_co_u32 v5, vcc_lo, v8, v5
	s_delay_alu instid0(VALU_DEP_2)
	v_add_co_ci_u32_e32 v2, vcc_lo, v3, v2, vcc_lo
	s_addc_u32 s16, 0, s43
	s_add_u32 s15, s15, s0
	s_addc_u32 s17, 0, s1
	s_mul_hi_u32 s1, s22, s15
	s_mul_i32 s0, s22, s17
	v_mul_lo_u32 v8, v2, s26
	v_mul_lo_u32 v9, v5, s27
	v_mad_u64_u32 v[2:3], null, v5, s26, 0
	s_add_i32 s0, s1, s0
	s_mul_i32 s1, s23, s15
	v_mul_lo_u32 v10, v4, s28
	s_add_i32 s1, s0, s1
	s_mul_i32 s0, s22, s15
	v_mul_lo_u32 v13, v17, s29
	v_mad_u64_u32 v[4:5], null, v17, s28, 0
	s_lshl_b64 s[0:1], s[0:1], 4
	v_add3_u32 v3, v3, v9, v8
	s_add_u32 s2, s46, s0
	s_addc_u32 s3, s47, s1
	s_mul_i32 s0, s24, s16
	s_mul_hi_u32 s1, s24, s14
	v_mul_lo_u32 v14, v16, s30
	v_mul_lo_u32 v16, v15, s31
	v_mad_u64_u32 v[8:9], null, v15, s30, 0
	s_add_i32 s0, s1, s0
	s_mul_i32 s1, s25, s14
	v_add3_u32 v5, v5, v13, v10
	s_add_i32 s1, s0, s1
	s_mul_i32 s0, s24, s14
	v_lshlrev_b64 v[2:3], 4, v[2:3]
	s_lshl_b64 s[0:1], s[0:1], 4
	v_lshlrev_b64 v[4:5], 4, v[4:5]
	s_add_u32 s0, s2, s0
	v_add3_u32 v9, v9, v16, v14
	s_addc_u32 s1, s3, s1
	v_add_co_u32 v10, vcc_lo, s0, v2
	v_add_co_ci_u32_e32 v13, vcc_lo, s1, v3, vcc_lo
	s_delay_alu instid0(VALU_DEP_3) | instskip(NEXT) | instid1(VALU_DEP_3)
	v_lshlrev_b64 v[2:3], 4, v[8:9]
	v_add_co_u32 v4, vcc_lo, v10, v4
	s_delay_alu instid0(VALU_DEP_3) | instskip(SKIP_1) | instid1(VALU_DEP_2)
	v_add_co_ci_u32_e32 v5, vcc_lo, v13, v5, vcc_lo
	s_mul_i32 s0, s4, s17
	v_add_co_u32 v2, vcc_lo, v4, v2
	s_delay_alu instid0(VALU_DEP_2)
	v_add_co_ci_u32_e32 v3, vcc_lo, v5, v3, vcc_lo
	s_mul_hi_u32 s1, s4, s15
	v_mul_lo_u32 v13, v7, s8
	v_mul_lo_u32 v14, v6, s9
	global_load_b128 v[2:5], v[2:3], off
	v_mad_u64_u32 v[7:8], null, v6, s8, 0
	s_add_i32 s0, s1, s0
	s_mul_i32 s1, s5, s15
	v_mul_lo_u32 v6, v1, s10
	s_add_i32 s1, s0, s1
	s_mul_i32 s0, s4, s15
	v_mul_lo_u32 v15, v0, s11
	v_mad_u64_u32 v[9:10], null, v0, s10, 0
	s_lshl_b64 s[0:1], s[0:1], 4
	v_add3_u32 v8, v8, v14, v13
	s_add_u32 s2, s44, s0
	s_addc_u32 s3, s45, s1
	s_mul_i32 s0, s6, s16
	s_mul_hi_u32 s1, s6, s14
	v_mul_lo_u32 v12, v12, s12
	v_mul_lo_u32 v13, v11, s13
	v_mad_u64_u32 v[0:1], null, v11, s12, 0
	s_add_i32 s0, s1, s0
	s_mul_i32 s1, s7, s14
	v_add3_u32 v10, v10, v15, v6
	s_add_i32 s1, s0, s1
	s_mul_i32 s0, s6, s14
	v_lshlrev_b64 v[6:7], 4, v[7:8]
	s_lshl_b64 s[0:1], s[0:1], 4
	v_lshlrev_b64 v[8:9], 4, v[9:10]
	s_add_u32 s0, s2, s0
	v_add3_u32 v1, v1, v13, v12
	s_addc_u32 s1, s3, s1
	v_add_co_u32 v6, vcc_lo, s0, v6
	v_add_co_ci_u32_e32 v7, vcc_lo, s1, v7, vcc_lo
	s_delay_alu instid0(VALU_DEP_3) | instskip(NEXT) | instid1(VALU_DEP_3)
	v_lshlrev_b64 v[0:1], 4, v[0:1]
	v_add_co_u32 v6, vcc_lo, v6, v8
	s_delay_alu instid0(VALU_DEP_3) | instskip(NEXT) | instid1(VALU_DEP_2)
	v_add_co_ci_u32_e32 v7, vcc_lo, v7, v9, vcc_lo
	v_add_co_u32 v0, vcc_lo, v6, v0
	s_delay_alu instid0(VALU_DEP_2)
	v_add_co_ci_u32_e32 v1, vcc_lo, v7, v1, vcc_lo
	s_waitcnt vmcnt(0)
	global_store_b128 v[0:1], v[2:5], off
.LBB64_14:
	s_nop 0
	s_sendmsg sendmsg(MSG_DEALLOC_VGPRS)
	s_endpgm
	.section	.rodata,"a",@progbits
	.p2align	6, 0x0
	.amdhsa_kernel _ZN2at6native12_GLOBAL__N_127reflection_pad3d_out_kernelIN3c107complexIdEEEEvN5torch10headeronly6detail27GenericPackedTensorAccessorINS8_14TensorAccessorINS3_8ArrayRefIlEEKT_Lm4ENS7_16DefaultPtrTraitsElEENS_6detail16IndexBoundsCheckILm5ElEESE_Lm5ESF_lEENS9_INSA_ISC_SD_Lm4ESF_lEESJ_SD_Lm5ESF_lEElllll
		.amdhsa_group_segment_fixed_size 0
		.amdhsa_private_segment_fixed_size 0
		.amdhsa_kernarg_size 472
		.amdhsa_user_sgpr_count 13
		.amdhsa_user_sgpr_dispatch_ptr 0
		.amdhsa_user_sgpr_queue_ptr 0
		.amdhsa_user_sgpr_kernarg_segment_ptr 1
		.amdhsa_user_sgpr_dispatch_id 0
		.amdhsa_user_sgpr_private_segment_size 0
		.amdhsa_wavefront_size32 1
		.amdhsa_uses_dynamic_stack 0
		.amdhsa_enable_private_segment 0
		.amdhsa_system_sgpr_workgroup_id_x 1
		.amdhsa_system_sgpr_workgroup_id_y 1
		.amdhsa_system_sgpr_workgroup_id_z 1
		.amdhsa_system_sgpr_workgroup_info 0
		.amdhsa_system_vgpr_workitem_id 0
		.amdhsa_next_free_vgpr 18
		.amdhsa_next_free_sgpr 58
		.amdhsa_reserve_vcc 1
		.amdhsa_float_round_mode_32 0
		.amdhsa_float_round_mode_16_64 0
		.amdhsa_float_denorm_mode_32 3
		.amdhsa_float_denorm_mode_16_64 3
		.amdhsa_dx10_clamp 1
		.amdhsa_ieee_mode 1
		.amdhsa_fp16_overflow 0
		.amdhsa_workgroup_processor_mode 1
		.amdhsa_memory_ordered 1
		.amdhsa_forward_progress 0
		.amdhsa_shared_vgpr_count 0
		.amdhsa_exception_fp_ieee_invalid_op 0
		.amdhsa_exception_fp_denorm_src 0
		.amdhsa_exception_fp_ieee_div_zero 0
		.amdhsa_exception_fp_ieee_overflow 0
		.amdhsa_exception_fp_ieee_underflow 0
		.amdhsa_exception_fp_ieee_inexact 0
		.amdhsa_exception_int_div_zero 0
	.end_amdhsa_kernel
	.section	.text._ZN2at6native12_GLOBAL__N_127reflection_pad3d_out_kernelIN3c107complexIdEEEEvN5torch10headeronly6detail27GenericPackedTensorAccessorINS8_14TensorAccessorINS3_8ArrayRefIlEEKT_Lm4ENS7_16DefaultPtrTraitsElEENS_6detail16IndexBoundsCheckILm5ElEESE_Lm5ESF_lEENS9_INSA_ISC_SD_Lm4ESF_lEESJ_SD_Lm5ESF_lEElllll,"axG",@progbits,_ZN2at6native12_GLOBAL__N_127reflection_pad3d_out_kernelIN3c107complexIdEEEEvN5torch10headeronly6detail27GenericPackedTensorAccessorINS8_14TensorAccessorINS3_8ArrayRefIlEEKT_Lm4ENS7_16DefaultPtrTraitsElEENS_6detail16IndexBoundsCheckILm5ElEESE_Lm5ESF_lEENS9_INSA_ISC_SD_Lm4ESF_lEESJ_SD_Lm5ESF_lEElllll,comdat
.Lfunc_end64:
	.size	_ZN2at6native12_GLOBAL__N_127reflection_pad3d_out_kernelIN3c107complexIdEEEEvN5torch10headeronly6detail27GenericPackedTensorAccessorINS8_14TensorAccessorINS3_8ArrayRefIlEEKT_Lm4ENS7_16DefaultPtrTraitsElEENS_6detail16IndexBoundsCheckILm5ElEESE_Lm5ESF_lEENS9_INSA_ISC_SD_Lm4ESF_lEESJ_SD_Lm5ESF_lEElllll, .Lfunc_end64-_ZN2at6native12_GLOBAL__N_127reflection_pad3d_out_kernelIN3c107complexIdEEEEvN5torch10headeronly6detail27GenericPackedTensorAccessorINS8_14TensorAccessorINS3_8ArrayRefIlEEKT_Lm4ENS7_16DefaultPtrTraitsElEENS_6detail16IndexBoundsCheckILm5ElEESE_Lm5ESF_lEENS9_INSA_ISC_SD_Lm4ESF_lEESJ_SD_Lm5ESF_lEElllll
                                        ; -- End function
	.section	.AMDGPU.csdata,"",@progbits
; Kernel info:
; codeLenInByte = 4444
; NumSgprs: 60
; NumVgprs: 18
; ScratchSize: 0
; MemoryBound: 0
; FloatMode: 240
; IeeeMode: 1
; LDSByteSize: 0 bytes/workgroup (compile time only)
; SGPRBlocks: 7
; VGPRBlocks: 2
; NumSGPRsForWavesPerEU: 60
; NumVGPRsForWavesPerEU: 18
; Occupancy: 16
; WaveLimiterHint : 0
; COMPUTE_PGM_RSRC2:SCRATCH_EN: 0
; COMPUTE_PGM_RSRC2:USER_SGPR: 13
; COMPUTE_PGM_RSRC2:TRAP_HANDLER: 0
; COMPUTE_PGM_RSRC2:TGID_X_EN: 1
; COMPUTE_PGM_RSRC2:TGID_Y_EN: 1
; COMPUTE_PGM_RSRC2:TGID_Z_EN: 1
; COMPUTE_PGM_RSRC2:TIDIG_COMP_CNT: 0
	.section	.text._ZN2at6native12_GLOBAL__N_127reflection_pad3d_out_kernelIN3c107complexIfEEEEvN5torch10headeronly6detail27GenericPackedTensorAccessorINS8_14TensorAccessorINS3_8ArrayRefIlEEKT_Lm4ENS7_16DefaultPtrTraitsElEENS_6detail16IndexBoundsCheckILm5ElEESE_Lm5ESF_lEENS9_INSA_ISC_SD_Lm4ESF_lEESJ_SD_Lm5ESF_lEElllll,"axG",@progbits,_ZN2at6native12_GLOBAL__N_127reflection_pad3d_out_kernelIN3c107complexIfEEEEvN5torch10headeronly6detail27GenericPackedTensorAccessorINS8_14TensorAccessorINS3_8ArrayRefIlEEKT_Lm4ENS7_16DefaultPtrTraitsElEENS_6detail16IndexBoundsCheckILm5ElEESE_Lm5ESF_lEENS9_INSA_ISC_SD_Lm4ESF_lEESJ_SD_Lm5ESF_lEElllll,comdat
	.globl	_ZN2at6native12_GLOBAL__N_127reflection_pad3d_out_kernelIN3c107complexIfEEEEvN5torch10headeronly6detail27GenericPackedTensorAccessorINS8_14TensorAccessorINS3_8ArrayRefIlEEKT_Lm4ENS7_16DefaultPtrTraitsElEENS_6detail16IndexBoundsCheckILm5ElEESE_Lm5ESF_lEENS9_INSA_ISC_SD_Lm4ESF_lEESJ_SD_Lm5ESF_lEElllll ; -- Begin function _ZN2at6native12_GLOBAL__N_127reflection_pad3d_out_kernelIN3c107complexIfEEEEvN5torch10headeronly6detail27GenericPackedTensorAccessorINS8_14TensorAccessorINS3_8ArrayRefIlEEKT_Lm4ENS7_16DefaultPtrTraitsElEENS_6detail16IndexBoundsCheckILm5ElEESE_Lm5ESF_lEENS9_INSA_ISC_SD_Lm4ESF_lEESJ_SD_Lm5ESF_lEElllll
	.p2align	8
	.type	_ZN2at6native12_GLOBAL__N_127reflection_pad3d_out_kernelIN3c107complexIfEEEEvN5torch10headeronly6detail27GenericPackedTensorAccessorINS8_14TensorAccessorINS3_8ArrayRefIlEEKT_Lm4ENS7_16DefaultPtrTraitsElEENS_6detail16IndexBoundsCheckILm5ElEESE_Lm5ESF_lEENS9_INSA_ISC_SD_Lm4ESF_lEESJ_SD_Lm5ESF_lEElllll,@function
_ZN2at6native12_GLOBAL__N_127reflection_pad3d_out_kernelIN3c107complexIfEEEEvN5torch10headeronly6detail27GenericPackedTensorAccessorINS8_14TensorAccessorINS3_8ArrayRefIlEEKT_Lm4ENS7_16DefaultPtrTraitsElEENS_6detail16IndexBoundsCheckILm5ElEESE_Lm5ESF_lEENS9_INSA_ISC_SD_Lm4ESF_lEESJ_SD_Lm5ESF_lEElllll: ; @_ZN2at6native12_GLOBAL__N_127reflection_pad3d_out_kernelIN3c107complexIfEEEEvN5torch10headeronly6detail27GenericPackedTensorAccessorINS8_14TensorAccessorINS3_8ArrayRefIlEEKT_Lm4ENS7_16DefaultPtrTraitsElEENS_6detail16IndexBoundsCheckILm5ElEESE_Lm5ESF_lEENS9_INSA_ISC_SD_Lm4ESF_lEESJ_SD_Lm5ESF_lEElllll
; %bb.0:
	s_clause 0x2
	s_load_b32 s2, s[0:1], 0xe4
	s_load_b128 s[16:19], s[0:1], 0x70
	s_load_b64 s[34:35], s[0:1], 0x80
	v_mov_b32_e32 v4, 0
	s_delay_alu instid0(VALU_DEP_1)
	v_mov_b32_e32 v1, v4
	s_waitcnt lgkmcnt(0)
	s_and_b32 s2, s2, 0xffff
	s_mul_i32 s4, s34, s19
	s_mul_hi_u32 s5, s34, s18
	s_mul_i32 s6, s35, s18
	s_mul_i32 s3, s34, s18
	v_mad_u64_u32 v[2:3], null, s2, s13, v[0:1]
	s_add_i32 s20, s5, s4
	s_mul_i32 s2, s3, s17
	s_mul_hi_u32 s4, s3, s16
	s_add_i32 s20, s20, s6
	s_add_i32 s2, s4, s2
	s_mul_i32 s4, s20, s16
	s_delay_alu instid0(SALU_CYCLE_1)
	s_add_i32 s5, s2, s4
	s_mul_i32 s4, s3, s16
	s_mov_b32 s2, exec_lo
	v_cmpx_gt_i64_e64 s[4:5], v[2:3]
	s_cbranch_execz .LBB65_14
; %bb.1:
	v_or_b32_e32 v5, s35, v3
	s_delay_alu instid0(VALU_DEP_1) | instskip(SKIP_1) | instid1(SALU_CYCLE_1)
	v_cmp_ne_u64_e32 vcc_lo, 0, v[4:5]
                                        ; implicit-def: $vgpr4_vgpr5
	s_and_saveexec_b32 s2, vcc_lo
	s_xor_b32 s8, exec_lo, s2
	s_cbranch_execz .LBB65_3
; %bb.2:
	s_ashr_i32 s4, s35, 31
	s_delay_alu instid0(SALU_CYCLE_1) | instskip(SKIP_2) | instid1(SALU_CYCLE_1)
	s_add_u32 s6, s34, s4
	s_mov_b32 s5, s4
	s_addc_u32 s7, s35, s4
	s_xor_b64 s[6:7], s[6:7], s[4:5]
	s_delay_alu instid0(SALU_CYCLE_1) | instskip(SKIP_3) | instid1(VALU_DEP_1)
	v_cvt_f32_u32_e32 v0, s6
	v_cvt_f32_u32_e32 v1, s7
	s_sub_u32 s2, 0, s6
	s_subb_u32 s5, 0, s7
	v_fmamk_f32 v0, v1, 0x4f800000, v0
	s_delay_alu instid0(VALU_DEP_1) | instskip(SKIP_2) | instid1(VALU_DEP_1)
	v_rcp_f32_e32 v0, v0
	s_waitcnt_depctr 0xfff
	v_mul_f32_e32 v0, 0x5f7ffffc, v0
	v_mul_f32_e32 v1, 0x2f800000, v0
	s_delay_alu instid0(VALU_DEP_1) | instskip(NEXT) | instid1(VALU_DEP_1)
	v_trunc_f32_e32 v1, v1
	v_fmamk_f32 v0, v1, 0xcf800000, v0
	v_cvt_u32_f32_e32 v1, v1
	s_delay_alu instid0(VALU_DEP_2) | instskip(NEXT) | instid1(VALU_DEP_2)
	v_cvt_u32_f32_e32 v0, v0
	v_mul_lo_u32 v4, s2, v1
	s_delay_alu instid0(VALU_DEP_2) | instskip(SKIP_1) | instid1(VALU_DEP_2)
	v_mul_hi_u32 v5, s2, v0
	v_mul_lo_u32 v6, s5, v0
	v_add_nc_u32_e32 v4, v5, v4
	v_mul_lo_u32 v5, s2, v0
	s_delay_alu instid0(VALU_DEP_2) | instskip(NEXT) | instid1(VALU_DEP_2)
	v_add_nc_u32_e32 v4, v4, v6
	v_mul_hi_u32 v6, v0, v5
	s_delay_alu instid0(VALU_DEP_2)
	v_mul_lo_u32 v7, v0, v4
	v_mul_hi_u32 v8, v0, v4
	v_mul_hi_u32 v9, v1, v5
	v_mul_lo_u32 v5, v1, v5
	v_mul_hi_u32 v10, v1, v4
	v_mul_lo_u32 v4, v1, v4
	v_add_co_u32 v6, vcc_lo, v6, v7
	v_add_co_ci_u32_e32 v7, vcc_lo, 0, v8, vcc_lo
	s_delay_alu instid0(VALU_DEP_2) | instskip(NEXT) | instid1(VALU_DEP_2)
	v_add_co_u32 v5, vcc_lo, v6, v5
	v_add_co_ci_u32_e32 v5, vcc_lo, v7, v9, vcc_lo
	v_add_co_ci_u32_e32 v6, vcc_lo, 0, v10, vcc_lo
	v_ashrrev_i32_e32 v9, 31, v3
	s_delay_alu instid0(VALU_DEP_3) | instskip(NEXT) | instid1(VALU_DEP_3)
	v_add_co_u32 v4, vcc_lo, v5, v4
	v_add_co_ci_u32_e32 v5, vcc_lo, 0, v6, vcc_lo
	s_delay_alu instid0(VALU_DEP_2) | instskip(NEXT) | instid1(VALU_DEP_2)
	v_add_co_u32 v0, vcc_lo, v0, v4
	v_add_co_ci_u32_e32 v1, vcc_lo, v1, v5, vcc_lo
	s_delay_alu instid0(VALU_DEP_2) | instskip(SKIP_1) | instid1(VALU_DEP_3)
	v_mul_hi_u32 v4, s2, v0
	v_mul_lo_u32 v6, s5, v0
	v_mul_lo_u32 v5, s2, v1
	s_delay_alu instid0(VALU_DEP_1) | instskip(SKIP_1) | instid1(VALU_DEP_2)
	v_add_nc_u32_e32 v4, v4, v5
	v_mul_lo_u32 v5, s2, v0
	v_add_nc_u32_e32 v4, v4, v6
	s_delay_alu instid0(VALU_DEP_2) | instskip(NEXT) | instid1(VALU_DEP_2)
	v_mul_hi_u32 v6, v0, v5
	v_mul_lo_u32 v7, v0, v4
	v_mul_hi_u32 v8, v0, v4
	v_mul_hi_u32 v10, v1, v5
	v_mul_lo_u32 v5, v1, v5
	v_mul_hi_u32 v11, v1, v4
	v_mul_lo_u32 v4, v1, v4
	v_add_co_u32 v6, vcc_lo, v6, v7
	v_add_co_ci_u32_e32 v7, vcc_lo, 0, v8, vcc_lo
	s_delay_alu instid0(VALU_DEP_2) | instskip(NEXT) | instid1(VALU_DEP_2)
	v_add_co_u32 v5, vcc_lo, v6, v5
	v_add_co_ci_u32_e32 v5, vcc_lo, v7, v10, vcc_lo
	v_add_co_ci_u32_e32 v6, vcc_lo, 0, v11, vcc_lo
	v_add_co_u32 v7, vcc_lo, v2, v9
	v_add_co_ci_u32_e32 v8, vcc_lo, v3, v9, vcc_lo
	s_delay_alu instid0(VALU_DEP_4) | instskip(NEXT) | instid1(VALU_DEP_4)
	v_add_co_u32 v4, vcc_lo, v5, v4
	v_add_co_ci_u32_e32 v5, vcc_lo, 0, v6, vcc_lo
	s_delay_alu instid0(VALU_DEP_4) | instskip(NEXT) | instid1(VALU_DEP_3)
	v_xor_b32_e32 v10, v7, v9
	v_add_co_u32 v6, vcc_lo, v0, v4
	s_delay_alu instid0(VALU_DEP_3) | instskip(SKIP_1) | instid1(VALU_DEP_3)
	v_add_co_ci_u32_e32 v11, vcc_lo, v1, v5, vcc_lo
	v_xor_b32_e32 v8, v8, v9
	v_mul_hi_u32 v12, v10, v6
	s_delay_alu instid0(VALU_DEP_3) | instskip(NEXT) | instid1(VALU_DEP_3)
	v_mad_u64_u32 v[0:1], null, v10, v11, 0
	v_mad_u64_u32 v[4:5], null, v8, v6, 0
	;; [unrolled: 1-line block ×3, first 2 shown]
	s_delay_alu instid0(VALU_DEP_3) | instskip(NEXT) | instid1(VALU_DEP_4)
	v_add_co_u32 v0, vcc_lo, v12, v0
	v_add_co_ci_u32_e32 v1, vcc_lo, 0, v1, vcc_lo
	s_delay_alu instid0(VALU_DEP_2) | instskip(NEXT) | instid1(VALU_DEP_2)
	v_add_co_u32 v0, vcc_lo, v0, v4
	v_add_co_ci_u32_e32 v0, vcc_lo, v1, v5, vcc_lo
	v_add_co_ci_u32_e32 v1, vcc_lo, 0, v7, vcc_lo
	s_delay_alu instid0(VALU_DEP_2) | instskip(NEXT) | instid1(VALU_DEP_2)
	v_add_co_u32 v4, vcc_lo, v0, v6
	v_add_co_ci_u32_e32 v5, vcc_lo, 0, v1, vcc_lo
	s_delay_alu instid0(VALU_DEP_2) | instskip(SKIP_1) | instid1(VALU_DEP_3)
	v_mul_lo_u32 v6, s7, v4
	v_mad_u64_u32 v[0:1], null, s6, v4, 0
	v_mul_lo_u32 v7, s6, v5
	s_delay_alu instid0(VALU_DEP_2) | instskip(NEXT) | instid1(VALU_DEP_2)
	v_sub_co_u32 v0, vcc_lo, v10, v0
	v_add3_u32 v1, v1, v7, v6
	s_delay_alu instid0(VALU_DEP_1) | instskip(NEXT) | instid1(VALU_DEP_1)
	v_sub_nc_u32_e32 v6, v8, v1
	v_subrev_co_ci_u32_e64 v6, s2, s7, v6, vcc_lo
	v_add_co_u32 v7, s2, v4, 2
	s_delay_alu instid0(VALU_DEP_1) | instskip(SKIP_3) | instid1(VALU_DEP_3)
	v_add_co_ci_u32_e64 v10, s2, 0, v5, s2
	v_sub_co_u32 v11, s2, v0, s6
	v_sub_co_ci_u32_e32 v1, vcc_lo, v8, v1, vcc_lo
	v_subrev_co_ci_u32_e64 v6, s2, 0, v6, s2
	v_cmp_le_u32_e32 vcc_lo, s6, v11
	s_delay_alu instid0(VALU_DEP_3) | instskip(SKIP_1) | instid1(VALU_DEP_4)
	v_cmp_eq_u32_e64 s2, s7, v1
	v_cndmask_b32_e64 v8, 0, -1, vcc_lo
	v_cmp_le_u32_e32 vcc_lo, s7, v6
	v_cndmask_b32_e64 v11, 0, -1, vcc_lo
	v_cmp_le_u32_e32 vcc_lo, s6, v0
	;; [unrolled: 2-line block ×3, first 2 shown]
	v_cndmask_b32_e64 v12, 0, -1, vcc_lo
	v_cmp_eq_u32_e32 vcc_lo, s7, v6
	s_delay_alu instid0(VALU_DEP_2) | instskip(SKIP_3) | instid1(VALU_DEP_3)
	v_cndmask_b32_e64 v0, v12, v0, s2
	v_cndmask_b32_e32 v6, v11, v8, vcc_lo
	v_add_co_u32 v8, vcc_lo, v4, 1
	v_add_co_ci_u32_e32 v11, vcc_lo, 0, v5, vcc_lo
	v_cmp_ne_u32_e32 vcc_lo, 0, v6
	s_delay_alu instid0(VALU_DEP_2) | instskip(SKIP_2) | instid1(VALU_DEP_3)
	v_dual_cndmask_b32 v1, v11, v10 :: v_dual_cndmask_b32 v6, v8, v7
	v_cmp_ne_u32_e32 vcc_lo, 0, v0
	v_xor_b32_e32 v0, s4, v9
	v_dual_cndmask_b32 v4, v4, v6 :: v_dual_cndmask_b32 v1, v5, v1
	s_delay_alu instid0(VALU_DEP_1) | instskip(NEXT) | instid1(VALU_DEP_2)
	v_xor_b32_e32 v4, v4, v0
	v_xor_b32_e32 v1, v1, v0
	s_delay_alu instid0(VALU_DEP_2) | instskip(NEXT) | instid1(VALU_DEP_2)
	v_sub_co_u32 v4, vcc_lo, v4, v0
	v_sub_co_ci_u32_e32 v5, vcc_lo, v1, v0, vcc_lo
.LBB65_3:
	s_and_not1_saveexec_b32 s2, s8
	s_cbranch_execz .LBB65_5
; %bb.4:
	v_cvt_f32_u32_e32 v0, s34
	s_sub_i32 s4, 0, s34
	s_delay_alu instid0(VALU_DEP_1) | instskip(SKIP_2) | instid1(VALU_DEP_1)
	v_rcp_iflag_f32_e32 v0, v0
	s_waitcnt_depctr 0xfff
	v_mul_f32_e32 v0, 0x4f7ffffe, v0
	v_cvt_u32_f32_e32 v0, v0
	s_delay_alu instid0(VALU_DEP_1) | instskip(NEXT) | instid1(VALU_DEP_1)
	v_mul_lo_u32 v1, s4, v0
	v_mul_hi_u32 v1, v0, v1
	s_delay_alu instid0(VALU_DEP_1) | instskip(NEXT) | instid1(VALU_DEP_1)
	v_add_nc_u32_e32 v0, v0, v1
	v_mul_hi_u32 v0, v2, v0
	s_delay_alu instid0(VALU_DEP_1) | instskip(SKIP_1) | instid1(VALU_DEP_2)
	v_mul_lo_u32 v1, v0, s34
	v_add_nc_u32_e32 v4, 1, v0
	v_sub_nc_u32_e32 v1, v2, v1
	s_delay_alu instid0(VALU_DEP_1) | instskip(SKIP_1) | instid1(VALU_DEP_2)
	v_subrev_nc_u32_e32 v5, s34, v1
	v_cmp_le_u32_e32 vcc_lo, s34, v1
	v_cndmask_b32_e32 v1, v1, v5, vcc_lo
	v_dual_mov_b32 v5, 0 :: v_dual_cndmask_b32 v0, v0, v4
	s_delay_alu instid0(VALU_DEP_2) | instskip(NEXT) | instid1(VALU_DEP_2)
	v_cmp_le_u32_e32 vcc_lo, s34, v1
	v_add_nc_u32_e32 v4, 1, v0
	s_delay_alu instid0(VALU_DEP_1)
	v_cndmask_b32_e32 v4, v0, v4, vcc_lo
.LBB65_5:
	s_or_b32 exec_lo, exec_lo, s2
	s_delay_alu instid0(VALU_DEP_1) | instskip(SKIP_1) | instid1(VALU_DEP_1)
	v_or_b32_e32 v1, s19, v5
	v_mov_b32_e32 v0, 0
	v_cmp_ne_u64_e32 vcc_lo, 0, v[0:1]
                                        ; implicit-def: $vgpr0_vgpr1
	s_and_saveexec_b32 s2, vcc_lo
	s_delay_alu instid0(SALU_CYCLE_1)
	s_xor_b32 s6, exec_lo, s2
	s_cbranch_execz .LBB65_7
; %bb.6:
	s_ashr_i32 s4, s19, 31
	s_delay_alu instid0(SALU_CYCLE_1) | instskip(SKIP_2) | instid1(SALU_CYCLE_1)
	s_add_u32 s8, s18, s4
	s_mov_b32 s5, s4
	s_addc_u32 s9, s19, s4
	s_xor_b64 s[4:5], s[8:9], s[4:5]
	s_delay_alu instid0(SALU_CYCLE_1) | instskip(SKIP_3) | instid1(VALU_DEP_1)
	v_cvt_f32_u32_e32 v0, s4
	v_cvt_f32_u32_e32 v1, s5
	s_sub_u32 s2, 0, s4
	s_subb_u32 s7, 0, s5
	v_fmamk_f32 v0, v1, 0x4f800000, v0
	s_delay_alu instid0(VALU_DEP_1) | instskip(SKIP_2) | instid1(VALU_DEP_1)
	v_rcp_f32_e32 v0, v0
	s_waitcnt_depctr 0xfff
	v_mul_f32_e32 v0, 0x5f7ffffc, v0
	v_mul_f32_e32 v1, 0x2f800000, v0
	s_delay_alu instid0(VALU_DEP_1) | instskip(NEXT) | instid1(VALU_DEP_1)
	v_trunc_f32_e32 v1, v1
	v_fmamk_f32 v0, v1, 0xcf800000, v0
	v_cvt_u32_f32_e32 v1, v1
	s_delay_alu instid0(VALU_DEP_2) | instskip(NEXT) | instid1(VALU_DEP_2)
	v_cvt_u32_f32_e32 v0, v0
	v_mul_lo_u32 v6, s2, v1
	s_delay_alu instid0(VALU_DEP_2) | instskip(SKIP_1) | instid1(VALU_DEP_2)
	v_mul_hi_u32 v7, s2, v0
	v_mul_lo_u32 v8, s7, v0
	v_add_nc_u32_e32 v6, v7, v6
	v_mul_lo_u32 v7, s2, v0
	s_delay_alu instid0(VALU_DEP_2) | instskip(NEXT) | instid1(VALU_DEP_2)
	v_add_nc_u32_e32 v6, v6, v8
	v_mul_hi_u32 v8, v0, v7
	s_delay_alu instid0(VALU_DEP_2)
	v_mul_lo_u32 v9, v0, v6
	v_mul_hi_u32 v10, v0, v6
	v_mul_hi_u32 v11, v1, v7
	v_mul_lo_u32 v7, v1, v7
	v_mul_hi_u32 v12, v1, v6
	v_mul_lo_u32 v6, v1, v6
	v_add_co_u32 v8, vcc_lo, v8, v9
	v_add_co_ci_u32_e32 v9, vcc_lo, 0, v10, vcc_lo
	s_delay_alu instid0(VALU_DEP_2) | instskip(NEXT) | instid1(VALU_DEP_2)
	v_add_co_u32 v7, vcc_lo, v8, v7
	v_add_co_ci_u32_e32 v7, vcc_lo, v9, v11, vcc_lo
	v_add_co_ci_u32_e32 v8, vcc_lo, 0, v12, vcc_lo
	v_ashrrev_i32_e32 v11, 31, v5
	s_delay_alu instid0(VALU_DEP_3) | instskip(NEXT) | instid1(VALU_DEP_3)
	v_add_co_u32 v6, vcc_lo, v7, v6
	v_add_co_ci_u32_e32 v7, vcc_lo, 0, v8, vcc_lo
	s_delay_alu instid0(VALU_DEP_2) | instskip(NEXT) | instid1(VALU_DEP_2)
	v_add_co_u32 v0, vcc_lo, v0, v6
	v_add_co_ci_u32_e32 v1, vcc_lo, v1, v7, vcc_lo
	s_delay_alu instid0(VALU_DEP_2) | instskip(SKIP_1) | instid1(VALU_DEP_3)
	v_mul_hi_u32 v6, s2, v0
	v_mul_lo_u32 v8, s7, v0
	v_mul_lo_u32 v7, s2, v1
	s_delay_alu instid0(VALU_DEP_1) | instskip(SKIP_1) | instid1(VALU_DEP_2)
	v_add_nc_u32_e32 v6, v6, v7
	v_mul_lo_u32 v7, s2, v0
	v_add_nc_u32_e32 v6, v6, v8
	s_delay_alu instid0(VALU_DEP_2) | instskip(NEXT) | instid1(VALU_DEP_2)
	v_mul_hi_u32 v8, v0, v7
	v_mul_lo_u32 v9, v0, v6
	v_mul_hi_u32 v10, v0, v6
	v_mul_hi_u32 v12, v1, v7
	v_mul_lo_u32 v7, v1, v7
	v_mul_hi_u32 v13, v1, v6
	v_mul_lo_u32 v6, v1, v6
	v_add_co_u32 v8, vcc_lo, v8, v9
	v_add_co_ci_u32_e32 v9, vcc_lo, 0, v10, vcc_lo
	s_delay_alu instid0(VALU_DEP_2) | instskip(NEXT) | instid1(VALU_DEP_2)
	v_add_co_u32 v7, vcc_lo, v8, v7
	v_add_co_ci_u32_e32 v7, vcc_lo, v9, v12, vcc_lo
	v_add_co_ci_u32_e32 v8, vcc_lo, 0, v13, vcc_lo
	v_add_co_u32 v9, vcc_lo, v4, v11
	v_add_co_ci_u32_e32 v10, vcc_lo, v5, v11, vcc_lo
	s_delay_alu instid0(VALU_DEP_4) | instskip(NEXT) | instid1(VALU_DEP_4)
	v_add_co_u32 v6, vcc_lo, v7, v6
	v_add_co_ci_u32_e32 v7, vcc_lo, 0, v8, vcc_lo
	s_delay_alu instid0(VALU_DEP_4) | instskip(NEXT) | instid1(VALU_DEP_3)
	v_xor_b32_e32 v12, v9, v11
	v_add_co_u32 v8, vcc_lo, v0, v6
	s_delay_alu instid0(VALU_DEP_3) | instskip(SKIP_1) | instid1(VALU_DEP_3)
	v_add_co_ci_u32_e32 v13, vcc_lo, v1, v7, vcc_lo
	v_xor_b32_e32 v10, v10, v11
	v_mul_hi_u32 v14, v12, v8
	s_delay_alu instid0(VALU_DEP_3) | instskip(NEXT) | instid1(VALU_DEP_3)
	v_mad_u64_u32 v[0:1], null, v12, v13, 0
	v_mad_u64_u32 v[6:7], null, v10, v8, 0
	v_mad_u64_u32 v[8:9], null, v10, v13, 0
	s_delay_alu instid0(VALU_DEP_3) | instskip(NEXT) | instid1(VALU_DEP_4)
	v_add_co_u32 v0, vcc_lo, v14, v0
	v_add_co_ci_u32_e32 v1, vcc_lo, 0, v1, vcc_lo
	s_delay_alu instid0(VALU_DEP_2) | instskip(NEXT) | instid1(VALU_DEP_2)
	v_add_co_u32 v0, vcc_lo, v0, v6
	v_add_co_ci_u32_e32 v0, vcc_lo, v1, v7, vcc_lo
	v_add_co_ci_u32_e32 v1, vcc_lo, 0, v9, vcc_lo
	s_delay_alu instid0(VALU_DEP_2) | instskip(NEXT) | instid1(VALU_DEP_2)
	v_add_co_u32 v6, vcc_lo, v0, v8
	v_add_co_ci_u32_e32 v7, vcc_lo, 0, v1, vcc_lo
	s_delay_alu instid0(VALU_DEP_2) | instskip(SKIP_1) | instid1(VALU_DEP_3)
	v_mul_lo_u32 v8, s5, v6
	v_mad_u64_u32 v[0:1], null, s4, v6, 0
	v_mul_lo_u32 v6, s4, v7
	s_delay_alu instid0(VALU_DEP_2) | instskip(NEXT) | instid1(VALU_DEP_2)
	v_sub_co_u32 v0, vcc_lo, v12, v0
	v_add3_u32 v1, v1, v6, v8
	s_delay_alu instid0(VALU_DEP_1) | instskip(NEXT) | instid1(VALU_DEP_1)
	v_sub_nc_u32_e32 v6, v10, v1
	v_subrev_co_ci_u32_e64 v6, s2, s5, v6, vcc_lo
	v_sub_co_ci_u32_e32 v1, vcc_lo, v10, v1, vcc_lo
	v_sub_co_u32 v7, vcc_lo, v0, s4
	s_delay_alu instid0(VALU_DEP_1) | instskip(SKIP_3) | instid1(VALU_DEP_3)
	v_subrev_co_ci_u32_e64 v8, s2, 0, v6, vcc_lo
	v_cmp_le_u32_e64 s2, s4, v0
	v_subrev_co_ci_u32_e32 v6, vcc_lo, s5, v6, vcc_lo
	v_cmp_le_u32_e32 vcc_lo, s5, v1
	v_cndmask_b32_e64 v9, 0, -1, s2
	v_cmp_le_u32_e64 s2, s4, v7
	v_cndmask_b32_e64 v13, 0, -1, vcc_lo
	v_cmp_eq_u32_e32 vcc_lo, s5, v8
	s_delay_alu instid0(VALU_DEP_3) | instskip(SKIP_1) | instid1(VALU_DEP_1)
	v_cndmask_b32_e64 v10, 0, -1, s2
	v_cmp_le_u32_e64 s2, s5, v8
	v_cndmask_b32_e64 v12, 0, -1, s2
	v_cmp_eq_u32_e64 s2, s5, v1
	s_delay_alu instid0(VALU_DEP_2) | instskip(SKIP_2) | instid1(VALU_DEP_3)
	v_cndmask_b32_e32 v10, v12, v10, vcc_lo
	v_sub_co_u32 v12, vcc_lo, v7, s4
	v_subrev_co_ci_u32_e32 v6, vcc_lo, 0, v6, vcc_lo
	v_cmp_ne_u32_e32 vcc_lo, 0, v10
	v_cndmask_b32_e64 v9, v13, v9, s2
	s_delay_alu instid0(VALU_DEP_3) | instskip(NEXT) | instid1(VALU_DEP_2)
	v_dual_cndmask_b32 v6, v8, v6 :: v_dual_cndmask_b32 v7, v7, v12
	v_cmp_ne_u32_e32 vcc_lo, 0, v9
	s_delay_alu instid0(VALU_DEP_2) | instskip(NEXT) | instid1(VALU_DEP_1)
	v_dual_cndmask_b32 v0, v0, v7 :: v_dual_cndmask_b32 v1, v1, v6
	v_xor_b32_e32 v0, v0, v11
	s_delay_alu instid0(VALU_DEP_2) | instskip(NEXT) | instid1(VALU_DEP_2)
	v_xor_b32_e32 v1, v1, v11
	v_sub_co_u32 v0, vcc_lo, v0, v11
	s_delay_alu instid0(VALU_DEP_2)
	v_sub_co_ci_u32_e32 v1, vcc_lo, v1, v11, vcc_lo
.LBB65_7:
	s_or_saveexec_b32 s2, s6
	s_clause 0x1
	s_load_b64 s[12:13], s[0:1], 0xa8
	s_load_b256 s[4:11], s[0:1], 0x88
	s_xor_b32 exec_lo, exec_lo, s2
	s_cbranch_execz .LBB65_9
; %bb.8:
	v_cvt_f32_u32_e32 v0, s18
	s_sub_i32 s16, 0, s18
	s_delay_alu instid0(VALU_DEP_1) | instskip(SKIP_2) | instid1(VALU_DEP_1)
	v_rcp_iflag_f32_e32 v0, v0
	s_waitcnt_depctr 0xfff
	v_mul_f32_e32 v0, 0x4f7ffffe, v0
	v_cvt_u32_f32_e32 v0, v0
	s_delay_alu instid0(VALU_DEP_1) | instskip(NEXT) | instid1(VALU_DEP_1)
	v_mul_lo_u32 v1, s16, v0
	v_mul_hi_u32 v1, v0, v1
	s_delay_alu instid0(VALU_DEP_1) | instskip(NEXT) | instid1(VALU_DEP_1)
	v_add_nc_u32_e32 v0, v0, v1
	v_mul_hi_u32 v0, v4, v0
	s_delay_alu instid0(VALU_DEP_1) | instskip(NEXT) | instid1(VALU_DEP_1)
	v_mul_lo_u32 v0, v0, s18
	v_sub_nc_u32_e32 v0, v4, v0
	s_delay_alu instid0(VALU_DEP_1) | instskip(SKIP_1) | instid1(VALU_DEP_2)
	v_subrev_nc_u32_e32 v1, s18, v0
	v_cmp_le_u32_e32 vcc_lo, s18, v0
	v_cndmask_b32_e32 v0, v0, v1, vcc_lo
	s_delay_alu instid0(VALU_DEP_1) | instskip(SKIP_1) | instid1(VALU_DEP_2)
	v_subrev_nc_u32_e32 v1, s18, v0
	v_cmp_le_u32_e32 vcc_lo, s18, v0
	v_dual_cndmask_b32 v0, v0, v1 :: v_dual_mov_b32 v1, 0
.LBB65_9:
	s_or_b32 exec_lo, exec_lo, s2
	s_clause 0x1
	s_load_b64 s[44:45], s[0:1], 0x58
	s_load_b64 s[46:47], s[0:1], 0x0
	v_or_b32_e32 v7, s20, v3
	v_mov_b32_e32 v6, 0
	s_delay_alu instid0(VALU_DEP_1) | instskip(SKIP_1) | instid1(SALU_CYCLE_1)
	v_cmp_ne_u64_e32 vcc_lo, 0, v[6:7]
                                        ; implicit-def: $vgpr6_vgpr7
	s_and_saveexec_b32 s2, vcc_lo
	s_xor_b32 s21, exec_lo, s2
	s_cbranch_execz .LBB65_11
; %bb.10:
	s_ashr_i32 s16, s20, 31
	s_delay_alu instid0(SALU_CYCLE_1) | instskip(SKIP_2) | instid1(SALU_CYCLE_1)
	s_add_u32 s18, s3, s16
	s_mov_b32 s17, s16
	s_addc_u32 s19, s20, s16
	s_xor_b64 s[18:19], s[18:19], s[16:17]
	s_delay_alu instid0(SALU_CYCLE_1) | instskip(SKIP_3) | instid1(VALU_DEP_1)
	v_cvt_f32_u32_e32 v6, s18
	v_cvt_f32_u32_e32 v7, s19
	s_sub_u32 s2, 0, s18
	s_subb_u32 s17, 0, s19
	v_fmamk_f32 v6, v7, 0x4f800000, v6
	s_delay_alu instid0(VALU_DEP_1) | instskip(SKIP_2) | instid1(VALU_DEP_1)
	v_rcp_f32_e32 v6, v6
	s_waitcnt_depctr 0xfff
	v_mul_f32_e32 v6, 0x5f7ffffc, v6
	v_mul_f32_e32 v7, 0x2f800000, v6
	s_delay_alu instid0(VALU_DEP_1) | instskip(NEXT) | instid1(VALU_DEP_1)
	v_trunc_f32_e32 v7, v7
	v_fmamk_f32 v6, v7, 0xcf800000, v6
	v_cvt_u32_f32_e32 v7, v7
	s_delay_alu instid0(VALU_DEP_2) | instskip(NEXT) | instid1(VALU_DEP_2)
	v_cvt_u32_f32_e32 v6, v6
	v_mul_lo_u32 v8, s2, v7
	s_delay_alu instid0(VALU_DEP_2) | instskip(SKIP_1) | instid1(VALU_DEP_2)
	v_mul_hi_u32 v9, s2, v6
	v_mul_lo_u32 v10, s17, v6
	v_add_nc_u32_e32 v8, v9, v8
	v_mul_lo_u32 v9, s2, v6
	s_delay_alu instid0(VALU_DEP_2) | instskip(NEXT) | instid1(VALU_DEP_2)
	v_add_nc_u32_e32 v8, v8, v10
	v_mul_hi_u32 v10, v6, v9
	s_delay_alu instid0(VALU_DEP_2)
	v_mul_lo_u32 v11, v6, v8
	v_mul_hi_u32 v12, v6, v8
	v_mul_hi_u32 v13, v7, v9
	v_mul_lo_u32 v9, v7, v9
	v_mul_hi_u32 v14, v7, v8
	v_mul_lo_u32 v8, v7, v8
	v_add_co_u32 v10, vcc_lo, v10, v11
	v_add_co_ci_u32_e32 v11, vcc_lo, 0, v12, vcc_lo
	s_delay_alu instid0(VALU_DEP_2) | instskip(NEXT) | instid1(VALU_DEP_2)
	v_add_co_u32 v9, vcc_lo, v10, v9
	v_add_co_ci_u32_e32 v9, vcc_lo, v11, v13, vcc_lo
	v_add_co_ci_u32_e32 v10, vcc_lo, 0, v14, vcc_lo
	v_ashrrev_i32_e32 v13, 31, v3
	s_delay_alu instid0(VALU_DEP_3) | instskip(NEXT) | instid1(VALU_DEP_3)
	v_add_co_u32 v8, vcc_lo, v9, v8
	v_add_co_ci_u32_e32 v9, vcc_lo, 0, v10, vcc_lo
	s_delay_alu instid0(VALU_DEP_2) | instskip(NEXT) | instid1(VALU_DEP_2)
	v_add_co_u32 v6, vcc_lo, v6, v8
	v_add_co_ci_u32_e32 v7, vcc_lo, v7, v9, vcc_lo
	s_delay_alu instid0(VALU_DEP_2) | instskip(SKIP_1) | instid1(VALU_DEP_3)
	v_mul_hi_u32 v8, s2, v6
	v_mul_lo_u32 v10, s17, v6
	v_mul_lo_u32 v9, s2, v7
	s_delay_alu instid0(VALU_DEP_1) | instskip(SKIP_1) | instid1(VALU_DEP_2)
	v_add_nc_u32_e32 v8, v8, v9
	v_mul_lo_u32 v9, s2, v6
	v_add_nc_u32_e32 v8, v8, v10
	s_delay_alu instid0(VALU_DEP_2) | instskip(NEXT) | instid1(VALU_DEP_2)
	v_mul_hi_u32 v10, v6, v9
	v_mul_lo_u32 v11, v6, v8
	v_mul_hi_u32 v12, v6, v8
	v_mul_hi_u32 v14, v7, v9
	v_mul_lo_u32 v9, v7, v9
	v_mul_hi_u32 v15, v7, v8
	v_mul_lo_u32 v8, v7, v8
	v_add_co_u32 v10, vcc_lo, v10, v11
	v_add_co_ci_u32_e32 v11, vcc_lo, 0, v12, vcc_lo
	s_delay_alu instid0(VALU_DEP_2) | instskip(NEXT) | instid1(VALU_DEP_2)
	v_add_co_u32 v9, vcc_lo, v10, v9
	v_add_co_ci_u32_e32 v9, vcc_lo, v11, v14, vcc_lo
	v_add_co_ci_u32_e32 v10, vcc_lo, 0, v15, vcc_lo
	v_add_co_u32 v11, vcc_lo, v2, v13
	v_add_co_ci_u32_e32 v12, vcc_lo, v3, v13, vcc_lo
	s_delay_alu instid0(VALU_DEP_4) | instskip(NEXT) | instid1(VALU_DEP_4)
	v_add_co_u32 v8, vcc_lo, v9, v8
	v_add_co_ci_u32_e32 v9, vcc_lo, 0, v10, vcc_lo
	s_delay_alu instid0(VALU_DEP_4) | instskip(NEXT) | instid1(VALU_DEP_3)
	v_xor_b32_e32 v14, v11, v13
	v_add_co_u32 v10, vcc_lo, v6, v8
	s_delay_alu instid0(VALU_DEP_3) | instskip(SKIP_1) | instid1(VALU_DEP_3)
	v_add_co_ci_u32_e32 v15, vcc_lo, v7, v9, vcc_lo
	v_xor_b32_e32 v12, v12, v13
	v_mul_hi_u32 v16, v14, v10
	s_delay_alu instid0(VALU_DEP_3) | instskip(NEXT) | instid1(VALU_DEP_3)
	v_mad_u64_u32 v[6:7], null, v14, v15, 0
	v_mad_u64_u32 v[8:9], null, v12, v10, 0
	;; [unrolled: 1-line block ×3, first 2 shown]
	s_delay_alu instid0(VALU_DEP_3) | instskip(NEXT) | instid1(VALU_DEP_4)
	v_add_co_u32 v6, vcc_lo, v16, v6
	v_add_co_ci_u32_e32 v7, vcc_lo, 0, v7, vcc_lo
	s_delay_alu instid0(VALU_DEP_2) | instskip(NEXT) | instid1(VALU_DEP_2)
	v_add_co_u32 v6, vcc_lo, v6, v8
	v_add_co_ci_u32_e32 v6, vcc_lo, v7, v9, vcc_lo
	v_add_co_ci_u32_e32 v7, vcc_lo, 0, v11, vcc_lo
	s_delay_alu instid0(VALU_DEP_2) | instskip(NEXT) | instid1(VALU_DEP_2)
	v_add_co_u32 v8, vcc_lo, v6, v10
	v_add_co_ci_u32_e32 v9, vcc_lo, 0, v7, vcc_lo
	s_delay_alu instid0(VALU_DEP_2) | instskip(SKIP_1) | instid1(VALU_DEP_3)
	v_mul_lo_u32 v10, s19, v8
	v_mad_u64_u32 v[6:7], null, s18, v8, 0
	v_mul_lo_u32 v11, s18, v9
	s_delay_alu instid0(VALU_DEP_2) | instskip(NEXT) | instid1(VALU_DEP_2)
	v_sub_co_u32 v6, vcc_lo, v14, v6
	v_add3_u32 v7, v7, v11, v10
	s_delay_alu instid0(VALU_DEP_1) | instskip(NEXT) | instid1(VALU_DEP_1)
	v_sub_nc_u32_e32 v10, v12, v7
	v_subrev_co_ci_u32_e64 v10, s2, s19, v10, vcc_lo
	v_add_co_u32 v11, s2, v8, 2
	s_delay_alu instid0(VALU_DEP_1) | instskip(SKIP_3) | instid1(VALU_DEP_3)
	v_add_co_ci_u32_e64 v14, s2, 0, v9, s2
	v_sub_co_u32 v15, s2, v6, s18
	v_sub_co_ci_u32_e32 v7, vcc_lo, v12, v7, vcc_lo
	v_subrev_co_ci_u32_e64 v10, s2, 0, v10, s2
	v_cmp_le_u32_e32 vcc_lo, s18, v15
	s_delay_alu instid0(VALU_DEP_3) | instskip(SKIP_1) | instid1(VALU_DEP_4)
	v_cmp_eq_u32_e64 s2, s19, v7
	v_cndmask_b32_e64 v12, 0, -1, vcc_lo
	v_cmp_le_u32_e32 vcc_lo, s19, v10
	v_cndmask_b32_e64 v15, 0, -1, vcc_lo
	v_cmp_le_u32_e32 vcc_lo, s18, v6
	;; [unrolled: 2-line block ×3, first 2 shown]
	v_cndmask_b32_e64 v16, 0, -1, vcc_lo
	v_cmp_eq_u32_e32 vcc_lo, s19, v10
	s_delay_alu instid0(VALU_DEP_2) | instskip(SKIP_3) | instid1(VALU_DEP_3)
	v_cndmask_b32_e64 v6, v16, v6, s2
	v_cndmask_b32_e32 v10, v15, v12, vcc_lo
	v_add_co_u32 v12, vcc_lo, v8, 1
	v_add_co_ci_u32_e32 v15, vcc_lo, 0, v9, vcc_lo
	v_cmp_ne_u32_e32 vcc_lo, 0, v10
	s_delay_alu instid0(VALU_DEP_2) | instskip(SKIP_2) | instid1(VALU_DEP_3)
	v_dual_cndmask_b32 v7, v15, v14 :: v_dual_cndmask_b32 v10, v12, v11
	v_cmp_ne_u32_e32 vcc_lo, 0, v6
	v_xor_b32_e32 v11, s16, v13
	v_dual_cndmask_b32 v6, v9, v7 :: v_dual_cndmask_b32 v7, v8, v10
	s_delay_alu instid0(VALU_DEP_1) | instskip(NEXT) | instid1(VALU_DEP_2)
	v_xor_b32_e32 v8, v6, v11
	v_xor_b32_e32 v7, v7, v11
	s_delay_alu instid0(VALU_DEP_1) | instskip(NEXT) | instid1(VALU_DEP_3)
	v_sub_co_u32 v6, vcc_lo, v7, v11
	v_sub_co_ci_u32_e32 v7, vcc_lo, v8, v11, vcc_lo
.LBB65_11:
	s_or_saveexec_b32 s2, s21
	s_load_b512 s[16:31], s[0:1], 0x18
	s_xor_b32 exec_lo, exec_lo, s2
	s_cbranch_execz .LBB65_13
; %bb.12:
	v_cvt_f32_u32_e32 v6, s3
	s_sub_i32 s33, 0, s3
	s_delay_alu instid0(VALU_DEP_1) | instskip(SKIP_2) | instid1(VALU_DEP_1)
	v_rcp_iflag_f32_e32 v6, v6
	s_waitcnt_depctr 0xfff
	v_mul_f32_e32 v6, 0x4f7ffffe, v6
	v_cvt_u32_f32_e32 v6, v6
	s_delay_alu instid0(VALU_DEP_1) | instskip(NEXT) | instid1(VALU_DEP_1)
	v_mul_lo_u32 v7, s33, v6
	v_mul_hi_u32 v7, v6, v7
	s_delay_alu instid0(VALU_DEP_1) | instskip(NEXT) | instid1(VALU_DEP_1)
	v_add_nc_u32_e32 v6, v6, v7
	v_mul_hi_u32 v6, v2, v6
	s_delay_alu instid0(VALU_DEP_1) | instskip(SKIP_1) | instid1(VALU_DEP_2)
	v_mul_lo_u32 v7, v6, s3
	v_add_nc_u32_e32 v8, 1, v6
	v_sub_nc_u32_e32 v7, v2, v7
	s_delay_alu instid0(VALU_DEP_1) | instskip(SKIP_1) | instid1(VALU_DEP_2)
	v_subrev_nc_u32_e32 v9, s3, v7
	v_cmp_le_u32_e32 vcc_lo, s3, v7
	v_dual_cndmask_b32 v7, v7, v9 :: v_dual_cndmask_b32 v6, v6, v8
	s_delay_alu instid0(VALU_DEP_1) | instskip(NEXT) | instid1(VALU_DEP_2)
	v_cmp_le_u32_e32 vcc_lo, s3, v7
	v_dual_mov_b32 v7, 0 :: v_dual_add_nc_u32 v8, 1, v6
	s_delay_alu instid0(VALU_DEP_1)
	v_cndmask_b32_e32 v6, v6, v8, vcc_lo
.LBB65_13:
	s_or_b32 exec_lo, exec_lo, s2
	s_load_b256 s[36:43], s[0:1], 0xb0
	v_mul_lo_u32 v5, v5, s34
	v_mul_lo_u32 v10, v4, s35
	v_mad_u64_u32 v[8:9], null, v4, s34, 0
	s_load_b64 s[0:1], s[0:1], 0xd0
	s_delay_alu instid0(VALU_DEP_1) | instskip(NEXT) | instid1(VALU_DEP_2)
	v_add3_u32 v4, v9, v10, v5
	v_sub_co_u32 v10, vcc_lo, v2, v8
	s_delay_alu instid0(VALU_DEP_2)
	v_sub_co_ci_u32_e32 v11, vcc_lo, v3, v4, vcc_lo
	s_waitcnt lgkmcnt(0)
	s_sub_u32 s2, 0, s36
	s_subb_u32 s3, 0, s37
	s_sub_u32 s34, 0, s38
	v_cmp_gt_i64_e64 s50, s[2:3], 0
	s_subb_u32 s35, 0, s39
	v_cmp_gt_i64_e64 s33, s[36:37], 0
	s_sub_u32 s48, 0, s40
	s_subb_u32 s49, 0, s41
	v_cmp_gt_i64_e64 s54, s[34:35], 0
	v_cmp_gt_i64_e64 s52, s[38:39], 0
	v_cmp_gt_i64_e64 s55, s[48:49], 0
	v_cmp_gt_i64_e64 s53, s[40:41], 0
	s_and_b32 s50, s50, exec_lo
	s_cselect_b32 s56, s3, 0
	s_cselect_b32 s57, s2, 0
	s_and_b32 s2, s33, exec_lo
	s_cselect_b32 s51, s37, 0
	s_cselect_b32 s50, s36, 0
	;; [unrolled: 3-line block ×5, first 2 shown]
	s_and_b32 s2, s53, exec_lo
	v_sub_co_u32 v2, vcc_lo, v10, s36
	s_cselect_b32 s3, s41, 0
	s_cselect_b32 s2, s40, 0
	s_add_u32 s48, s20, s36
	v_subrev_co_ci_u32_e32 v3, vcc_lo, s37, v11, vcc_lo
	s_addc_u32 s49, s21, s37
	v_sub_co_u32 v4, vcc_lo, v10, s48
	v_subrev_co_ci_u32_e32 v5, vcc_lo, s49, v11, vcc_lo
	s_delay_alu instid0(VALU_DEP_3) | instskip(NEXT) | instid1(VALU_DEP_3)
	v_ashrrev_i32_e32 v8, 31, v3
	v_add_co_u32 v4, vcc_lo, v4, 1
	s_delay_alu instid0(VALU_DEP_3) | instskip(NEXT) | instid1(VALU_DEP_3)
	v_add_co_ci_u32_e32 v5, vcc_lo, 0, v5, vcc_lo
	v_xor_b32_e32 v2, v2, v8
	v_xor_b32_e32 v3, v3, v8
	s_lshl_b64 s[36:37], s[36:37], 1
	s_delay_alu instid0(VALU_DEP_3) | instskip(SKIP_3) | instid1(VALU_DEP_3)
	v_ashrrev_i32_e32 v9, 31, v5
	s_not_b64 s[48:49], s[50:51]
	v_sub_co_u32 v2, vcc_lo, v2, v8
	v_sub_co_ci_u32_e32 v3, vcc_lo, v3, v8, vcc_lo
	v_xor_b32_e32 v4, v4, v9
	v_xor_b32_e32 v5, v5, v9
	s_add_u32 s36, s36, s48
	s_addc_u32 s37, s37, s49
	s_add_u32 s36, s36, s57
	v_sub_co_u32 v4, vcc_lo, v4, v9
	v_sub_co_ci_u32_e32 v5, vcc_lo, v5, v9, vcc_lo
	s_addc_u32 s37, s37, s56
	s_delay_alu instid0(VALU_DEP_2) | instskip(NEXT) | instid1(VALU_DEP_2)
	v_add_co_u32 v4, vcc_lo, v10, v4
	v_add_co_ci_u32_e32 v5, vcc_lo, v11, v5, vcc_lo
	v_sub_co_u32 v8, vcc_lo, v0, s38
	s_add_u32 s20, s36, s20
	v_subrev_co_ci_u32_e32 v9, vcc_lo, s39, v1, vcc_lo
	s_addc_u32 s21, s37, s21
	v_sub_co_u32 v4, vcc_lo, s20, v4
	s_add_u32 s20, s18, s38
	v_sub_co_ci_u32_e32 v5, vcc_lo, s21, v5, vcc_lo
	s_addc_u32 s21, s19, s39
	v_sub_co_u32 v13, vcc_lo, v0, s20
	v_subrev_co_ci_u32_e32 v14, vcc_lo, s21, v1, vcc_lo
	v_ashrrev_i32_e32 v12, 31, v9
	s_delay_alu instid0(VALU_DEP_3) | instskip(NEXT) | instid1(VALU_DEP_3)
	v_add_co_u32 v13, vcc_lo, v13, 1
	v_add_co_ci_u32_e32 v14, vcc_lo, 0, v14, vcc_lo
	v_add_co_u32 v15, vcc_lo, v4, v2
	v_add_co_ci_u32_e32 v16, vcc_lo, v5, v3, vcc_lo
	s_delay_alu instid0(VALU_DEP_3)
	v_ashrrev_i32_e32 v3, 31, v14
	v_xor_b32_e32 v8, v8, v12
	v_xor_b32_e32 v2, v9, v12
	s_lshl_b64 s[20:21], s[38:39], 1
	s_not_b64 s[34:35], s[34:35]
	v_xor_b32_e32 v5, v13, v3
	v_sub_co_u32 v4, vcc_lo, v8, v12
	v_xor_b32_e32 v8, v14, v3
	v_sub_co_ci_u32_e32 v2, vcc_lo, v2, v12, vcc_lo
	s_delay_alu instid0(VALU_DEP_4) | instskip(NEXT) | instid1(VALU_DEP_3)
	v_sub_co_u32 v5, vcc_lo, v5, v3
	v_sub_co_ci_u32_e32 v3, vcc_lo, v8, v3, vcc_lo
	s_add_u32 s20, s20, s34
	s_delay_alu instid0(VALU_DEP_2)
	v_add_co_u32 v5, vcc_lo, v0, v5
	s_addc_u32 s21, s21, s35
	s_add_u32 s20, s20, s54
	v_add_co_ci_u32_e32 v3, vcc_lo, v1, v3, vcc_lo
	s_addc_u32 s21, s21, s33
	v_sub_co_u32 v8, vcc_lo, v6, s40
	s_add_u32 s18, s20, s18
	v_subrev_co_ci_u32_e32 v9, vcc_lo, s41, v7, vcc_lo
	s_addc_u32 s19, s21, s19
	v_sub_co_u32 v5, vcc_lo, s18, v5
	s_add_u32 s18, s16, s40
	v_sub_co_ci_u32_e32 v3, vcc_lo, s19, v3, vcc_lo
	s_addc_u32 s19, s17, s41
	v_sub_co_u32 v13, vcc_lo, v6, s18
	v_subrev_co_ci_u32_e32 v14, vcc_lo, s19, v7, vcc_lo
	v_ashrrev_i32_e32 v12, 31, v9
	s_delay_alu instid0(VALU_DEP_3) | instskip(NEXT) | instid1(VALU_DEP_3)
	v_add_co_u32 v13, vcc_lo, v13, 1
	v_add_co_ci_u32_e32 v14, vcc_lo, 0, v14, vcc_lo
	v_add_co_u32 v17, vcc_lo, v5, v4
	s_delay_alu instid0(VALU_DEP_4) | instskip(SKIP_1) | instid1(VALU_DEP_4)
	v_xor_b32_e32 v8, v8, v12
	v_add_co_ci_u32_e32 v4, vcc_lo, v3, v2, vcc_lo
	v_ashrrev_i32_e32 v3, 31, v14
	v_xor_b32_e32 v2, v9, v12
	s_delay_alu instid0(VALU_DEP_4) | instskip(SKIP_1) | instid1(VALU_DEP_3)
	v_sub_co_u32 v5, vcc_lo, v8, v12
	s_lshl_b64 s[18:19], s[40:41], 1
	v_xor_b32_e32 v8, v13, v3
	v_xor_b32_e32 v9, v14, v3
	v_sub_co_ci_u32_e32 v2, vcc_lo, v2, v12, vcc_lo
	s_not_b64 s[2:3], s[2:3]
	s_delay_alu instid0(VALU_DEP_3) | instskip(NEXT) | instid1(VALU_DEP_3)
	v_sub_co_u32 v8, vcc_lo, v8, v3
	v_sub_co_ci_u32_e32 v3, vcc_lo, v9, v3, vcc_lo
	s_add_u32 s2, s18, s2
	s_addc_u32 s3, s19, s3
	s_delay_alu instid0(VALU_DEP_2)
	v_add_co_u32 v8, vcc_lo, v6, v8
	s_add_u32 s2, s2, s55
	s_addc_u32 s3, s3, s52
	v_add_co_ci_u32_e32 v3, vcc_lo, v7, v3, vcc_lo
	s_add_u32 s2, s2, s16
	s_addc_u32 s3, s3, s17
	v_sub_co_u32 v8, vcc_lo, s2, v8
	s_delay_alu instid0(VALU_DEP_2) | instskip(SKIP_1) | instid1(VALU_DEP_2)
	v_sub_co_ci_u32_e32 v3, vcc_lo, s3, v3, vcc_lo
	s_add_u32 s14, s14, s42
	v_add_co_u32 v5, vcc_lo, v8, v5
	s_delay_alu instid0(VALU_DEP_2)
	v_add_co_ci_u32_e32 v2, vcc_lo, v3, v2, vcc_lo
	s_addc_u32 s16, 0, s43
	s_add_u32 s15, s15, s0
	s_addc_u32 s17, 0, s1
	s_mul_hi_u32 s1, s22, s15
	s_mul_i32 s0, s22, s17
	v_mul_lo_u32 v8, v2, s26
	v_mul_lo_u32 v9, v5, s27
	v_mad_u64_u32 v[2:3], null, v5, s26, 0
	s_add_i32 s0, s1, s0
	s_mul_i32 s1, s23, s15
	v_mul_lo_u32 v12, v4, s28
	s_add_i32 s1, s0, s1
	s_mul_i32 s0, s22, s15
	v_mul_lo_u32 v13, v17, s29
	v_mad_u64_u32 v[4:5], null, v17, s28, 0
	s_lshl_b64 s[0:1], s[0:1], 3
	v_add3_u32 v3, v3, v9, v8
	s_add_u32 s2, s46, s0
	s_addc_u32 s3, s47, s1
	s_mul_i32 s0, s24, s16
	s_mul_hi_u32 s1, s24, s14
	v_mul_lo_u32 v14, v16, s30
	v_mul_lo_u32 v16, v15, s31
	v_mad_u64_u32 v[8:9], null, v15, s30, 0
	s_add_i32 s0, s1, s0
	s_mul_i32 s1, s25, s14
	v_add3_u32 v5, v5, v13, v12
	s_add_i32 s1, s0, s1
	s_mul_i32 s0, s24, s14
	v_lshlrev_b64 v[2:3], 3, v[2:3]
	s_lshl_b64 s[0:1], s[0:1], 3
	v_lshlrev_b64 v[4:5], 3, v[4:5]
	s_add_u32 s0, s2, s0
	v_add3_u32 v9, v9, v16, v14
	s_addc_u32 s1, s3, s1
	v_add_co_u32 v12, vcc_lo, s0, v2
	v_add_co_ci_u32_e32 v13, vcc_lo, s1, v3, vcc_lo
	s_delay_alu instid0(VALU_DEP_3) | instskip(NEXT) | instid1(VALU_DEP_3)
	v_lshlrev_b64 v[2:3], 3, v[8:9]
	v_add_co_u32 v4, vcc_lo, v12, v4
	s_delay_alu instid0(VALU_DEP_3) | instskip(SKIP_1) | instid1(VALU_DEP_2)
	v_add_co_ci_u32_e32 v5, vcc_lo, v13, v5, vcc_lo
	s_mul_i32 s0, s4, s17
	v_add_co_u32 v2, vcc_lo, v4, v2
	s_delay_alu instid0(VALU_DEP_2)
	v_add_co_ci_u32_e32 v3, vcc_lo, v5, v3, vcc_lo
	s_mul_hi_u32 s1, s4, s15
	v_mul_lo_u32 v8, v7, s8
	v_mul_lo_u32 v9, v6, s9
	global_load_b64 v[2:3], v[2:3], off
	v_mad_u64_u32 v[4:5], null, v6, s8, 0
	s_add_i32 s0, s1, s0
	s_mul_i32 s1, s5, s15
	v_mul_lo_u32 v12, v1, s10
	s_add_i32 s1, s0, s1
	s_mul_i32 s0, s4, s15
	v_mul_lo_u32 v13, v0, s11
	v_mad_u64_u32 v[6:7], null, v0, s10, 0
	s_lshl_b64 s[0:1], s[0:1], 3
	v_add3_u32 v5, v5, v9, v8
	s_add_u32 s2, s44, s0
	s_addc_u32 s3, s45, s1
	s_mul_i32 s0, s6, s16
	s_mul_hi_u32 s1, s6, s14
	v_mul_lo_u32 v8, v11, s12
	v_mul_lo_u32 v9, v10, s13
	v_mad_u64_u32 v[0:1], null, v10, s12, 0
	s_add_i32 s0, s1, s0
	s_mul_i32 s1, s7, s14
	v_add3_u32 v7, v7, v13, v12
	s_add_i32 s1, s0, s1
	s_mul_i32 s0, s6, s14
	v_lshlrev_b64 v[4:5], 3, v[4:5]
	s_lshl_b64 s[0:1], s[0:1], 3
	v_lshlrev_b64 v[6:7], 3, v[6:7]
	s_add_u32 s0, s2, s0
	v_add3_u32 v1, v1, v9, v8
	s_addc_u32 s1, s3, s1
	v_add_co_u32 v4, vcc_lo, s0, v4
	v_add_co_ci_u32_e32 v5, vcc_lo, s1, v5, vcc_lo
	s_delay_alu instid0(VALU_DEP_3) | instskip(NEXT) | instid1(VALU_DEP_3)
	v_lshlrev_b64 v[0:1], 3, v[0:1]
	v_add_co_u32 v4, vcc_lo, v4, v6
	s_delay_alu instid0(VALU_DEP_3) | instskip(NEXT) | instid1(VALU_DEP_2)
	v_add_co_ci_u32_e32 v5, vcc_lo, v5, v7, vcc_lo
	v_add_co_u32 v0, vcc_lo, v4, v0
	s_delay_alu instid0(VALU_DEP_2)
	v_add_co_ci_u32_e32 v1, vcc_lo, v5, v1, vcc_lo
	s_waitcnt vmcnt(0)
	global_store_b64 v[0:1], v[2:3], off
.LBB65_14:
	s_nop 0
	s_sendmsg sendmsg(MSG_DEALLOC_VGPRS)
	s_endpgm
	.section	.rodata,"a",@progbits
	.p2align	6, 0x0
	.amdhsa_kernel _ZN2at6native12_GLOBAL__N_127reflection_pad3d_out_kernelIN3c107complexIfEEEEvN5torch10headeronly6detail27GenericPackedTensorAccessorINS8_14TensorAccessorINS3_8ArrayRefIlEEKT_Lm4ENS7_16DefaultPtrTraitsElEENS_6detail16IndexBoundsCheckILm5ElEESE_Lm5ESF_lEENS9_INSA_ISC_SD_Lm4ESF_lEESJ_SD_Lm5ESF_lEElllll
		.amdhsa_group_segment_fixed_size 0
		.amdhsa_private_segment_fixed_size 0
		.amdhsa_kernarg_size 472
		.amdhsa_user_sgpr_count 13
		.amdhsa_user_sgpr_dispatch_ptr 0
		.amdhsa_user_sgpr_queue_ptr 0
		.amdhsa_user_sgpr_kernarg_segment_ptr 1
		.amdhsa_user_sgpr_dispatch_id 0
		.amdhsa_user_sgpr_private_segment_size 0
		.amdhsa_wavefront_size32 1
		.amdhsa_uses_dynamic_stack 0
		.amdhsa_enable_private_segment 0
		.amdhsa_system_sgpr_workgroup_id_x 1
		.amdhsa_system_sgpr_workgroup_id_y 1
		.amdhsa_system_sgpr_workgroup_id_z 1
		.amdhsa_system_sgpr_workgroup_info 0
		.amdhsa_system_vgpr_workitem_id 0
		.amdhsa_next_free_vgpr 18
		.amdhsa_next_free_sgpr 58
		.amdhsa_reserve_vcc 1
		.amdhsa_float_round_mode_32 0
		.amdhsa_float_round_mode_16_64 0
		.amdhsa_float_denorm_mode_32 3
		.amdhsa_float_denorm_mode_16_64 3
		.amdhsa_dx10_clamp 1
		.amdhsa_ieee_mode 1
		.amdhsa_fp16_overflow 0
		.amdhsa_workgroup_processor_mode 1
		.amdhsa_memory_ordered 1
		.amdhsa_forward_progress 0
		.amdhsa_shared_vgpr_count 0
		.amdhsa_exception_fp_ieee_invalid_op 0
		.amdhsa_exception_fp_denorm_src 0
		.amdhsa_exception_fp_ieee_div_zero 0
		.amdhsa_exception_fp_ieee_overflow 0
		.amdhsa_exception_fp_ieee_underflow 0
		.amdhsa_exception_fp_ieee_inexact 0
		.amdhsa_exception_int_div_zero 0
	.end_amdhsa_kernel
	.section	.text._ZN2at6native12_GLOBAL__N_127reflection_pad3d_out_kernelIN3c107complexIfEEEEvN5torch10headeronly6detail27GenericPackedTensorAccessorINS8_14TensorAccessorINS3_8ArrayRefIlEEKT_Lm4ENS7_16DefaultPtrTraitsElEENS_6detail16IndexBoundsCheckILm5ElEESE_Lm5ESF_lEENS9_INSA_ISC_SD_Lm4ESF_lEESJ_SD_Lm5ESF_lEElllll,"axG",@progbits,_ZN2at6native12_GLOBAL__N_127reflection_pad3d_out_kernelIN3c107complexIfEEEEvN5torch10headeronly6detail27GenericPackedTensorAccessorINS8_14TensorAccessorINS3_8ArrayRefIlEEKT_Lm4ENS7_16DefaultPtrTraitsElEENS_6detail16IndexBoundsCheckILm5ElEESE_Lm5ESF_lEENS9_INSA_ISC_SD_Lm4ESF_lEESJ_SD_Lm5ESF_lEElllll,comdat
.Lfunc_end65:
	.size	_ZN2at6native12_GLOBAL__N_127reflection_pad3d_out_kernelIN3c107complexIfEEEEvN5torch10headeronly6detail27GenericPackedTensorAccessorINS8_14TensorAccessorINS3_8ArrayRefIlEEKT_Lm4ENS7_16DefaultPtrTraitsElEENS_6detail16IndexBoundsCheckILm5ElEESE_Lm5ESF_lEENS9_INSA_ISC_SD_Lm4ESF_lEESJ_SD_Lm5ESF_lEElllll, .Lfunc_end65-_ZN2at6native12_GLOBAL__N_127reflection_pad3d_out_kernelIN3c107complexIfEEEEvN5torch10headeronly6detail27GenericPackedTensorAccessorINS8_14TensorAccessorINS3_8ArrayRefIlEEKT_Lm4ENS7_16DefaultPtrTraitsElEENS_6detail16IndexBoundsCheckILm5ElEESE_Lm5ESF_lEENS9_INSA_ISC_SD_Lm4ESF_lEESJ_SD_Lm5ESF_lEElllll
                                        ; -- End function
	.section	.AMDGPU.csdata,"",@progbits
; Kernel info:
; codeLenInByte = 4444
; NumSgprs: 60
; NumVgprs: 18
; ScratchSize: 0
; MemoryBound: 0
; FloatMode: 240
; IeeeMode: 1
; LDSByteSize: 0 bytes/workgroup (compile time only)
; SGPRBlocks: 7
; VGPRBlocks: 2
; NumSGPRsForWavesPerEU: 60
; NumVGPRsForWavesPerEU: 18
; Occupancy: 16
; WaveLimiterHint : 0
; COMPUTE_PGM_RSRC2:SCRATCH_EN: 0
; COMPUTE_PGM_RSRC2:USER_SGPR: 13
; COMPUTE_PGM_RSRC2:TRAP_HANDLER: 0
; COMPUTE_PGM_RSRC2:TGID_X_EN: 1
; COMPUTE_PGM_RSRC2:TGID_Y_EN: 1
; COMPUTE_PGM_RSRC2:TGID_Z_EN: 1
; COMPUTE_PGM_RSRC2:TIDIG_COMP_CNT: 0
	.section	.text._ZN2at6native12_GLOBAL__N_127reflection_pad3d_out_kernelIN3c104HalfEEEvN5torch10headeronly6detail27GenericPackedTensorAccessorINS7_14TensorAccessorINS3_8ArrayRefIlEEKT_Lm4ENS6_16DefaultPtrTraitsElEENS_6detail16IndexBoundsCheckILm5ElEESD_Lm5ESE_lEENS8_INS9_ISB_SC_Lm4ESE_lEESI_SC_Lm5ESE_lEElllll,"axG",@progbits,_ZN2at6native12_GLOBAL__N_127reflection_pad3d_out_kernelIN3c104HalfEEEvN5torch10headeronly6detail27GenericPackedTensorAccessorINS7_14TensorAccessorINS3_8ArrayRefIlEEKT_Lm4ENS6_16DefaultPtrTraitsElEENS_6detail16IndexBoundsCheckILm5ElEESD_Lm5ESE_lEENS8_INS9_ISB_SC_Lm4ESE_lEESI_SC_Lm5ESE_lEElllll,comdat
	.globl	_ZN2at6native12_GLOBAL__N_127reflection_pad3d_out_kernelIN3c104HalfEEEvN5torch10headeronly6detail27GenericPackedTensorAccessorINS7_14TensorAccessorINS3_8ArrayRefIlEEKT_Lm4ENS6_16DefaultPtrTraitsElEENS_6detail16IndexBoundsCheckILm5ElEESD_Lm5ESE_lEENS8_INS9_ISB_SC_Lm4ESE_lEESI_SC_Lm5ESE_lEElllll ; -- Begin function _ZN2at6native12_GLOBAL__N_127reflection_pad3d_out_kernelIN3c104HalfEEEvN5torch10headeronly6detail27GenericPackedTensorAccessorINS7_14TensorAccessorINS3_8ArrayRefIlEEKT_Lm4ENS6_16DefaultPtrTraitsElEENS_6detail16IndexBoundsCheckILm5ElEESD_Lm5ESE_lEENS8_INS9_ISB_SC_Lm4ESE_lEESI_SC_Lm5ESE_lEElllll
	.p2align	8
	.type	_ZN2at6native12_GLOBAL__N_127reflection_pad3d_out_kernelIN3c104HalfEEEvN5torch10headeronly6detail27GenericPackedTensorAccessorINS7_14TensorAccessorINS3_8ArrayRefIlEEKT_Lm4ENS6_16DefaultPtrTraitsElEENS_6detail16IndexBoundsCheckILm5ElEESD_Lm5ESE_lEENS8_INS9_ISB_SC_Lm4ESE_lEESI_SC_Lm5ESE_lEElllll,@function
_ZN2at6native12_GLOBAL__N_127reflection_pad3d_out_kernelIN3c104HalfEEEvN5torch10headeronly6detail27GenericPackedTensorAccessorINS7_14TensorAccessorINS3_8ArrayRefIlEEKT_Lm4ENS6_16DefaultPtrTraitsElEENS_6detail16IndexBoundsCheckILm5ElEESD_Lm5ESE_lEENS8_INS9_ISB_SC_Lm4ESE_lEESI_SC_Lm5ESE_lEElllll: ; @_ZN2at6native12_GLOBAL__N_127reflection_pad3d_out_kernelIN3c104HalfEEEvN5torch10headeronly6detail27GenericPackedTensorAccessorINS7_14TensorAccessorINS3_8ArrayRefIlEEKT_Lm4ENS6_16DefaultPtrTraitsElEENS_6detail16IndexBoundsCheckILm5ElEESD_Lm5ESE_lEENS8_INS9_ISB_SC_Lm4ESE_lEESI_SC_Lm5ESE_lEElllll
; %bb.0:
	s_clause 0x2
	s_load_b32 s2, s[0:1], 0xe4
	s_load_b128 s[16:19], s[0:1], 0x70
	s_load_b64 s[34:35], s[0:1], 0x80
	v_mov_b32_e32 v4, 0
	s_delay_alu instid0(VALU_DEP_1)
	v_mov_b32_e32 v1, v4
	s_waitcnt lgkmcnt(0)
	s_and_b32 s2, s2, 0xffff
	s_mul_i32 s4, s34, s19
	s_mul_hi_u32 s5, s34, s18
	s_mul_i32 s6, s35, s18
	s_mul_i32 s3, s34, s18
	v_mad_u64_u32 v[2:3], null, s2, s13, v[0:1]
	s_add_i32 s20, s5, s4
	s_mul_i32 s2, s3, s17
	s_mul_hi_u32 s4, s3, s16
	s_add_i32 s20, s20, s6
	s_add_i32 s2, s4, s2
	s_mul_i32 s4, s20, s16
	s_delay_alu instid0(SALU_CYCLE_1)
	s_add_i32 s5, s2, s4
	s_mul_i32 s4, s3, s16
	s_mov_b32 s2, exec_lo
	v_cmpx_gt_i64_e64 s[4:5], v[2:3]
	s_cbranch_execz .LBB66_14
; %bb.1:
	v_or_b32_e32 v5, s35, v3
	s_delay_alu instid0(VALU_DEP_1) | instskip(SKIP_1) | instid1(SALU_CYCLE_1)
	v_cmp_ne_u64_e32 vcc_lo, 0, v[4:5]
                                        ; implicit-def: $vgpr4_vgpr5
	s_and_saveexec_b32 s2, vcc_lo
	s_xor_b32 s8, exec_lo, s2
	s_cbranch_execz .LBB66_3
; %bb.2:
	s_ashr_i32 s4, s35, 31
	s_delay_alu instid0(SALU_CYCLE_1) | instskip(SKIP_2) | instid1(SALU_CYCLE_1)
	s_add_u32 s6, s34, s4
	s_mov_b32 s5, s4
	s_addc_u32 s7, s35, s4
	s_xor_b64 s[6:7], s[6:7], s[4:5]
	s_delay_alu instid0(SALU_CYCLE_1) | instskip(SKIP_3) | instid1(VALU_DEP_1)
	v_cvt_f32_u32_e32 v0, s6
	v_cvt_f32_u32_e32 v1, s7
	s_sub_u32 s2, 0, s6
	s_subb_u32 s5, 0, s7
	v_fmamk_f32 v0, v1, 0x4f800000, v0
	s_delay_alu instid0(VALU_DEP_1) | instskip(SKIP_2) | instid1(VALU_DEP_1)
	v_rcp_f32_e32 v0, v0
	s_waitcnt_depctr 0xfff
	v_mul_f32_e32 v0, 0x5f7ffffc, v0
	v_mul_f32_e32 v1, 0x2f800000, v0
	s_delay_alu instid0(VALU_DEP_1) | instskip(NEXT) | instid1(VALU_DEP_1)
	v_trunc_f32_e32 v1, v1
	v_fmamk_f32 v0, v1, 0xcf800000, v0
	v_cvt_u32_f32_e32 v1, v1
	s_delay_alu instid0(VALU_DEP_2) | instskip(NEXT) | instid1(VALU_DEP_2)
	v_cvt_u32_f32_e32 v0, v0
	v_mul_lo_u32 v4, s2, v1
	s_delay_alu instid0(VALU_DEP_2) | instskip(SKIP_1) | instid1(VALU_DEP_2)
	v_mul_hi_u32 v5, s2, v0
	v_mul_lo_u32 v6, s5, v0
	v_add_nc_u32_e32 v4, v5, v4
	v_mul_lo_u32 v5, s2, v0
	s_delay_alu instid0(VALU_DEP_2) | instskip(NEXT) | instid1(VALU_DEP_2)
	v_add_nc_u32_e32 v4, v4, v6
	v_mul_hi_u32 v6, v0, v5
	s_delay_alu instid0(VALU_DEP_2)
	v_mul_lo_u32 v7, v0, v4
	v_mul_hi_u32 v8, v0, v4
	v_mul_hi_u32 v9, v1, v5
	v_mul_lo_u32 v5, v1, v5
	v_mul_hi_u32 v10, v1, v4
	v_mul_lo_u32 v4, v1, v4
	v_add_co_u32 v6, vcc_lo, v6, v7
	v_add_co_ci_u32_e32 v7, vcc_lo, 0, v8, vcc_lo
	s_delay_alu instid0(VALU_DEP_2) | instskip(NEXT) | instid1(VALU_DEP_2)
	v_add_co_u32 v5, vcc_lo, v6, v5
	v_add_co_ci_u32_e32 v5, vcc_lo, v7, v9, vcc_lo
	v_add_co_ci_u32_e32 v6, vcc_lo, 0, v10, vcc_lo
	v_ashrrev_i32_e32 v9, 31, v3
	s_delay_alu instid0(VALU_DEP_3) | instskip(NEXT) | instid1(VALU_DEP_3)
	v_add_co_u32 v4, vcc_lo, v5, v4
	v_add_co_ci_u32_e32 v5, vcc_lo, 0, v6, vcc_lo
	s_delay_alu instid0(VALU_DEP_2) | instskip(NEXT) | instid1(VALU_DEP_2)
	v_add_co_u32 v0, vcc_lo, v0, v4
	v_add_co_ci_u32_e32 v1, vcc_lo, v1, v5, vcc_lo
	s_delay_alu instid0(VALU_DEP_2) | instskip(SKIP_1) | instid1(VALU_DEP_3)
	v_mul_hi_u32 v4, s2, v0
	v_mul_lo_u32 v6, s5, v0
	v_mul_lo_u32 v5, s2, v1
	s_delay_alu instid0(VALU_DEP_1) | instskip(SKIP_1) | instid1(VALU_DEP_2)
	v_add_nc_u32_e32 v4, v4, v5
	v_mul_lo_u32 v5, s2, v0
	v_add_nc_u32_e32 v4, v4, v6
	s_delay_alu instid0(VALU_DEP_2) | instskip(NEXT) | instid1(VALU_DEP_2)
	v_mul_hi_u32 v6, v0, v5
	v_mul_lo_u32 v7, v0, v4
	v_mul_hi_u32 v8, v0, v4
	v_mul_hi_u32 v10, v1, v5
	v_mul_lo_u32 v5, v1, v5
	v_mul_hi_u32 v11, v1, v4
	v_mul_lo_u32 v4, v1, v4
	v_add_co_u32 v6, vcc_lo, v6, v7
	v_add_co_ci_u32_e32 v7, vcc_lo, 0, v8, vcc_lo
	s_delay_alu instid0(VALU_DEP_2) | instskip(NEXT) | instid1(VALU_DEP_2)
	v_add_co_u32 v5, vcc_lo, v6, v5
	v_add_co_ci_u32_e32 v5, vcc_lo, v7, v10, vcc_lo
	v_add_co_ci_u32_e32 v6, vcc_lo, 0, v11, vcc_lo
	v_add_co_u32 v7, vcc_lo, v2, v9
	v_add_co_ci_u32_e32 v8, vcc_lo, v3, v9, vcc_lo
	s_delay_alu instid0(VALU_DEP_4) | instskip(NEXT) | instid1(VALU_DEP_4)
	v_add_co_u32 v4, vcc_lo, v5, v4
	v_add_co_ci_u32_e32 v5, vcc_lo, 0, v6, vcc_lo
	s_delay_alu instid0(VALU_DEP_4) | instskip(NEXT) | instid1(VALU_DEP_3)
	v_xor_b32_e32 v10, v7, v9
	v_add_co_u32 v6, vcc_lo, v0, v4
	s_delay_alu instid0(VALU_DEP_3) | instskip(SKIP_1) | instid1(VALU_DEP_3)
	v_add_co_ci_u32_e32 v11, vcc_lo, v1, v5, vcc_lo
	v_xor_b32_e32 v8, v8, v9
	v_mul_hi_u32 v12, v10, v6
	s_delay_alu instid0(VALU_DEP_3) | instskip(NEXT) | instid1(VALU_DEP_3)
	v_mad_u64_u32 v[0:1], null, v10, v11, 0
	v_mad_u64_u32 v[4:5], null, v8, v6, 0
	;; [unrolled: 1-line block ×3, first 2 shown]
	s_delay_alu instid0(VALU_DEP_3) | instskip(NEXT) | instid1(VALU_DEP_4)
	v_add_co_u32 v0, vcc_lo, v12, v0
	v_add_co_ci_u32_e32 v1, vcc_lo, 0, v1, vcc_lo
	s_delay_alu instid0(VALU_DEP_2) | instskip(NEXT) | instid1(VALU_DEP_2)
	v_add_co_u32 v0, vcc_lo, v0, v4
	v_add_co_ci_u32_e32 v0, vcc_lo, v1, v5, vcc_lo
	v_add_co_ci_u32_e32 v1, vcc_lo, 0, v7, vcc_lo
	s_delay_alu instid0(VALU_DEP_2) | instskip(NEXT) | instid1(VALU_DEP_2)
	v_add_co_u32 v4, vcc_lo, v0, v6
	v_add_co_ci_u32_e32 v5, vcc_lo, 0, v1, vcc_lo
	s_delay_alu instid0(VALU_DEP_2) | instskip(SKIP_1) | instid1(VALU_DEP_3)
	v_mul_lo_u32 v6, s7, v4
	v_mad_u64_u32 v[0:1], null, s6, v4, 0
	v_mul_lo_u32 v7, s6, v5
	s_delay_alu instid0(VALU_DEP_2) | instskip(NEXT) | instid1(VALU_DEP_2)
	v_sub_co_u32 v0, vcc_lo, v10, v0
	v_add3_u32 v1, v1, v7, v6
	s_delay_alu instid0(VALU_DEP_1) | instskip(NEXT) | instid1(VALU_DEP_1)
	v_sub_nc_u32_e32 v6, v8, v1
	v_subrev_co_ci_u32_e64 v6, s2, s7, v6, vcc_lo
	v_add_co_u32 v7, s2, v4, 2
	s_delay_alu instid0(VALU_DEP_1) | instskip(SKIP_3) | instid1(VALU_DEP_3)
	v_add_co_ci_u32_e64 v10, s2, 0, v5, s2
	v_sub_co_u32 v11, s2, v0, s6
	v_sub_co_ci_u32_e32 v1, vcc_lo, v8, v1, vcc_lo
	v_subrev_co_ci_u32_e64 v6, s2, 0, v6, s2
	v_cmp_le_u32_e32 vcc_lo, s6, v11
	s_delay_alu instid0(VALU_DEP_3) | instskip(SKIP_1) | instid1(VALU_DEP_4)
	v_cmp_eq_u32_e64 s2, s7, v1
	v_cndmask_b32_e64 v8, 0, -1, vcc_lo
	v_cmp_le_u32_e32 vcc_lo, s7, v6
	v_cndmask_b32_e64 v11, 0, -1, vcc_lo
	v_cmp_le_u32_e32 vcc_lo, s6, v0
	;; [unrolled: 2-line block ×3, first 2 shown]
	v_cndmask_b32_e64 v12, 0, -1, vcc_lo
	v_cmp_eq_u32_e32 vcc_lo, s7, v6
	s_delay_alu instid0(VALU_DEP_2) | instskip(SKIP_3) | instid1(VALU_DEP_3)
	v_cndmask_b32_e64 v0, v12, v0, s2
	v_cndmask_b32_e32 v6, v11, v8, vcc_lo
	v_add_co_u32 v8, vcc_lo, v4, 1
	v_add_co_ci_u32_e32 v11, vcc_lo, 0, v5, vcc_lo
	v_cmp_ne_u32_e32 vcc_lo, 0, v6
	s_delay_alu instid0(VALU_DEP_2) | instskip(SKIP_2) | instid1(VALU_DEP_3)
	v_dual_cndmask_b32 v1, v11, v10 :: v_dual_cndmask_b32 v6, v8, v7
	v_cmp_ne_u32_e32 vcc_lo, 0, v0
	v_xor_b32_e32 v0, s4, v9
	v_dual_cndmask_b32 v4, v4, v6 :: v_dual_cndmask_b32 v1, v5, v1
	s_delay_alu instid0(VALU_DEP_1) | instskip(NEXT) | instid1(VALU_DEP_2)
	v_xor_b32_e32 v4, v4, v0
	v_xor_b32_e32 v1, v1, v0
	s_delay_alu instid0(VALU_DEP_2) | instskip(NEXT) | instid1(VALU_DEP_2)
	v_sub_co_u32 v4, vcc_lo, v4, v0
	v_sub_co_ci_u32_e32 v5, vcc_lo, v1, v0, vcc_lo
.LBB66_3:
	s_and_not1_saveexec_b32 s2, s8
	s_cbranch_execz .LBB66_5
; %bb.4:
	v_cvt_f32_u32_e32 v0, s34
	s_sub_i32 s4, 0, s34
	s_delay_alu instid0(VALU_DEP_1) | instskip(SKIP_2) | instid1(VALU_DEP_1)
	v_rcp_iflag_f32_e32 v0, v0
	s_waitcnt_depctr 0xfff
	v_mul_f32_e32 v0, 0x4f7ffffe, v0
	v_cvt_u32_f32_e32 v0, v0
	s_delay_alu instid0(VALU_DEP_1) | instskip(NEXT) | instid1(VALU_DEP_1)
	v_mul_lo_u32 v1, s4, v0
	v_mul_hi_u32 v1, v0, v1
	s_delay_alu instid0(VALU_DEP_1) | instskip(NEXT) | instid1(VALU_DEP_1)
	v_add_nc_u32_e32 v0, v0, v1
	v_mul_hi_u32 v0, v2, v0
	s_delay_alu instid0(VALU_DEP_1) | instskip(SKIP_1) | instid1(VALU_DEP_2)
	v_mul_lo_u32 v1, v0, s34
	v_add_nc_u32_e32 v4, 1, v0
	v_sub_nc_u32_e32 v1, v2, v1
	s_delay_alu instid0(VALU_DEP_1) | instskip(SKIP_1) | instid1(VALU_DEP_2)
	v_subrev_nc_u32_e32 v5, s34, v1
	v_cmp_le_u32_e32 vcc_lo, s34, v1
	v_cndmask_b32_e32 v1, v1, v5, vcc_lo
	v_dual_mov_b32 v5, 0 :: v_dual_cndmask_b32 v0, v0, v4
	s_delay_alu instid0(VALU_DEP_2) | instskip(NEXT) | instid1(VALU_DEP_2)
	v_cmp_le_u32_e32 vcc_lo, s34, v1
	v_add_nc_u32_e32 v4, 1, v0
	s_delay_alu instid0(VALU_DEP_1)
	v_cndmask_b32_e32 v4, v0, v4, vcc_lo
.LBB66_5:
	s_or_b32 exec_lo, exec_lo, s2
	s_delay_alu instid0(VALU_DEP_1) | instskip(SKIP_1) | instid1(VALU_DEP_1)
	v_or_b32_e32 v1, s19, v5
	v_mov_b32_e32 v0, 0
	v_cmp_ne_u64_e32 vcc_lo, 0, v[0:1]
                                        ; implicit-def: $vgpr0_vgpr1
	s_and_saveexec_b32 s2, vcc_lo
	s_delay_alu instid0(SALU_CYCLE_1)
	s_xor_b32 s6, exec_lo, s2
	s_cbranch_execz .LBB66_7
; %bb.6:
	s_ashr_i32 s4, s19, 31
	s_delay_alu instid0(SALU_CYCLE_1) | instskip(SKIP_2) | instid1(SALU_CYCLE_1)
	s_add_u32 s8, s18, s4
	s_mov_b32 s5, s4
	s_addc_u32 s9, s19, s4
	s_xor_b64 s[4:5], s[8:9], s[4:5]
	s_delay_alu instid0(SALU_CYCLE_1) | instskip(SKIP_3) | instid1(VALU_DEP_1)
	v_cvt_f32_u32_e32 v0, s4
	v_cvt_f32_u32_e32 v1, s5
	s_sub_u32 s2, 0, s4
	s_subb_u32 s7, 0, s5
	v_fmamk_f32 v0, v1, 0x4f800000, v0
	s_delay_alu instid0(VALU_DEP_1) | instskip(SKIP_2) | instid1(VALU_DEP_1)
	v_rcp_f32_e32 v0, v0
	s_waitcnt_depctr 0xfff
	v_mul_f32_e32 v0, 0x5f7ffffc, v0
	v_mul_f32_e32 v1, 0x2f800000, v0
	s_delay_alu instid0(VALU_DEP_1) | instskip(NEXT) | instid1(VALU_DEP_1)
	v_trunc_f32_e32 v1, v1
	v_fmamk_f32 v0, v1, 0xcf800000, v0
	v_cvt_u32_f32_e32 v1, v1
	s_delay_alu instid0(VALU_DEP_2) | instskip(NEXT) | instid1(VALU_DEP_2)
	v_cvt_u32_f32_e32 v0, v0
	v_mul_lo_u32 v6, s2, v1
	s_delay_alu instid0(VALU_DEP_2) | instskip(SKIP_1) | instid1(VALU_DEP_2)
	v_mul_hi_u32 v7, s2, v0
	v_mul_lo_u32 v8, s7, v0
	v_add_nc_u32_e32 v6, v7, v6
	v_mul_lo_u32 v7, s2, v0
	s_delay_alu instid0(VALU_DEP_2) | instskip(NEXT) | instid1(VALU_DEP_2)
	v_add_nc_u32_e32 v6, v6, v8
	v_mul_hi_u32 v8, v0, v7
	s_delay_alu instid0(VALU_DEP_2)
	v_mul_lo_u32 v9, v0, v6
	v_mul_hi_u32 v10, v0, v6
	v_mul_hi_u32 v11, v1, v7
	v_mul_lo_u32 v7, v1, v7
	v_mul_hi_u32 v12, v1, v6
	v_mul_lo_u32 v6, v1, v6
	v_add_co_u32 v8, vcc_lo, v8, v9
	v_add_co_ci_u32_e32 v9, vcc_lo, 0, v10, vcc_lo
	s_delay_alu instid0(VALU_DEP_2) | instskip(NEXT) | instid1(VALU_DEP_2)
	v_add_co_u32 v7, vcc_lo, v8, v7
	v_add_co_ci_u32_e32 v7, vcc_lo, v9, v11, vcc_lo
	v_add_co_ci_u32_e32 v8, vcc_lo, 0, v12, vcc_lo
	v_ashrrev_i32_e32 v11, 31, v5
	s_delay_alu instid0(VALU_DEP_3) | instskip(NEXT) | instid1(VALU_DEP_3)
	v_add_co_u32 v6, vcc_lo, v7, v6
	v_add_co_ci_u32_e32 v7, vcc_lo, 0, v8, vcc_lo
	s_delay_alu instid0(VALU_DEP_2) | instskip(NEXT) | instid1(VALU_DEP_2)
	v_add_co_u32 v0, vcc_lo, v0, v6
	v_add_co_ci_u32_e32 v1, vcc_lo, v1, v7, vcc_lo
	s_delay_alu instid0(VALU_DEP_2) | instskip(SKIP_1) | instid1(VALU_DEP_3)
	v_mul_hi_u32 v6, s2, v0
	v_mul_lo_u32 v8, s7, v0
	v_mul_lo_u32 v7, s2, v1
	s_delay_alu instid0(VALU_DEP_1) | instskip(SKIP_1) | instid1(VALU_DEP_2)
	v_add_nc_u32_e32 v6, v6, v7
	v_mul_lo_u32 v7, s2, v0
	v_add_nc_u32_e32 v6, v6, v8
	s_delay_alu instid0(VALU_DEP_2) | instskip(NEXT) | instid1(VALU_DEP_2)
	v_mul_hi_u32 v8, v0, v7
	v_mul_lo_u32 v9, v0, v6
	v_mul_hi_u32 v10, v0, v6
	v_mul_hi_u32 v12, v1, v7
	v_mul_lo_u32 v7, v1, v7
	v_mul_hi_u32 v13, v1, v6
	v_mul_lo_u32 v6, v1, v6
	v_add_co_u32 v8, vcc_lo, v8, v9
	v_add_co_ci_u32_e32 v9, vcc_lo, 0, v10, vcc_lo
	s_delay_alu instid0(VALU_DEP_2) | instskip(NEXT) | instid1(VALU_DEP_2)
	v_add_co_u32 v7, vcc_lo, v8, v7
	v_add_co_ci_u32_e32 v7, vcc_lo, v9, v12, vcc_lo
	v_add_co_ci_u32_e32 v8, vcc_lo, 0, v13, vcc_lo
	v_add_co_u32 v9, vcc_lo, v4, v11
	v_add_co_ci_u32_e32 v10, vcc_lo, v5, v11, vcc_lo
	s_delay_alu instid0(VALU_DEP_4) | instskip(NEXT) | instid1(VALU_DEP_4)
	v_add_co_u32 v6, vcc_lo, v7, v6
	v_add_co_ci_u32_e32 v7, vcc_lo, 0, v8, vcc_lo
	s_delay_alu instid0(VALU_DEP_4) | instskip(NEXT) | instid1(VALU_DEP_3)
	v_xor_b32_e32 v12, v9, v11
	v_add_co_u32 v8, vcc_lo, v0, v6
	s_delay_alu instid0(VALU_DEP_3) | instskip(SKIP_1) | instid1(VALU_DEP_3)
	v_add_co_ci_u32_e32 v13, vcc_lo, v1, v7, vcc_lo
	v_xor_b32_e32 v10, v10, v11
	v_mul_hi_u32 v14, v12, v8
	s_delay_alu instid0(VALU_DEP_3) | instskip(NEXT) | instid1(VALU_DEP_3)
	v_mad_u64_u32 v[0:1], null, v12, v13, 0
	v_mad_u64_u32 v[6:7], null, v10, v8, 0
	;; [unrolled: 1-line block ×3, first 2 shown]
	s_delay_alu instid0(VALU_DEP_3) | instskip(NEXT) | instid1(VALU_DEP_4)
	v_add_co_u32 v0, vcc_lo, v14, v0
	v_add_co_ci_u32_e32 v1, vcc_lo, 0, v1, vcc_lo
	s_delay_alu instid0(VALU_DEP_2) | instskip(NEXT) | instid1(VALU_DEP_2)
	v_add_co_u32 v0, vcc_lo, v0, v6
	v_add_co_ci_u32_e32 v0, vcc_lo, v1, v7, vcc_lo
	v_add_co_ci_u32_e32 v1, vcc_lo, 0, v9, vcc_lo
	s_delay_alu instid0(VALU_DEP_2) | instskip(NEXT) | instid1(VALU_DEP_2)
	v_add_co_u32 v6, vcc_lo, v0, v8
	v_add_co_ci_u32_e32 v7, vcc_lo, 0, v1, vcc_lo
	s_delay_alu instid0(VALU_DEP_2) | instskip(SKIP_1) | instid1(VALU_DEP_3)
	v_mul_lo_u32 v8, s5, v6
	v_mad_u64_u32 v[0:1], null, s4, v6, 0
	v_mul_lo_u32 v6, s4, v7
	s_delay_alu instid0(VALU_DEP_2) | instskip(NEXT) | instid1(VALU_DEP_2)
	v_sub_co_u32 v0, vcc_lo, v12, v0
	v_add3_u32 v1, v1, v6, v8
	s_delay_alu instid0(VALU_DEP_1) | instskip(NEXT) | instid1(VALU_DEP_1)
	v_sub_nc_u32_e32 v6, v10, v1
	v_subrev_co_ci_u32_e64 v6, s2, s5, v6, vcc_lo
	v_sub_co_ci_u32_e32 v1, vcc_lo, v10, v1, vcc_lo
	v_sub_co_u32 v7, vcc_lo, v0, s4
	s_delay_alu instid0(VALU_DEP_1) | instskip(SKIP_3) | instid1(VALU_DEP_3)
	v_subrev_co_ci_u32_e64 v8, s2, 0, v6, vcc_lo
	v_cmp_le_u32_e64 s2, s4, v0
	v_subrev_co_ci_u32_e32 v6, vcc_lo, s5, v6, vcc_lo
	v_cmp_le_u32_e32 vcc_lo, s5, v1
	v_cndmask_b32_e64 v9, 0, -1, s2
	v_cmp_le_u32_e64 s2, s4, v7
	v_cndmask_b32_e64 v13, 0, -1, vcc_lo
	v_cmp_eq_u32_e32 vcc_lo, s5, v8
	s_delay_alu instid0(VALU_DEP_3) | instskip(SKIP_1) | instid1(VALU_DEP_1)
	v_cndmask_b32_e64 v10, 0, -1, s2
	v_cmp_le_u32_e64 s2, s5, v8
	v_cndmask_b32_e64 v12, 0, -1, s2
	v_cmp_eq_u32_e64 s2, s5, v1
	s_delay_alu instid0(VALU_DEP_2) | instskip(SKIP_2) | instid1(VALU_DEP_3)
	v_cndmask_b32_e32 v10, v12, v10, vcc_lo
	v_sub_co_u32 v12, vcc_lo, v7, s4
	v_subrev_co_ci_u32_e32 v6, vcc_lo, 0, v6, vcc_lo
	v_cmp_ne_u32_e32 vcc_lo, 0, v10
	v_cndmask_b32_e64 v9, v13, v9, s2
	s_delay_alu instid0(VALU_DEP_3) | instskip(NEXT) | instid1(VALU_DEP_2)
	v_dual_cndmask_b32 v6, v8, v6 :: v_dual_cndmask_b32 v7, v7, v12
	v_cmp_ne_u32_e32 vcc_lo, 0, v9
	s_delay_alu instid0(VALU_DEP_2) | instskip(NEXT) | instid1(VALU_DEP_1)
	v_dual_cndmask_b32 v0, v0, v7 :: v_dual_cndmask_b32 v1, v1, v6
	v_xor_b32_e32 v0, v0, v11
	s_delay_alu instid0(VALU_DEP_2) | instskip(NEXT) | instid1(VALU_DEP_2)
	v_xor_b32_e32 v1, v1, v11
	v_sub_co_u32 v0, vcc_lo, v0, v11
	s_delay_alu instid0(VALU_DEP_2)
	v_sub_co_ci_u32_e32 v1, vcc_lo, v1, v11, vcc_lo
.LBB66_7:
	s_or_saveexec_b32 s2, s6
	s_clause 0x1
	s_load_b64 s[12:13], s[0:1], 0xa8
	s_load_b256 s[4:11], s[0:1], 0x88
	s_xor_b32 exec_lo, exec_lo, s2
	s_cbranch_execz .LBB66_9
; %bb.8:
	v_cvt_f32_u32_e32 v0, s18
	s_sub_i32 s16, 0, s18
	s_delay_alu instid0(VALU_DEP_1) | instskip(SKIP_2) | instid1(VALU_DEP_1)
	v_rcp_iflag_f32_e32 v0, v0
	s_waitcnt_depctr 0xfff
	v_mul_f32_e32 v0, 0x4f7ffffe, v0
	v_cvt_u32_f32_e32 v0, v0
	s_delay_alu instid0(VALU_DEP_1) | instskip(NEXT) | instid1(VALU_DEP_1)
	v_mul_lo_u32 v1, s16, v0
	v_mul_hi_u32 v1, v0, v1
	s_delay_alu instid0(VALU_DEP_1) | instskip(NEXT) | instid1(VALU_DEP_1)
	v_add_nc_u32_e32 v0, v0, v1
	v_mul_hi_u32 v0, v4, v0
	s_delay_alu instid0(VALU_DEP_1) | instskip(NEXT) | instid1(VALU_DEP_1)
	v_mul_lo_u32 v0, v0, s18
	v_sub_nc_u32_e32 v0, v4, v0
	s_delay_alu instid0(VALU_DEP_1) | instskip(SKIP_1) | instid1(VALU_DEP_2)
	v_subrev_nc_u32_e32 v1, s18, v0
	v_cmp_le_u32_e32 vcc_lo, s18, v0
	v_cndmask_b32_e32 v0, v0, v1, vcc_lo
	s_delay_alu instid0(VALU_DEP_1) | instskip(SKIP_1) | instid1(VALU_DEP_2)
	v_subrev_nc_u32_e32 v1, s18, v0
	v_cmp_le_u32_e32 vcc_lo, s18, v0
	v_dual_cndmask_b32 v0, v0, v1 :: v_dual_mov_b32 v1, 0
.LBB66_9:
	s_or_b32 exec_lo, exec_lo, s2
	s_clause 0x1
	s_load_b64 s[44:45], s[0:1], 0x58
	s_load_b64 s[46:47], s[0:1], 0x0
	v_or_b32_e32 v7, s20, v3
	v_mov_b32_e32 v6, 0
	s_delay_alu instid0(VALU_DEP_1) | instskip(SKIP_1) | instid1(SALU_CYCLE_1)
	v_cmp_ne_u64_e32 vcc_lo, 0, v[6:7]
                                        ; implicit-def: $vgpr6_vgpr7
	s_and_saveexec_b32 s2, vcc_lo
	s_xor_b32 s21, exec_lo, s2
	s_cbranch_execz .LBB66_11
; %bb.10:
	s_ashr_i32 s16, s20, 31
	s_delay_alu instid0(SALU_CYCLE_1) | instskip(SKIP_2) | instid1(SALU_CYCLE_1)
	s_add_u32 s18, s3, s16
	s_mov_b32 s17, s16
	s_addc_u32 s19, s20, s16
	s_xor_b64 s[18:19], s[18:19], s[16:17]
	s_delay_alu instid0(SALU_CYCLE_1) | instskip(SKIP_3) | instid1(VALU_DEP_1)
	v_cvt_f32_u32_e32 v6, s18
	v_cvt_f32_u32_e32 v7, s19
	s_sub_u32 s2, 0, s18
	s_subb_u32 s17, 0, s19
	v_fmamk_f32 v6, v7, 0x4f800000, v6
	s_delay_alu instid0(VALU_DEP_1) | instskip(SKIP_2) | instid1(VALU_DEP_1)
	v_rcp_f32_e32 v6, v6
	s_waitcnt_depctr 0xfff
	v_mul_f32_e32 v6, 0x5f7ffffc, v6
	v_mul_f32_e32 v7, 0x2f800000, v6
	s_delay_alu instid0(VALU_DEP_1) | instskip(NEXT) | instid1(VALU_DEP_1)
	v_trunc_f32_e32 v7, v7
	v_fmamk_f32 v6, v7, 0xcf800000, v6
	v_cvt_u32_f32_e32 v7, v7
	s_delay_alu instid0(VALU_DEP_2) | instskip(NEXT) | instid1(VALU_DEP_2)
	v_cvt_u32_f32_e32 v6, v6
	v_mul_lo_u32 v8, s2, v7
	s_delay_alu instid0(VALU_DEP_2) | instskip(SKIP_1) | instid1(VALU_DEP_2)
	v_mul_hi_u32 v9, s2, v6
	v_mul_lo_u32 v10, s17, v6
	v_add_nc_u32_e32 v8, v9, v8
	v_mul_lo_u32 v9, s2, v6
	s_delay_alu instid0(VALU_DEP_2) | instskip(NEXT) | instid1(VALU_DEP_2)
	v_add_nc_u32_e32 v8, v8, v10
	v_mul_hi_u32 v10, v6, v9
	s_delay_alu instid0(VALU_DEP_2)
	v_mul_lo_u32 v11, v6, v8
	v_mul_hi_u32 v12, v6, v8
	v_mul_hi_u32 v13, v7, v9
	v_mul_lo_u32 v9, v7, v9
	v_mul_hi_u32 v14, v7, v8
	v_mul_lo_u32 v8, v7, v8
	v_add_co_u32 v10, vcc_lo, v10, v11
	v_add_co_ci_u32_e32 v11, vcc_lo, 0, v12, vcc_lo
	s_delay_alu instid0(VALU_DEP_2) | instskip(NEXT) | instid1(VALU_DEP_2)
	v_add_co_u32 v9, vcc_lo, v10, v9
	v_add_co_ci_u32_e32 v9, vcc_lo, v11, v13, vcc_lo
	v_add_co_ci_u32_e32 v10, vcc_lo, 0, v14, vcc_lo
	v_ashrrev_i32_e32 v13, 31, v3
	s_delay_alu instid0(VALU_DEP_3) | instskip(NEXT) | instid1(VALU_DEP_3)
	v_add_co_u32 v8, vcc_lo, v9, v8
	v_add_co_ci_u32_e32 v9, vcc_lo, 0, v10, vcc_lo
	s_delay_alu instid0(VALU_DEP_2) | instskip(NEXT) | instid1(VALU_DEP_2)
	v_add_co_u32 v6, vcc_lo, v6, v8
	v_add_co_ci_u32_e32 v7, vcc_lo, v7, v9, vcc_lo
	s_delay_alu instid0(VALU_DEP_2) | instskip(SKIP_1) | instid1(VALU_DEP_3)
	v_mul_hi_u32 v8, s2, v6
	v_mul_lo_u32 v10, s17, v6
	v_mul_lo_u32 v9, s2, v7
	s_delay_alu instid0(VALU_DEP_1) | instskip(SKIP_1) | instid1(VALU_DEP_2)
	v_add_nc_u32_e32 v8, v8, v9
	v_mul_lo_u32 v9, s2, v6
	v_add_nc_u32_e32 v8, v8, v10
	s_delay_alu instid0(VALU_DEP_2) | instskip(NEXT) | instid1(VALU_DEP_2)
	v_mul_hi_u32 v10, v6, v9
	v_mul_lo_u32 v11, v6, v8
	v_mul_hi_u32 v12, v6, v8
	v_mul_hi_u32 v14, v7, v9
	v_mul_lo_u32 v9, v7, v9
	v_mul_hi_u32 v15, v7, v8
	v_mul_lo_u32 v8, v7, v8
	v_add_co_u32 v10, vcc_lo, v10, v11
	v_add_co_ci_u32_e32 v11, vcc_lo, 0, v12, vcc_lo
	s_delay_alu instid0(VALU_DEP_2) | instskip(NEXT) | instid1(VALU_DEP_2)
	v_add_co_u32 v9, vcc_lo, v10, v9
	v_add_co_ci_u32_e32 v9, vcc_lo, v11, v14, vcc_lo
	v_add_co_ci_u32_e32 v10, vcc_lo, 0, v15, vcc_lo
	v_add_co_u32 v11, vcc_lo, v2, v13
	v_add_co_ci_u32_e32 v12, vcc_lo, v3, v13, vcc_lo
	s_delay_alu instid0(VALU_DEP_4) | instskip(NEXT) | instid1(VALU_DEP_4)
	v_add_co_u32 v8, vcc_lo, v9, v8
	v_add_co_ci_u32_e32 v9, vcc_lo, 0, v10, vcc_lo
	s_delay_alu instid0(VALU_DEP_4) | instskip(NEXT) | instid1(VALU_DEP_3)
	v_xor_b32_e32 v14, v11, v13
	v_add_co_u32 v10, vcc_lo, v6, v8
	s_delay_alu instid0(VALU_DEP_3) | instskip(SKIP_1) | instid1(VALU_DEP_3)
	v_add_co_ci_u32_e32 v15, vcc_lo, v7, v9, vcc_lo
	v_xor_b32_e32 v12, v12, v13
	v_mul_hi_u32 v16, v14, v10
	s_delay_alu instid0(VALU_DEP_3) | instskip(NEXT) | instid1(VALU_DEP_3)
	v_mad_u64_u32 v[6:7], null, v14, v15, 0
	v_mad_u64_u32 v[8:9], null, v12, v10, 0
	;; [unrolled: 1-line block ×3, first 2 shown]
	s_delay_alu instid0(VALU_DEP_3) | instskip(NEXT) | instid1(VALU_DEP_4)
	v_add_co_u32 v6, vcc_lo, v16, v6
	v_add_co_ci_u32_e32 v7, vcc_lo, 0, v7, vcc_lo
	s_delay_alu instid0(VALU_DEP_2) | instskip(NEXT) | instid1(VALU_DEP_2)
	v_add_co_u32 v6, vcc_lo, v6, v8
	v_add_co_ci_u32_e32 v6, vcc_lo, v7, v9, vcc_lo
	v_add_co_ci_u32_e32 v7, vcc_lo, 0, v11, vcc_lo
	s_delay_alu instid0(VALU_DEP_2) | instskip(NEXT) | instid1(VALU_DEP_2)
	v_add_co_u32 v8, vcc_lo, v6, v10
	v_add_co_ci_u32_e32 v9, vcc_lo, 0, v7, vcc_lo
	s_delay_alu instid0(VALU_DEP_2) | instskip(SKIP_1) | instid1(VALU_DEP_3)
	v_mul_lo_u32 v10, s19, v8
	v_mad_u64_u32 v[6:7], null, s18, v8, 0
	v_mul_lo_u32 v11, s18, v9
	s_delay_alu instid0(VALU_DEP_2) | instskip(NEXT) | instid1(VALU_DEP_2)
	v_sub_co_u32 v6, vcc_lo, v14, v6
	v_add3_u32 v7, v7, v11, v10
	s_delay_alu instid0(VALU_DEP_1) | instskip(NEXT) | instid1(VALU_DEP_1)
	v_sub_nc_u32_e32 v10, v12, v7
	v_subrev_co_ci_u32_e64 v10, s2, s19, v10, vcc_lo
	v_add_co_u32 v11, s2, v8, 2
	s_delay_alu instid0(VALU_DEP_1) | instskip(SKIP_3) | instid1(VALU_DEP_3)
	v_add_co_ci_u32_e64 v14, s2, 0, v9, s2
	v_sub_co_u32 v15, s2, v6, s18
	v_sub_co_ci_u32_e32 v7, vcc_lo, v12, v7, vcc_lo
	v_subrev_co_ci_u32_e64 v10, s2, 0, v10, s2
	v_cmp_le_u32_e32 vcc_lo, s18, v15
	s_delay_alu instid0(VALU_DEP_3) | instskip(SKIP_1) | instid1(VALU_DEP_4)
	v_cmp_eq_u32_e64 s2, s19, v7
	v_cndmask_b32_e64 v12, 0, -1, vcc_lo
	v_cmp_le_u32_e32 vcc_lo, s19, v10
	v_cndmask_b32_e64 v15, 0, -1, vcc_lo
	v_cmp_le_u32_e32 vcc_lo, s18, v6
	;; [unrolled: 2-line block ×3, first 2 shown]
	v_cndmask_b32_e64 v16, 0, -1, vcc_lo
	v_cmp_eq_u32_e32 vcc_lo, s19, v10
	s_delay_alu instid0(VALU_DEP_2) | instskip(SKIP_3) | instid1(VALU_DEP_3)
	v_cndmask_b32_e64 v6, v16, v6, s2
	v_cndmask_b32_e32 v10, v15, v12, vcc_lo
	v_add_co_u32 v12, vcc_lo, v8, 1
	v_add_co_ci_u32_e32 v15, vcc_lo, 0, v9, vcc_lo
	v_cmp_ne_u32_e32 vcc_lo, 0, v10
	s_delay_alu instid0(VALU_DEP_2) | instskip(SKIP_2) | instid1(VALU_DEP_3)
	v_dual_cndmask_b32 v7, v15, v14 :: v_dual_cndmask_b32 v10, v12, v11
	v_cmp_ne_u32_e32 vcc_lo, 0, v6
	v_xor_b32_e32 v11, s16, v13
	v_dual_cndmask_b32 v6, v9, v7 :: v_dual_cndmask_b32 v7, v8, v10
	s_delay_alu instid0(VALU_DEP_1) | instskip(NEXT) | instid1(VALU_DEP_2)
	v_xor_b32_e32 v8, v6, v11
	v_xor_b32_e32 v7, v7, v11
	s_delay_alu instid0(VALU_DEP_1) | instskip(NEXT) | instid1(VALU_DEP_3)
	v_sub_co_u32 v6, vcc_lo, v7, v11
	v_sub_co_ci_u32_e32 v7, vcc_lo, v8, v11, vcc_lo
.LBB66_11:
	s_or_saveexec_b32 s2, s21
	s_load_b512 s[16:31], s[0:1], 0x18
	s_xor_b32 exec_lo, exec_lo, s2
	s_cbranch_execz .LBB66_13
; %bb.12:
	v_cvt_f32_u32_e32 v6, s3
	s_sub_i32 s33, 0, s3
	s_delay_alu instid0(VALU_DEP_1) | instskip(SKIP_2) | instid1(VALU_DEP_1)
	v_rcp_iflag_f32_e32 v6, v6
	s_waitcnt_depctr 0xfff
	v_mul_f32_e32 v6, 0x4f7ffffe, v6
	v_cvt_u32_f32_e32 v6, v6
	s_delay_alu instid0(VALU_DEP_1) | instskip(NEXT) | instid1(VALU_DEP_1)
	v_mul_lo_u32 v7, s33, v6
	v_mul_hi_u32 v7, v6, v7
	s_delay_alu instid0(VALU_DEP_1) | instskip(NEXT) | instid1(VALU_DEP_1)
	v_add_nc_u32_e32 v6, v6, v7
	v_mul_hi_u32 v6, v2, v6
	s_delay_alu instid0(VALU_DEP_1) | instskip(SKIP_1) | instid1(VALU_DEP_2)
	v_mul_lo_u32 v7, v6, s3
	v_add_nc_u32_e32 v8, 1, v6
	v_sub_nc_u32_e32 v7, v2, v7
	s_delay_alu instid0(VALU_DEP_1) | instskip(SKIP_1) | instid1(VALU_DEP_2)
	v_subrev_nc_u32_e32 v9, s3, v7
	v_cmp_le_u32_e32 vcc_lo, s3, v7
	v_dual_cndmask_b32 v7, v7, v9 :: v_dual_cndmask_b32 v6, v6, v8
	s_delay_alu instid0(VALU_DEP_1) | instskip(NEXT) | instid1(VALU_DEP_2)
	v_cmp_le_u32_e32 vcc_lo, s3, v7
	v_dual_mov_b32 v7, 0 :: v_dual_add_nc_u32 v8, 1, v6
	s_delay_alu instid0(VALU_DEP_1)
	v_cndmask_b32_e32 v6, v6, v8, vcc_lo
.LBB66_13:
	s_or_b32 exec_lo, exec_lo, s2
	s_load_b256 s[36:43], s[0:1], 0xb0
	v_mul_lo_u32 v5, v5, s34
	v_mul_lo_u32 v10, v4, s35
	v_mad_u64_u32 v[8:9], null, v4, s34, 0
	s_load_b64 s[0:1], s[0:1], 0xd0
	s_delay_alu instid0(VALU_DEP_1) | instskip(NEXT) | instid1(VALU_DEP_2)
	v_add3_u32 v4, v9, v10, v5
	v_sub_co_u32 v10, vcc_lo, v2, v8
	s_delay_alu instid0(VALU_DEP_2)
	v_sub_co_ci_u32_e32 v11, vcc_lo, v3, v4, vcc_lo
	s_waitcnt lgkmcnt(0)
	s_sub_u32 s2, 0, s36
	s_subb_u32 s3, 0, s37
	s_sub_u32 s34, 0, s38
	v_cmp_gt_i64_e64 s50, s[2:3], 0
	s_subb_u32 s35, 0, s39
	v_cmp_gt_i64_e64 s33, s[36:37], 0
	s_sub_u32 s48, 0, s40
	s_subb_u32 s49, 0, s41
	v_cmp_gt_i64_e64 s54, s[34:35], 0
	v_cmp_gt_i64_e64 s52, s[38:39], 0
	;; [unrolled: 1-line block ×4, first 2 shown]
	s_and_b32 s50, s50, exec_lo
	s_cselect_b32 s56, s3, 0
	s_cselect_b32 s57, s2, 0
	s_and_b32 s2, s33, exec_lo
	s_cselect_b32 s51, s37, 0
	s_cselect_b32 s50, s36, 0
	;; [unrolled: 3-line block ×5, first 2 shown]
	s_and_b32 s2, s53, exec_lo
	v_sub_co_u32 v2, vcc_lo, v10, s36
	s_cselect_b32 s3, s41, 0
	s_cselect_b32 s2, s40, 0
	s_add_u32 s48, s20, s36
	v_subrev_co_ci_u32_e32 v3, vcc_lo, s37, v11, vcc_lo
	s_addc_u32 s49, s21, s37
	v_sub_co_u32 v4, vcc_lo, v10, s48
	v_subrev_co_ci_u32_e32 v5, vcc_lo, s49, v11, vcc_lo
	s_delay_alu instid0(VALU_DEP_3) | instskip(NEXT) | instid1(VALU_DEP_3)
	v_ashrrev_i32_e32 v8, 31, v3
	v_add_co_u32 v4, vcc_lo, v4, 1
	s_delay_alu instid0(VALU_DEP_3) | instskip(NEXT) | instid1(VALU_DEP_3)
	v_add_co_ci_u32_e32 v5, vcc_lo, 0, v5, vcc_lo
	v_xor_b32_e32 v2, v2, v8
	v_xor_b32_e32 v3, v3, v8
	s_lshl_b64 s[36:37], s[36:37], 1
	s_delay_alu instid0(VALU_DEP_3) | instskip(SKIP_3) | instid1(VALU_DEP_3)
	v_ashrrev_i32_e32 v9, 31, v5
	s_not_b64 s[48:49], s[50:51]
	v_sub_co_u32 v2, vcc_lo, v2, v8
	v_sub_co_ci_u32_e32 v3, vcc_lo, v3, v8, vcc_lo
	v_xor_b32_e32 v4, v4, v9
	v_xor_b32_e32 v5, v5, v9
	s_add_u32 s36, s36, s48
	s_addc_u32 s37, s37, s49
	s_add_u32 s36, s36, s57
	v_sub_co_u32 v4, vcc_lo, v4, v9
	v_sub_co_ci_u32_e32 v5, vcc_lo, v5, v9, vcc_lo
	s_addc_u32 s37, s37, s56
	s_delay_alu instid0(VALU_DEP_2) | instskip(NEXT) | instid1(VALU_DEP_2)
	v_add_co_u32 v4, vcc_lo, v10, v4
	v_add_co_ci_u32_e32 v5, vcc_lo, v11, v5, vcc_lo
	v_sub_co_u32 v8, vcc_lo, v0, s38
	s_add_u32 s20, s36, s20
	v_subrev_co_ci_u32_e32 v9, vcc_lo, s39, v1, vcc_lo
	s_addc_u32 s21, s37, s21
	v_sub_co_u32 v4, vcc_lo, s20, v4
	s_add_u32 s20, s18, s38
	v_sub_co_ci_u32_e32 v5, vcc_lo, s21, v5, vcc_lo
	s_addc_u32 s21, s19, s39
	v_sub_co_u32 v13, vcc_lo, v0, s20
	v_subrev_co_ci_u32_e32 v14, vcc_lo, s21, v1, vcc_lo
	v_ashrrev_i32_e32 v12, 31, v9
	s_delay_alu instid0(VALU_DEP_3) | instskip(NEXT) | instid1(VALU_DEP_3)
	v_add_co_u32 v13, vcc_lo, v13, 1
	v_add_co_ci_u32_e32 v14, vcc_lo, 0, v14, vcc_lo
	v_add_co_u32 v15, vcc_lo, v4, v2
	v_add_co_ci_u32_e32 v16, vcc_lo, v5, v3, vcc_lo
	s_delay_alu instid0(VALU_DEP_3)
	v_ashrrev_i32_e32 v3, 31, v14
	v_xor_b32_e32 v8, v8, v12
	v_xor_b32_e32 v2, v9, v12
	s_lshl_b64 s[20:21], s[38:39], 1
	s_not_b64 s[34:35], s[34:35]
	v_xor_b32_e32 v5, v13, v3
	v_sub_co_u32 v4, vcc_lo, v8, v12
	v_xor_b32_e32 v8, v14, v3
	v_sub_co_ci_u32_e32 v2, vcc_lo, v2, v12, vcc_lo
	s_delay_alu instid0(VALU_DEP_4) | instskip(NEXT) | instid1(VALU_DEP_3)
	v_sub_co_u32 v5, vcc_lo, v5, v3
	v_sub_co_ci_u32_e32 v3, vcc_lo, v8, v3, vcc_lo
	s_add_u32 s20, s20, s34
	s_delay_alu instid0(VALU_DEP_2)
	v_add_co_u32 v5, vcc_lo, v0, v5
	s_addc_u32 s21, s21, s35
	s_add_u32 s20, s20, s54
	v_add_co_ci_u32_e32 v3, vcc_lo, v1, v3, vcc_lo
	s_addc_u32 s21, s21, s33
	v_sub_co_u32 v8, vcc_lo, v6, s40
	s_add_u32 s18, s20, s18
	v_subrev_co_ci_u32_e32 v9, vcc_lo, s41, v7, vcc_lo
	s_addc_u32 s19, s21, s19
	v_sub_co_u32 v5, vcc_lo, s18, v5
	s_add_u32 s18, s16, s40
	v_sub_co_ci_u32_e32 v3, vcc_lo, s19, v3, vcc_lo
	s_addc_u32 s19, s17, s41
	v_sub_co_u32 v13, vcc_lo, v6, s18
	v_subrev_co_ci_u32_e32 v14, vcc_lo, s19, v7, vcc_lo
	v_ashrrev_i32_e32 v12, 31, v9
	s_delay_alu instid0(VALU_DEP_3) | instskip(NEXT) | instid1(VALU_DEP_3)
	v_add_co_u32 v13, vcc_lo, v13, 1
	v_add_co_ci_u32_e32 v14, vcc_lo, 0, v14, vcc_lo
	v_add_co_u32 v17, vcc_lo, v5, v4
	s_delay_alu instid0(VALU_DEP_4) | instskip(SKIP_1) | instid1(VALU_DEP_4)
	v_xor_b32_e32 v8, v8, v12
	v_add_co_ci_u32_e32 v4, vcc_lo, v3, v2, vcc_lo
	v_ashrrev_i32_e32 v3, 31, v14
	v_xor_b32_e32 v2, v9, v12
	s_delay_alu instid0(VALU_DEP_4) | instskip(SKIP_1) | instid1(VALU_DEP_3)
	v_sub_co_u32 v5, vcc_lo, v8, v12
	s_lshl_b64 s[18:19], s[40:41], 1
	v_xor_b32_e32 v8, v13, v3
	v_xor_b32_e32 v9, v14, v3
	v_sub_co_ci_u32_e32 v2, vcc_lo, v2, v12, vcc_lo
	s_not_b64 s[2:3], s[2:3]
	s_delay_alu instid0(VALU_DEP_3) | instskip(NEXT) | instid1(VALU_DEP_3)
	v_sub_co_u32 v8, vcc_lo, v8, v3
	v_sub_co_ci_u32_e32 v3, vcc_lo, v9, v3, vcc_lo
	s_add_u32 s2, s18, s2
	s_addc_u32 s3, s19, s3
	s_delay_alu instid0(VALU_DEP_2)
	v_add_co_u32 v8, vcc_lo, v6, v8
	s_add_u32 s2, s2, s55
	s_addc_u32 s3, s3, s52
	v_add_co_ci_u32_e32 v3, vcc_lo, v7, v3, vcc_lo
	s_add_u32 s2, s2, s16
	s_addc_u32 s3, s3, s17
	v_sub_co_u32 v8, vcc_lo, s2, v8
	s_delay_alu instid0(VALU_DEP_2) | instskip(SKIP_1) | instid1(VALU_DEP_2)
	v_sub_co_ci_u32_e32 v3, vcc_lo, s3, v3, vcc_lo
	s_add_u32 s14, s14, s42
	v_add_co_u32 v5, vcc_lo, v8, v5
	s_delay_alu instid0(VALU_DEP_2)
	v_add_co_ci_u32_e32 v2, vcc_lo, v3, v2, vcc_lo
	s_addc_u32 s16, 0, s43
	s_add_u32 s15, s15, s0
	s_addc_u32 s17, 0, s1
	s_mul_hi_u32 s1, s22, s15
	s_mul_i32 s0, s22, s17
	v_mul_lo_u32 v8, v2, s26
	v_mul_lo_u32 v9, v5, s27
	v_mad_u64_u32 v[2:3], null, v5, s26, 0
	s_add_i32 s0, s1, s0
	s_mul_i32 s1, s23, s15
	v_mul_lo_u32 v12, v4, s28
	s_add_i32 s1, s0, s1
	s_mul_i32 s0, s22, s15
	v_mul_lo_u32 v13, v17, s29
	v_mad_u64_u32 v[4:5], null, v17, s28, 0
	s_lshl_b64 s[0:1], s[0:1], 1
	v_add3_u32 v3, v3, v9, v8
	s_add_u32 s2, s46, s0
	s_addc_u32 s3, s47, s1
	s_mul_i32 s0, s24, s16
	s_mul_hi_u32 s1, s24, s14
	v_mul_lo_u32 v14, v16, s30
	v_mul_lo_u32 v16, v15, s31
	v_mad_u64_u32 v[8:9], null, v15, s30, 0
	s_add_i32 s0, s1, s0
	s_mul_i32 s1, s25, s14
	v_add3_u32 v5, v5, v13, v12
	s_add_i32 s1, s0, s1
	s_mul_i32 s0, s24, s14
	v_lshlrev_b64 v[2:3], 1, v[2:3]
	s_lshl_b64 s[0:1], s[0:1], 1
	v_lshlrev_b64 v[4:5], 1, v[4:5]
	s_add_u32 s0, s2, s0
	v_add3_u32 v9, v9, v16, v14
	s_addc_u32 s1, s3, s1
	v_add_co_u32 v12, vcc_lo, s0, v2
	v_add_co_ci_u32_e32 v13, vcc_lo, s1, v3, vcc_lo
	s_delay_alu instid0(VALU_DEP_3) | instskip(NEXT) | instid1(VALU_DEP_3)
	v_lshlrev_b64 v[2:3], 1, v[8:9]
	v_add_co_u32 v4, vcc_lo, v12, v4
	s_delay_alu instid0(VALU_DEP_3) | instskip(SKIP_1) | instid1(VALU_DEP_2)
	v_add_co_ci_u32_e32 v5, vcc_lo, v13, v5, vcc_lo
	s_mul_i32 s0, s4, s17
	v_add_co_u32 v2, vcc_lo, v4, v2
	s_delay_alu instid0(VALU_DEP_2)
	v_add_co_ci_u32_e32 v3, vcc_lo, v5, v3, vcc_lo
	s_mul_hi_u32 s1, s4, s15
	v_mul_lo_u32 v7, v7, s8
	v_mul_lo_u32 v9, v6, s9
	global_load_u16 v8, v[2:3], off
	v_mad_u64_u32 v[2:3], null, v6, s8, 0
	s_add_i32 s0, s1, s0
	s_mul_i32 s1, s5, s15
	v_mul_lo_u32 v6, v1, s10
	s_add_i32 s1, s0, s1
	s_mul_i32 s0, s4, s15
	v_mul_lo_u32 v12, v0, s11
	v_mad_u64_u32 v[4:5], null, v0, s10, 0
	s_lshl_b64 s[0:1], s[0:1], 1
	v_add3_u32 v3, v3, v9, v7
	s_add_u32 s2, s44, s0
	s_addc_u32 s3, s45, s1
	s_mul_i32 s0, s6, s16
	s_mul_hi_u32 s1, s6, s14
	v_mul_lo_u32 v7, v11, s12
	v_mul_lo_u32 v9, v10, s13
	v_mad_u64_u32 v[0:1], null, v10, s12, 0
	s_add_i32 s0, s1, s0
	s_mul_i32 s1, s7, s14
	v_add3_u32 v5, v5, v12, v6
	s_add_i32 s1, s0, s1
	s_mul_i32 s0, s6, s14
	v_lshlrev_b64 v[2:3], 1, v[2:3]
	s_lshl_b64 s[0:1], s[0:1], 1
	v_lshlrev_b64 v[4:5], 1, v[4:5]
	s_add_u32 s0, s2, s0
	v_add3_u32 v1, v1, v9, v7
	s_addc_u32 s1, s3, s1
	v_add_co_u32 v2, vcc_lo, s0, v2
	v_add_co_ci_u32_e32 v3, vcc_lo, s1, v3, vcc_lo
	s_delay_alu instid0(VALU_DEP_3) | instskip(NEXT) | instid1(VALU_DEP_3)
	v_lshlrev_b64 v[0:1], 1, v[0:1]
	v_add_co_u32 v2, vcc_lo, v2, v4
	s_delay_alu instid0(VALU_DEP_3) | instskip(NEXT) | instid1(VALU_DEP_2)
	v_add_co_ci_u32_e32 v3, vcc_lo, v3, v5, vcc_lo
	v_add_co_u32 v0, vcc_lo, v2, v0
	s_delay_alu instid0(VALU_DEP_2)
	v_add_co_ci_u32_e32 v1, vcc_lo, v3, v1, vcc_lo
	s_waitcnt vmcnt(0)
	global_store_b16 v[0:1], v8, off
.LBB66_14:
	s_nop 0
	s_sendmsg sendmsg(MSG_DEALLOC_VGPRS)
	s_endpgm
	.section	.rodata,"a",@progbits
	.p2align	6, 0x0
	.amdhsa_kernel _ZN2at6native12_GLOBAL__N_127reflection_pad3d_out_kernelIN3c104HalfEEEvN5torch10headeronly6detail27GenericPackedTensorAccessorINS7_14TensorAccessorINS3_8ArrayRefIlEEKT_Lm4ENS6_16DefaultPtrTraitsElEENS_6detail16IndexBoundsCheckILm5ElEESD_Lm5ESE_lEENS8_INS9_ISB_SC_Lm4ESE_lEESI_SC_Lm5ESE_lEElllll
		.amdhsa_group_segment_fixed_size 0
		.amdhsa_private_segment_fixed_size 0
		.amdhsa_kernarg_size 472
		.amdhsa_user_sgpr_count 13
		.amdhsa_user_sgpr_dispatch_ptr 0
		.amdhsa_user_sgpr_queue_ptr 0
		.amdhsa_user_sgpr_kernarg_segment_ptr 1
		.amdhsa_user_sgpr_dispatch_id 0
		.amdhsa_user_sgpr_private_segment_size 0
		.amdhsa_wavefront_size32 1
		.amdhsa_uses_dynamic_stack 0
		.amdhsa_enable_private_segment 0
		.amdhsa_system_sgpr_workgroup_id_x 1
		.amdhsa_system_sgpr_workgroup_id_y 1
		.amdhsa_system_sgpr_workgroup_id_z 1
		.amdhsa_system_sgpr_workgroup_info 0
		.amdhsa_system_vgpr_workitem_id 0
		.amdhsa_next_free_vgpr 18
		.amdhsa_next_free_sgpr 58
		.amdhsa_reserve_vcc 1
		.amdhsa_float_round_mode_32 0
		.amdhsa_float_round_mode_16_64 0
		.amdhsa_float_denorm_mode_32 3
		.amdhsa_float_denorm_mode_16_64 3
		.amdhsa_dx10_clamp 1
		.amdhsa_ieee_mode 1
		.amdhsa_fp16_overflow 0
		.amdhsa_workgroup_processor_mode 1
		.amdhsa_memory_ordered 1
		.amdhsa_forward_progress 0
		.amdhsa_shared_vgpr_count 0
		.amdhsa_exception_fp_ieee_invalid_op 0
		.amdhsa_exception_fp_denorm_src 0
		.amdhsa_exception_fp_ieee_div_zero 0
		.amdhsa_exception_fp_ieee_overflow 0
		.amdhsa_exception_fp_ieee_underflow 0
		.amdhsa_exception_fp_ieee_inexact 0
		.amdhsa_exception_int_div_zero 0
	.end_amdhsa_kernel
	.section	.text._ZN2at6native12_GLOBAL__N_127reflection_pad3d_out_kernelIN3c104HalfEEEvN5torch10headeronly6detail27GenericPackedTensorAccessorINS7_14TensorAccessorINS3_8ArrayRefIlEEKT_Lm4ENS6_16DefaultPtrTraitsElEENS_6detail16IndexBoundsCheckILm5ElEESD_Lm5ESE_lEENS8_INS9_ISB_SC_Lm4ESE_lEESI_SC_Lm5ESE_lEElllll,"axG",@progbits,_ZN2at6native12_GLOBAL__N_127reflection_pad3d_out_kernelIN3c104HalfEEEvN5torch10headeronly6detail27GenericPackedTensorAccessorINS7_14TensorAccessorINS3_8ArrayRefIlEEKT_Lm4ENS6_16DefaultPtrTraitsElEENS_6detail16IndexBoundsCheckILm5ElEESD_Lm5ESE_lEENS8_INS9_ISB_SC_Lm4ESE_lEESI_SC_Lm5ESE_lEElllll,comdat
.Lfunc_end66:
	.size	_ZN2at6native12_GLOBAL__N_127reflection_pad3d_out_kernelIN3c104HalfEEEvN5torch10headeronly6detail27GenericPackedTensorAccessorINS7_14TensorAccessorINS3_8ArrayRefIlEEKT_Lm4ENS6_16DefaultPtrTraitsElEENS_6detail16IndexBoundsCheckILm5ElEESD_Lm5ESE_lEENS8_INS9_ISB_SC_Lm4ESE_lEESI_SC_Lm5ESE_lEElllll, .Lfunc_end66-_ZN2at6native12_GLOBAL__N_127reflection_pad3d_out_kernelIN3c104HalfEEEvN5torch10headeronly6detail27GenericPackedTensorAccessorINS7_14TensorAccessorINS3_8ArrayRefIlEEKT_Lm4ENS6_16DefaultPtrTraitsElEENS_6detail16IndexBoundsCheckILm5ElEESD_Lm5ESE_lEENS8_INS9_ISB_SC_Lm4ESE_lEESI_SC_Lm5ESE_lEElllll
                                        ; -- End function
	.section	.AMDGPU.csdata,"",@progbits
; Kernel info:
; codeLenInByte = 4444
; NumSgprs: 60
; NumVgprs: 18
; ScratchSize: 0
; MemoryBound: 0
; FloatMode: 240
; IeeeMode: 1
; LDSByteSize: 0 bytes/workgroup (compile time only)
; SGPRBlocks: 7
; VGPRBlocks: 2
; NumSGPRsForWavesPerEU: 60
; NumVGPRsForWavesPerEU: 18
; Occupancy: 16
; WaveLimiterHint : 0
; COMPUTE_PGM_RSRC2:SCRATCH_EN: 0
; COMPUTE_PGM_RSRC2:USER_SGPR: 13
; COMPUTE_PGM_RSRC2:TRAP_HANDLER: 0
; COMPUTE_PGM_RSRC2:TGID_X_EN: 1
; COMPUTE_PGM_RSRC2:TGID_Y_EN: 1
; COMPUTE_PGM_RSRC2:TGID_Z_EN: 1
; COMPUTE_PGM_RSRC2:TIDIG_COMP_CNT: 0
	.section	.text._ZN2at6native12_GLOBAL__N_127reflection_pad3d_out_kernelIN3c108BFloat16EEEvN5torch10headeronly6detail27GenericPackedTensorAccessorINS7_14TensorAccessorINS3_8ArrayRefIlEEKT_Lm4ENS6_16DefaultPtrTraitsElEENS_6detail16IndexBoundsCheckILm5ElEESD_Lm5ESE_lEENS8_INS9_ISB_SC_Lm4ESE_lEESI_SC_Lm5ESE_lEElllll,"axG",@progbits,_ZN2at6native12_GLOBAL__N_127reflection_pad3d_out_kernelIN3c108BFloat16EEEvN5torch10headeronly6detail27GenericPackedTensorAccessorINS7_14TensorAccessorINS3_8ArrayRefIlEEKT_Lm4ENS6_16DefaultPtrTraitsElEENS_6detail16IndexBoundsCheckILm5ElEESD_Lm5ESE_lEENS8_INS9_ISB_SC_Lm4ESE_lEESI_SC_Lm5ESE_lEElllll,comdat
	.globl	_ZN2at6native12_GLOBAL__N_127reflection_pad3d_out_kernelIN3c108BFloat16EEEvN5torch10headeronly6detail27GenericPackedTensorAccessorINS7_14TensorAccessorINS3_8ArrayRefIlEEKT_Lm4ENS6_16DefaultPtrTraitsElEENS_6detail16IndexBoundsCheckILm5ElEESD_Lm5ESE_lEENS8_INS9_ISB_SC_Lm4ESE_lEESI_SC_Lm5ESE_lEElllll ; -- Begin function _ZN2at6native12_GLOBAL__N_127reflection_pad3d_out_kernelIN3c108BFloat16EEEvN5torch10headeronly6detail27GenericPackedTensorAccessorINS7_14TensorAccessorINS3_8ArrayRefIlEEKT_Lm4ENS6_16DefaultPtrTraitsElEENS_6detail16IndexBoundsCheckILm5ElEESD_Lm5ESE_lEENS8_INS9_ISB_SC_Lm4ESE_lEESI_SC_Lm5ESE_lEElllll
	.p2align	8
	.type	_ZN2at6native12_GLOBAL__N_127reflection_pad3d_out_kernelIN3c108BFloat16EEEvN5torch10headeronly6detail27GenericPackedTensorAccessorINS7_14TensorAccessorINS3_8ArrayRefIlEEKT_Lm4ENS6_16DefaultPtrTraitsElEENS_6detail16IndexBoundsCheckILm5ElEESD_Lm5ESE_lEENS8_INS9_ISB_SC_Lm4ESE_lEESI_SC_Lm5ESE_lEElllll,@function
_ZN2at6native12_GLOBAL__N_127reflection_pad3d_out_kernelIN3c108BFloat16EEEvN5torch10headeronly6detail27GenericPackedTensorAccessorINS7_14TensorAccessorINS3_8ArrayRefIlEEKT_Lm4ENS6_16DefaultPtrTraitsElEENS_6detail16IndexBoundsCheckILm5ElEESD_Lm5ESE_lEENS8_INS9_ISB_SC_Lm4ESE_lEESI_SC_Lm5ESE_lEElllll: ; @_ZN2at6native12_GLOBAL__N_127reflection_pad3d_out_kernelIN3c108BFloat16EEEvN5torch10headeronly6detail27GenericPackedTensorAccessorINS7_14TensorAccessorINS3_8ArrayRefIlEEKT_Lm4ENS6_16DefaultPtrTraitsElEENS_6detail16IndexBoundsCheckILm5ElEESD_Lm5ESE_lEENS8_INS9_ISB_SC_Lm4ESE_lEESI_SC_Lm5ESE_lEElllll
; %bb.0:
	s_clause 0x2
	s_load_b32 s2, s[0:1], 0xe4
	s_load_b128 s[16:19], s[0:1], 0x70
	s_load_b64 s[34:35], s[0:1], 0x80
	v_mov_b32_e32 v4, 0
	s_delay_alu instid0(VALU_DEP_1)
	v_mov_b32_e32 v1, v4
	s_waitcnt lgkmcnt(0)
	s_and_b32 s2, s2, 0xffff
	s_mul_i32 s4, s34, s19
	s_mul_hi_u32 s5, s34, s18
	s_mul_i32 s6, s35, s18
	s_mul_i32 s3, s34, s18
	v_mad_u64_u32 v[2:3], null, s2, s13, v[0:1]
	s_add_i32 s20, s5, s4
	s_mul_i32 s2, s3, s17
	s_mul_hi_u32 s4, s3, s16
	s_add_i32 s20, s20, s6
	s_add_i32 s2, s4, s2
	s_mul_i32 s4, s20, s16
	s_delay_alu instid0(SALU_CYCLE_1)
	s_add_i32 s5, s2, s4
	s_mul_i32 s4, s3, s16
	s_mov_b32 s2, exec_lo
	v_cmpx_gt_i64_e64 s[4:5], v[2:3]
	s_cbranch_execz .LBB67_14
; %bb.1:
	v_or_b32_e32 v5, s35, v3
	s_delay_alu instid0(VALU_DEP_1) | instskip(SKIP_1) | instid1(SALU_CYCLE_1)
	v_cmp_ne_u64_e32 vcc_lo, 0, v[4:5]
                                        ; implicit-def: $vgpr4_vgpr5
	s_and_saveexec_b32 s2, vcc_lo
	s_xor_b32 s8, exec_lo, s2
	s_cbranch_execz .LBB67_3
; %bb.2:
	s_ashr_i32 s4, s35, 31
	s_delay_alu instid0(SALU_CYCLE_1) | instskip(SKIP_2) | instid1(SALU_CYCLE_1)
	s_add_u32 s6, s34, s4
	s_mov_b32 s5, s4
	s_addc_u32 s7, s35, s4
	s_xor_b64 s[6:7], s[6:7], s[4:5]
	s_delay_alu instid0(SALU_CYCLE_1) | instskip(SKIP_3) | instid1(VALU_DEP_1)
	v_cvt_f32_u32_e32 v0, s6
	v_cvt_f32_u32_e32 v1, s7
	s_sub_u32 s2, 0, s6
	s_subb_u32 s5, 0, s7
	v_fmamk_f32 v0, v1, 0x4f800000, v0
	s_delay_alu instid0(VALU_DEP_1) | instskip(SKIP_2) | instid1(VALU_DEP_1)
	v_rcp_f32_e32 v0, v0
	s_waitcnt_depctr 0xfff
	v_mul_f32_e32 v0, 0x5f7ffffc, v0
	v_mul_f32_e32 v1, 0x2f800000, v0
	s_delay_alu instid0(VALU_DEP_1) | instskip(NEXT) | instid1(VALU_DEP_1)
	v_trunc_f32_e32 v1, v1
	v_fmamk_f32 v0, v1, 0xcf800000, v0
	v_cvt_u32_f32_e32 v1, v1
	s_delay_alu instid0(VALU_DEP_2) | instskip(NEXT) | instid1(VALU_DEP_2)
	v_cvt_u32_f32_e32 v0, v0
	v_mul_lo_u32 v4, s2, v1
	s_delay_alu instid0(VALU_DEP_2) | instskip(SKIP_1) | instid1(VALU_DEP_2)
	v_mul_hi_u32 v5, s2, v0
	v_mul_lo_u32 v6, s5, v0
	v_add_nc_u32_e32 v4, v5, v4
	v_mul_lo_u32 v5, s2, v0
	s_delay_alu instid0(VALU_DEP_2) | instskip(NEXT) | instid1(VALU_DEP_2)
	v_add_nc_u32_e32 v4, v4, v6
	v_mul_hi_u32 v6, v0, v5
	s_delay_alu instid0(VALU_DEP_2)
	v_mul_lo_u32 v7, v0, v4
	v_mul_hi_u32 v8, v0, v4
	v_mul_hi_u32 v9, v1, v5
	v_mul_lo_u32 v5, v1, v5
	v_mul_hi_u32 v10, v1, v4
	v_mul_lo_u32 v4, v1, v4
	v_add_co_u32 v6, vcc_lo, v6, v7
	v_add_co_ci_u32_e32 v7, vcc_lo, 0, v8, vcc_lo
	s_delay_alu instid0(VALU_DEP_2) | instskip(NEXT) | instid1(VALU_DEP_2)
	v_add_co_u32 v5, vcc_lo, v6, v5
	v_add_co_ci_u32_e32 v5, vcc_lo, v7, v9, vcc_lo
	v_add_co_ci_u32_e32 v6, vcc_lo, 0, v10, vcc_lo
	v_ashrrev_i32_e32 v9, 31, v3
	s_delay_alu instid0(VALU_DEP_3) | instskip(NEXT) | instid1(VALU_DEP_3)
	v_add_co_u32 v4, vcc_lo, v5, v4
	v_add_co_ci_u32_e32 v5, vcc_lo, 0, v6, vcc_lo
	s_delay_alu instid0(VALU_DEP_2) | instskip(NEXT) | instid1(VALU_DEP_2)
	v_add_co_u32 v0, vcc_lo, v0, v4
	v_add_co_ci_u32_e32 v1, vcc_lo, v1, v5, vcc_lo
	s_delay_alu instid0(VALU_DEP_2) | instskip(SKIP_1) | instid1(VALU_DEP_3)
	v_mul_hi_u32 v4, s2, v0
	v_mul_lo_u32 v6, s5, v0
	v_mul_lo_u32 v5, s2, v1
	s_delay_alu instid0(VALU_DEP_1) | instskip(SKIP_1) | instid1(VALU_DEP_2)
	v_add_nc_u32_e32 v4, v4, v5
	v_mul_lo_u32 v5, s2, v0
	v_add_nc_u32_e32 v4, v4, v6
	s_delay_alu instid0(VALU_DEP_2) | instskip(NEXT) | instid1(VALU_DEP_2)
	v_mul_hi_u32 v6, v0, v5
	v_mul_lo_u32 v7, v0, v4
	v_mul_hi_u32 v8, v0, v4
	v_mul_hi_u32 v10, v1, v5
	v_mul_lo_u32 v5, v1, v5
	v_mul_hi_u32 v11, v1, v4
	v_mul_lo_u32 v4, v1, v4
	v_add_co_u32 v6, vcc_lo, v6, v7
	v_add_co_ci_u32_e32 v7, vcc_lo, 0, v8, vcc_lo
	s_delay_alu instid0(VALU_DEP_2) | instskip(NEXT) | instid1(VALU_DEP_2)
	v_add_co_u32 v5, vcc_lo, v6, v5
	v_add_co_ci_u32_e32 v5, vcc_lo, v7, v10, vcc_lo
	v_add_co_ci_u32_e32 v6, vcc_lo, 0, v11, vcc_lo
	v_add_co_u32 v7, vcc_lo, v2, v9
	v_add_co_ci_u32_e32 v8, vcc_lo, v3, v9, vcc_lo
	s_delay_alu instid0(VALU_DEP_4) | instskip(NEXT) | instid1(VALU_DEP_4)
	v_add_co_u32 v4, vcc_lo, v5, v4
	v_add_co_ci_u32_e32 v5, vcc_lo, 0, v6, vcc_lo
	s_delay_alu instid0(VALU_DEP_4) | instskip(NEXT) | instid1(VALU_DEP_3)
	v_xor_b32_e32 v10, v7, v9
	v_add_co_u32 v6, vcc_lo, v0, v4
	s_delay_alu instid0(VALU_DEP_3) | instskip(SKIP_1) | instid1(VALU_DEP_3)
	v_add_co_ci_u32_e32 v11, vcc_lo, v1, v5, vcc_lo
	v_xor_b32_e32 v8, v8, v9
	v_mul_hi_u32 v12, v10, v6
	s_delay_alu instid0(VALU_DEP_3) | instskip(NEXT) | instid1(VALU_DEP_3)
	v_mad_u64_u32 v[0:1], null, v10, v11, 0
	v_mad_u64_u32 v[4:5], null, v8, v6, 0
	;; [unrolled: 1-line block ×3, first 2 shown]
	s_delay_alu instid0(VALU_DEP_3) | instskip(NEXT) | instid1(VALU_DEP_4)
	v_add_co_u32 v0, vcc_lo, v12, v0
	v_add_co_ci_u32_e32 v1, vcc_lo, 0, v1, vcc_lo
	s_delay_alu instid0(VALU_DEP_2) | instskip(NEXT) | instid1(VALU_DEP_2)
	v_add_co_u32 v0, vcc_lo, v0, v4
	v_add_co_ci_u32_e32 v0, vcc_lo, v1, v5, vcc_lo
	v_add_co_ci_u32_e32 v1, vcc_lo, 0, v7, vcc_lo
	s_delay_alu instid0(VALU_DEP_2) | instskip(NEXT) | instid1(VALU_DEP_2)
	v_add_co_u32 v4, vcc_lo, v0, v6
	v_add_co_ci_u32_e32 v5, vcc_lo, 0, v1, vcc_lo
	s_delay_alu instid0(VALU_DEP_2) | instskip(SKIP_1) | instid1(VALU_DEP_3)
	v_mul_lo_u32 v6, s7, v4
	v_mad_u64_u32 v[0:1], null, s6, v4, 0
	v_mul_lo_u32 v7, s6, v5
	s_delay_alu instid0(VALU_DEP_2) | instskip(NEXT) | instid1(VALU_DEP_2)
	v_sub_co_u32 v0, vcc_lo, v10, v0
	v_add3_u32 v1, v1, v7, v6
	s_delay_alu instid0(VALU_DEP_1) | instskip(NEXT) | instid1(VALU_DEP_1)
	v_sub_nc_u32_e32 v6, v8, v1
	v_subrev_co_ci_u32_e64 v6, s2, s7, v6, vcc_lo
	v_add_co_u32 v7, s2, v4, 2
	s_delay_alu instid0(VALU_DEP_1) | instskip(SKIP_3) | instid1(VALU_DEP_3)
	v_add_co_ci_u32_e64 v10, s2, 0, v5, s2
	v_sub_co_u32 v11, s2, v0, s6
	v_sub_co_ci_u32_e32 v1, vcc_lo, v8, v1, vcc_lo
	v_subrev_co_ci_u32_e64 v6, s2, 0, v6, s2
	v_cmp_le_u32_e32 vcc_lo, s6, v11
	s_delay_alu instid0(VALU_DEP_3) | instskip(SKIP_1) | instid1(VALU_DEP_4)
	v_cmp_eq_u32_e64 s2, s7, v1
	v_cndmask_b32_e64 v8, 0, -1, vcc_lo
	v_cmp_le_u32_e32 vcc_lo, s7, v6
	v_cndmask_b32_e64 v11, 0, -1, vcc_lo
	v_cmp_le_u32_e32 vcc_lo, s6, v0
	;; [unrolled: 2-line block ×3, first 2 shown]
	v_cndmask_b32_e64 v12, 0, -1, vcc_lo
	v_cmp_eq_u32_e32 vcc_lo, s7, v6
	s_delay_alu instid0(VALU_DEP_2) | instskip(SKIP_3) | instid1(VALU_DEP_3)
	v_cndmask_b32_e64 v0, v12, v0, s2
	v_cndmask_b32_e32 v6, v11, v8, vcc_lo
	v_add_co_u32 v8, vcc_lo, v4, 1
	v_add_co_ci_u32_e32 v11, vcc_lo, 0, v5, vcc_lo
	v_cmp_ne_u32_e32 vcc_lo, 0, v6
	s_delay_alu instid0(VALU_DEP_2) | instskip(SKIP_2) | instid1(VALU_DEP_3)
	v_dual_cndmask_b32 v1, v11, v10 :: v_dual_cndmask_b32 v6, v8, v7
	v_cmp_ne_u32_e32 vcc_lo, 0, v0
	v_xor_b32_e32 v0, s4, v9
	v_dual_cndmask_b32 v4, v4, v6 :: v_dual_cndmask_b32 v1, v5, v1
	s_delay_alu instid0(VALU_DEP_1) | instskip(NEXT) | instid1(VALU_DEP_2)
	v_xor_b32_e32 v4, v4, v0
	v_xor_b32_e32 v1, v1, v0
	s_delay_alu instid0(VALU_DEP_2) | instskip(NEXT) | instid1(VALU_DEP_2)
	v_sub_co_u32 v4, vcc_lo, v4, v0
	v_sub_co_ci_u32_e32 v5, vcc_lo, v1, v0, vcc_lo
.LBB67_3:
	s_and_not1_saveexec_b32 s2, s8
	s_cbranch_execz .LBB67_5
; %bb.4:
	v_cvt_f32_u32_e32 v0, s34
	s_sub_i32 s4, 0, s34
	s_delay_alu instid0(VALU_DEP_1) | instskip(SKIP_2) | instid1(VALU_DEP_1)
	v_rcp_iflag_f32_e32 v0, v0
	s_waitcnt_depctr 0xfff
	v_mul_f32_e32 v0, 0x4f7ffffe, v0
	v_cvt_u32_f32_e32 v0, v0
	s_delay_alu instid0(VALU_DEP_1) | instskip(NEXT) | instid1(VALU_DEP_1)
	v_mul_lo_u32 v1, s4, v0
	v_mul_hi_u32 v1, v0, v1
	s_delay_alu instid0(VALU_DEP_1) | instskip(NEXT) | instid1(VALU_DEP_1)
	v_add_nc_u32_e32 v0, v0, v1
	v_mul_hi_u32 v0, v2, v0
	s_delay_alu instid0(VALU_DEP_1) | instskip(SKIP_1) | instid1(VALU_DEP_2)
	v_mul_lo_u32 v1, v0, s34
	v_add_nc_u32_e32 v4, 1, v0
	v_sub_nc_u32_e32 v1, v2, v1
	s_delay_alu instid0(VALU_DEP_1) | instskip(SKIP_1) | instid1(VALU_DEP_2)
	v_subrev_nc_u32_e32 v5, s34, v1
	v_cmp_le_u32_e32 vcc_lo, s34, v1
	v_cndmask_b32_e32 v1, v1, v5, vcc_lo
	v_dual_mov_b32 v5, 0 :: v_dual_cndmask_b32 v0, v0, v4
	s_delay_alu instid0(VALU_DEP_2) | instskip(NEXT) | instid1(VALU_DEP_2)
	v_cmp_le_u32_e32 vcc_lo, s34, v1
	v_add_nc_u32_e32 v4, 1, v0
	s_delay_alu instid0(VALU_DEP_1)
	v_cndmask_b32_e32 v4, v0, v4, vcc_lo
.LBB67_5:
	s_or_b32 exec_lo, exec_lo, s2
	s_delay_alu instid0(VALU_DEP_1) | instskip(SKIP_1) | instid1(VALU_DEP_1)
	v_or_b32_e32 v1, s19, v5
	v_mov_b32_e32 v0, 0
	v_cmp_ne_u64_e32 vcc_lo, 0, v[0:1]
                                        ; implicit-def: $vgpr0_vgpr1
	s_and_saveexec_b32 s2, vcc_lo
	s_delay_alu instid0(SALU_CYCLE_1)
	s_xor_b32 s6, exec_lo, s2
	s_cbranch_execz .LBB67_7
; %bb.6:
	s_ashr_i32 s4, s19, 31
	s_delay_alu instid0(SALU_CYCLE_1) | instskip(SKIP_2) | instid1(SALU_CYCLE_1)
	s_add_u32 s8, s18, s4
	s_mov_b32 s5, s4
	s_addc_u32 s9, s19, s4
	s_xor_b64 s[4:5], s[8:9], s[4:5]
	s_delay_alu instid0(SALU_CYCLE_1) | instskip(SKIP_3) | instid1(VALU_DEP_1)
	v_cvt_f32_u32_e32 v0, s4
	v_cvt_f32_u32_e32 v1, s5
	s_sub_u32 s2, 0, s4
	s_subb_u32 s7, 0, s5
	v_fmamk_f32 v0, v1, 0x4f800000, v0
	s_delay_alu instid0(VALU_DEP_1) | instskip(SKIP_2) | instid1(VALU_DEP_1)
	v_rcp_f32_e32 v0, v0
	s_waitcnt_depctr 0xfff
	v_mul_f32_e32 v0, 0x5f7ffffc, v0
	v_mul_f32_e32 v1, 0x2f800000, v0
	s_delay_alu instid0(VALU_DEP_1) | instskip(NEXT) | instid1(VALU_DEP_1)
	v_trunc_f32_e32 v1, v1
	v_fmamk_f32 v0, v1, 0xcf800000, v0
	v_cvt_u32_f32_e32 v1, v1
	s_delay_alu instid0(VALU_DEP_2) | instskip(NEXT) | instid1(VALU_DEP_2)
	v_cvt_u32_f32_e32 v0, v0
	v_mul_lo_u32 v6, s2, v1
	s_delay_alu instid0(VALU_DEP_2) | instskip(SKIP_1) | instid1(VALU_DEP_2)
	v_mul_hi_u32 v7, s2, v0
	v_mul_lo_u32 v8, s7, v0
	v_add_nc_u32_e32 v6, v7, v6
	v_mul_lo_u32 v7, s2, v0
	s_delay_alu instid0(VALU_DEP_2) | instskip(NEXT) | instid1(VALU_DEP_2)
	v_add_nc_u32_e32 v6, v6, v8
	v_mul_hi_u32 v8, v0, v7
	s_delay_alu instid0(VALU_DEP_2)
	v_mul_lo_u32 v9, v0, v6
	v_mul_hi_u32 v10, v0, v6
	v_mul_hi_u32 v11, v1, v7
	v_mul_lo_u32 v7, v1, v7
	v_mul_hi_u32 v12, v1, v6
	v_mul_lo_u32 v6, v1, v6
	v_add_co_u32 v8, vcc_lo, v8, v9
	v_add_co_ci_u32_e32 v9, vcc_lo, 0, v10, vcc_lo
	s_delay_alu instid0(VALU_DEP_2) | instskip(NEXT) | instid1(VALU_DEP_2)
	v_add_co_u32 v7, vcc_lo, v8, v7
	v_add_co_ci_u32_e32 v7, vcc_lo, v9, v11, vcc_lo
	v_add_co_ci_u32_e32 v8, vcc_lo, 0, v12, vcc_lo
	v_ashrrev_i32_e32 v11, 31, v5
	s_delay_alu instid0(VALU_DEP_3) | instskip(NEXT) | instid1(VALU_DEP_3)
	v_add_co_u32 v6, vcc_lo, v7, v6
	v_add_co_ci_u32_e32 v7, vcc_lo, 0, v8, vcc_lo
	s_delay_alu instid0(VALU_DEP_2) | instskip(NEXT) | instid1(VALU_DEP_2)
	v_add_co_u32 v0, vcc_lo, v0, v6
	v_add_co_ci_u32_e32 v1, vcc_lo, v1, v7, vcc_lo
	s_delay_alu instid0(VALU_DEP_2) | instskip(SKIP_1) | instid1(VALU_DEP_3)
	v_mul_hi_u32 v6, s2, v0
	v_mul_lo_u32 v8, s7, v0
	v_mul_lo_u32 v7, s2, v1
	s_delay_alu instid0(VALU_DEP_1) | instskip(SKIP_1) | instid1(VALU_DEP_2)
	v_add_nc_u32_e32 v6, v6, v7
	v_mul_lo_u32 v7, s2, v0
	v_add_nc_u32_e32 v6, v6, v8
	s_delay_alu instid0(VALU_DEP_2) | instskip(NEXT) | instid1(VALU_DEP_2)
	v_mul_hi_u32 v8, v0, v7
	v_mul_lo_u32 v9, v0, v6
	v_mul_hi_u32 v10, v0, v6
	v_mul_hi_u32 v12, v1, v7
	v_mul_lo_u32 v7, v1, v7
	v_mul_hi_u32 v13, v1, v6
	v_mul_lo_u32 v6, v1, v6
	v_add_co_u32 v8, vcc_lo, v8, v9
	v_add_co_ci_u32_e32 v9, vcc_lo, 0, v10, vcc_lo
	s_delay_alu instid0(VALU_DEP_2) | instskip(NEXT) | instid1(VALU_DEP_2)
	v_add_co_u32 v7, vcc_lo, v8, v7
	v_add_co_ci_u32_e32 v7, vcc_lo, v9, v12, vcc_lo
	v_add_co_ci_u32_e32 v8, vcc_lo, 0, v13, vcc_lo
	v_add_co_u32 v9, vcc_lo, v4, v11
	v_add_co_ci_u32_e32 v10, vcc_lo, v5, v11, vcc_lo
	s_delay_alu instid0(VALU_DEP_4) | instskip(NEXT) | instid1(VALU_DEP_4)
	v_add_co_u32 v6, vcc_lo, v7, v6
	v_add_co_ci_u32_e32 v7, vcc_lo, 0, v8, vcc_lo
	s_delay_alu instid0(VALU_DEP_4) | instskip(NEXT) | instid1(VALU_DEP_3)
	v_xor_b32_e32 v12, v9, v11
	v_add_co_u32 v8, vcc_lo, v0, v6
	s_delay_alu instid0(VALU_DEP_3) | instskip(SKIP_1) | instid1(VALU_DEP_3)
	v_add_co_ci_u32_e32 v13, vcc_lo, v1, v7, vcc_lo
	v_xor_b32_e32 v10, v10, v11
	v_mul_hi_u32 v14, v12, v8
	s_delay_alu instid0(VALU_DEP_3) | instskip(NEXT) | instid1(VALU_DEP_3)
	v_mad_u64_u32 v[0:1], null, v12, v13, 0
	v_mad_u64_u32 v[6:7], null, v10, v8, 0
	;; [unrolled: 1-line block ×3, first 2 shown]
	s_delay_alu instid0(VALU_DEP_3) | instskip(NEXT) | instid1(VALU_DEP_4)
	v_add_co_u32 v0, vcc_lo, v14, v0
	v_add_co_ci_u32_e32 v1, vcc_lo, 0, v1, vcc_lo
	s_delay_alu instid0(VALU_DEP_2) | instskip(NEXT) | instid1(VALU_DEP_2)
	v_add_co_u32 v0, vcc_lo, v0, v6
	v_add_co_ci_u32_e32 v0, vcc_lo, v1, v7, vcc_lo
	v_add_co_ci_u32_e32 v1, vcc_lo, 0, v9, vcc_lo
	s_delay_alu instid0(VALU_DEP_2) | instskip(NEXT) | instid1(VALU_DEP_2)
	v_add_co_u32 v6, vcc_lo, v0, v8
	v_add_co_ci_u32_e32 v7, vcc_lo, 0, v1, vcc_lo
	s_delay_alu instid0(VALU_DEP_2) | instskip(SKIP_1) | instid1(VALU_DEP_3)
	v_mul_lo_u32 v8, s5, v6
	v_mad_u64_u32 v[0:1], null, s4, v6, 0
	v_mul_lo_u32 v6, s4, v7
	s_delay_alu instid0(VALU_DEP_2) | instskip(NEXT) | instid1(VALU_DEP_2)
	v_sub_co_u32 v0, vcc_lo, v12, v0
	v_add3_u32 v1, v1, v6, v8
	s_delay_alu instid0(VALU_DEP_1) | instskip(NEXT) | instid1(VALU_DEP_1)
	v_sub_nc_u32_e32 v6, v10, v1
	v_subrev_co_ci_u32_e64 v6, s2, s5, v6, vcc_lo
	v_sub_co_ci_u32_e32 v1, vcc_lo, v10, v1, vcc_lo
	v_sub_co_u32 v7, vcc_lo, v0, s4
	s_delay_alu instid0(VALU_DEP_1) | instskip(SKIP_3) | instid1(VALU_DEP_3)
	v_subrev_co_ci_u32_e64 v8, s2, 0, v6, vcc_lo
	v_cmp_le_u32_e64 s2, s4, v0
	v_subrev_co_ci_u32_e32 v6, vcc_lo, s5, v6, vcc_lo
	v_cmp_le_u32_e32 vcc_lo, s5, v1
	v_cndmask_b32_e64 v9, 0, -1, s2
	v_cmp_le_u32_e64 s2, s4, v7
	v_cndmask_b32_e64 v13, 0, -1, vcc_lo
	v_cmp_eq_u32_e32 vcc_lo, s5, v8
	s_delay_alu instid0(VALU_DEP_3) | instskip(SKIP_1) | instid1(VALU_DEP_1)
	v_cndmask_b32_e64 v10, 0, -1, s2
	v_cmp_le_u32_e64 s2, s5, v8
	v_cndmask_b32_e64 v12, 0, -1, s2
	v_cmp_eq_u32_e64 s2, s5, v1
	s_delay_alu instid0(VALU_DEP_2) | instskip(SKIP_2) | instid1(VALU_DEP_3)
	v_cndmask_b32_e32 v10, v12, v10, vcc_lo
	v_sub_co_u32 v12, vcc_lo, v7, s4
	v_subrev_co_ci_u32_e32 v6, vcc_lo, 0, v6, vcc_lo
	v_cmp_ne_u32_e32 vcc_lo, 0, v10
	v_cndmask_b32_e64 v9, v13, v9, s2
	s_delay_alu instid0(VALU_DEP_3) | instskip(NEXT) | instid1(VALU_DEP_2)
	v_dual_cndmask_b32 v6, v8, v6 :: v_dual_cndmask_b32 v7, v7, v12
	v_cmp_ne_u32_e32 vcc_lo, 0, v9
	s_delay_alu instid0(VALU_DEP_2) | instskip(NEXT) | instid1(VALU_DEP_1)
	v_dual_cndmask_b32 v0, v0, v7 :: v_dual_cndmask_b32 v1, v1, v6
	v_xor_b32_e32 v0, v0, v11
	s_delay_alu instid0(VALU_DEP_2) | instskip(NEXT) | instid1(VALU_DEP_2)
	v_xor_b32_e32 v1, v1, v11
	v_sub_co_u32 v0, vcc_lo, v0, v11
	s_delay_alu instid0(VALU_DEP_2)
	v_sub_co_ci_u32_e32 v1, vcc_lo, v1, v11, vcc_lo
.LBB67_7:
	s_or_saveexec_b32 s2, s6
	s_clause 0x1
	s_load_b64 s[12:13], s[0:1], 0xa8
	s_load_b256 s[4:11], s[0:1], 0x88
	s_xor_b32 exec_lo, exec_lo, s2
	s_cbranch_execz .LBB67_9
; %bb.8:
	v_cvt_f32_u32_e32 v0, s18
	s_sub_i32 s16, 0, s18
	s_delay_alu instid0(VALU_DEP_1) | instskip(SKIP_2) | instid1(VALU_DEP_1)
	v_rcp_iflag_f32_e32 v0, v0
	s_waitcnt_depctr 0xfff
	v_mul_f32_e32 v0, 0x4f7ffffe, v0
	v_cvt_u32_f32_e32 v0, v0
	s_delay_alu instid0(VALU_DEP_1) | instskip(NEXT) | instid1(VALU_DEP_1)
	v_mul_lo_u32 v1, s16, v0
	v_mul_hi_u32 v1, v0, v1
	s_delay_alu instid0(VALU_DEP_1) | instskip(NEXT) | instid1(VALU_DEP_1)
	v_add_nc_u32_e32 v0, v0, v1
	v_mul_hi_u32 v0, v4, v0
	s_delay_alu instid0(VALU_DEP_1) | instskip(NEXT) | instid1(VALU_DEP_1)
	v_mul_lo_u32 v0, v0, s18
	v_sub_nc_u32_e32 v0, v4, v0
	s_delay_alu instid0(VALU_DEP_1) | instskip(SKIP_1) | instid1(VALU_DEP_2)
	v_subrev_nc_u32_e32 v1, s18, v0
	v_cmp_le_u32_e32 vcc_lo, s18, v0
	v_cndmask_b32_e32 v0, v0, v1, vcc_lo
	s_delay_alu instid0(VALU_DEP_1) | instskip(SKIP_1) | instid1(VALU_DEP_2)
	v_subrev_nc_u32_e32 v1, s18, v0
	v_cmp_le_u32_e32 vcc_lo, s18, v0
	v_dual_cndmask_b32 v0, v0, v1 :: v_dual_mov_b32 v1, 0
.LBB67_9:
	s_or_b32 exec_lo, exec_lo, s2
	s_clause 0x1
	s_load_b64 s[44:45], s[0:1], 0x58
	s_load_b64 s[46:47], s[0:1], 0x0
	v_or_b32_e32 v7, s20, v3
	v_mov_b32_e32 v6, 0
	s_delay_alu instid0(VALU_DEP_1) | instskip(SKIP_1) | instid1(SALU_CYCLE_1)
	v_cmp_ne_u64_e32 vcc_lo, 0, v[6:7]
                                        ; implicit-def: $vgpr6_vgpr7
	s_and_saveexec_b32 s2, vcc_lo
	s_xor_b32 s21, exec_lo, s2
	s_cbranch_execz .LBB67_11
; %bb.10:
	s_ashr_i32 s16, s20, 31
	s_delay_alu instid0(SALU_CYCLE_1) | instskip(SKIP_2) | instid1(SALU_CYCLE_1)
	s_add_u32 s18, s3, s16
	s_mov_b32 s17, s16
	s_addc_u32 s19, s20, s16
	s_xor_b64 s[18:19], s[18:19], s[16:17]
	s_delay_alu instid0(SALU_CYCLE_1) | instskip(SKIP_3) | instid1(VALU_DEP_1)
	v_cvt_f32_u32_e32 v6, s18
	v_cvt_f32_u32_e32 v7, s19
	s_sub_u32 s2, 0, s18
	s_subb_u32 s17, 0, s19
	v_fmamk_f32 v6, v7, 0x4f800000, v6
	s_delay_alu instid0(VALU_DEP_1) | instskip(SKIP_2) | instid1(VALU_DEP_1)
	v_rcp_f32_e32 v6, v6
	s_waitcnt_depctr 0xfff
	v_mul_f32_e32 v6, 0x5f7ffffc, v6
	v_mul_f32_e32 v7, 0x2f800000, v6
	s_delay_alu instid0(VALU_DEP_1) | instskip(NEXT) | instid1(VALU_DEP_1)
	v_trunc_f32_e32 v7, v7
	v_fmamk_f32 v6, v7, 0xcf800000, v6
	v_cvt_u32_f32_e32 v7, v7
	s_delay_alu instid0(VALU_DEP_2) | instskip(NEXT) | instid1(VALU_DEP_2)
	v_cvt_u32_f32_e32 v6, v6
	v_mul_lo_u32 v8, s2, v7
	s_delay_alu instid0(VALU_DEP_2) | instskip(SKIP_1) | instid1(VALU_DEP_2)
	v_mul_hi_u32 v9, s2, v6
	v_mul_lo_u32 v10, s17, v6
	v_add_nc_u32_e32 v8, v9, v8
	v_mul_lo_u32 v9, s2, v6
	s_delay_alu instid0(VALU_DEP_2) | instskip(NEXT) | instid1(VALU_DEP_2)
	v_add_nc_u32_e32 v8, v8, v10
	v_mul_hi_u32 v10, v6, v9
	s_delay_alu instid0(VALU_DEP_2)
	v_mul_lo_u32 v11, v6, v8
	v_mul_hi_u32 v12, v6, v8
	v_mul_hi_u32 v13, v7, v9
	v_mul_lo_u32 v9, v7, v9
	v_mul_hi_u32 v14, v7, v8
	v_mul_lo_u32 v8, v7, v8
	v_add_co_u32 v10, vcc_lo, v10, v11
	v_add_co_ci_u32_e32 v11, vcc_lo, 0, v12, vcc_lo
	s_delay_alu instid0(VALU_DEP_2) | instskip(NEXT) | instid1(VALU_DEP_2)
	v_add_co_u32 v9, vcc_lo, v10, v9
	v_add_co_ci_u32_e32 v9, vcc_lo, v11, v13, vcc_lo
	v_add_co_ci_u32_e32 v10, vcc_lo, 0, v14, vcc_lo
	v_ashrrev_i32_e32 v13, 31, v3
	s_delay_alu instid0(VALU_DEP_3) | instskip(NEXT) | instid1(VALU_DEP_3)
	v_add_co_u32 v8, vcc_lo, v9, v8
	v_add_co_ci_u32_e32 v9, vcc_lo, 0, v10, vcc_lo
	s_delay_alu instid0(VALU_DEP_2) | instskip(NEXT) | instid1(VALU_DEP_2)
	v_add_co_u32 v6, vcc_lo, v6, v8
	v_add_co_ci_u32_e32 v7, vcc_lo, v7, v9, vcc_lo
	s_delay_alu instid0(VALU_DEP_2) | instskip(SKIP_1) | instid1(VALU_DEP_3)
	v_mul_hi_u32 v8, s2, v6
	v_mul_lo_u32 v10, s17, v6
	v_mul_lo_u32 v9, s2, v7
	s_delay_alu instid0(VALU_DEP_1) | instskip(SKIP_1) | instid1(VALU_DEP_2)
	v_add_nc_u32_e32 v8, v8, v9
	v_mul_lo_u32 v9, s2, v6
	v_add_nc_u32_e32 v8, v8, v10
	s_delay_alu instid0(VALU_DEP_2) | instskip(NEXT) | instid1(VALU_DEP_2)
	v_mul_hi_u32 v10, v6, v9
	v_mul_lo_u32 v11, v6, v8
	v_mul_hi_u32 v12, v6, v8
	v_mul_hi_u32 v14, v7, v9
	v_mul_lo_u32 v9, v7, v9
	v_mul_hi_u32 v15, v7, v8
	v_mul_lo_u32 v8, v7, v8
	v_add_co_u32 v10, vcc_lo, v10, v11
	v_add_co_ci_u32_e32 v11, vcc_lo, 0, v12, vcc_lo
	s_delay_alu instid0(VALU_DEP_2) | instskip(NEXT) | instid1(VALU_DEP_2)
	v_add_co_u32 v9, vcc_lo, v10, v9
	v_add_co_ci_u32_e32 v9, vcc_lo, v11, v14, vcc_lo
	v_add_co_ci_u32_e32 v10, vcc_lo, 0, v15, vcc_lo
	v_add_co_u32 v11, vcc_lo, v2, v13
	v_add_co_ci_u32_e32 v12, vcc_lo, v3, v13, vcc_lo
	s_delay_alu instid0(VALU_DEP_4) | instskip(NEXT) | instid1(VALU_DEP_4)
	v_add_co_u32 v8, vcc_lo, v9, v8
	v_add_co_ci_u32_e32 v9, vcc_lo, 0, v10, vcc_lo
	s_delay_alu instid0(VALU_DEP_4) | instskip(NEXT) | instid1(VALU_DEP_3)
	v_xor_b32_e32 v14, v11, v13
	v_add_co_u32 v10, vcc_lo, v6, v8
	s_delay_alu instid0(VALU_DEP_3) | instskip(SKIP_1) | instid1(VALU_DEP_3)
	v_add_co_ci_u32_e32 v15, vcc_lo, v7, v9, vcc_lo
	v_xor_b32_e32 v12, v12, v13
	v_mul_hi_u32 v16, v14, v10
	s_delay_alu instid0(VALU_DEP_3) | instskip(NEXT) | instid1(VALU_DEP_3)
	v_mad_u64_u32 v[6:7], null, v14, v15, 0
	v_mad_u64_u32 v[8:9], null, v12, v10, 0
	;; [unrolled: 1-line block ×3, first 2 shown]
	s_delay_alu instid0(VALU_DEP_3) | instskip(NEXT) | instid1(VALU_DEP_4)
	v_add_co_u32 v6, vcc_lo, v16, v6
	v_add_co_ci_u32_e32 v7, vcc_lo, 0, v7, vcc_lo
	s_delay_alu instid0(VALU_DEP_2) | instskip(NEXT) | instid1(VALU_DEP_2)
	v_add_co_u32 v6, vcc_lo, v6, v8
	v_add_co_ci_u32_e32 v6, vcc_lo, v7, v9, vcc_lo
	v_add_co_ci_u32_e32 v7, vcc_lo, 0, v11, vcc_lo
	s_delay_alu instid0(VALU_DEP_2) | instskip(NEXT) | instid1(VALU_DEP_2)
	v_add_co_u32 v8, vcc_lo, v6, v10
	v_add_co_ci_u32_e32 v9, vcc_lo, 0, v7, vcc_lo
	s_delay_alu instid0(VALU_DEP_2) | instskip(SKIP_1) | instid1(VALU_DEP_3)
	v_mul_lo_u32 v10, s19, v8
	v_mad_u64_u32 v[6:7], null, s18, v8, 0
	v_mul_lo_u32 v11, s18, v9
	s_delay_alu instid0(VALU_DEP_2) | instskip(NEXT) | instid1(VALU_DEP_2)
	v_sub_co_u32 v6, vcc_lo, v14, v6
	v_add3_u32 v7, v7, v11, v10
	s_delay_alu instid0(VALU_DEP_1) | instskip(NEXT) | instid1(VALU_DEP_1)
	v_sub_nc_u32_e32 v10, v12, v7
	v_subrev_co_ci_u32_e64 v10, s2, s19, v10, vcc_lo
	v_add_co_u32 v11, s2, v8, 2
	s_delay_alu instid0(VALU_DEP_1) | instskip(SKIP_3) | instid1(VALU_DEP_3)
	v_add_co_ci_u32_e64 v14, s2, 0, v9, s2
	v_sub_co_u32 v15, s2, v6, s18
	v_sub_co_ci_u32_e32 v7, vcc_lo, v12, v7, vcc_lo
	v_subrev_co_ci_u32_e64 v10, s2, 0, v10, s2
	v_cmp_le_u32_e32 vcc_lo, s18, v15
	s_delay_alu instid0(VALU_DEP_3) | instskip(SKIP_1) | instid1(VALU_DEP_4)
	v_cmp_eq_u32_e64 s2, s19, v7
	v_cndmask_b32_e64 v12, 0, -1, vcc_lo
	v_cmp_le_u32_e32 vcc_lo, s19, v10
	v_cndmask_b32_e64 v15, 0, -1, vcc_lo
	v_cmp_le_u32_e32 vcc_lo, s18, v6
	;; [unrolled: 2-line block ×3, first 2 shown]
	v_cndmask_b32_e64 v16, 0, -1, vcc_lo
	v_cmp_eq_u32_e32 vcc_lo, s19, v10
	s_delay_alu instid0(VALU_DEP_2) | instskip(SKIP_3) | instid1(VALU_DEP_3)
	v_cndmask_b32_e64 v6, v16, v6, s2
	v_cndmask_b32_e32 v10, v15, v12, vcc_lo
	v_add_co_u32 v12, vcc_lo, v8, 1
	v_add_co_ci_u32_e32 v15, vcc_lo, 0, v9, vcc_lo
	v_cmp_ne_u32_e32 vcc_lo, 0, v10
	s_delay_alu instid0(VALU_DEP_2) | instskip(SKIP_2) | instid1(VALU_DEP_3)
	v_dual_cndmask_b32 v7, v15, v14 :: v_dual_cndmask_b32 v10, v12, v11
	v_cmp_ne_u32_e32 vcc_lo, 0, v6
	v_xor_b32_e32 v11, s16, v13
	v_dual_cndmask_b32 v6, v9, v7 :: v_dual_cndmask_b32 v7, v8, v10
	s_delay_alu instid0(VALU_DEP_1) | instskip(NEXT) | instid1(VALU_DEP_2)
	v_xor_b32_e32 v8, v6, v11
	v_xor_b32_e32 v7, v7, v11
	s_delay_alu instid0(VALU_DEP_1) | instskip(NEXT) | instid1(VALU_DEP_3)
	v_sub_co_u32 v6, vcc_lo, v7, v11
	v_sub_co_ci_u32_e32 v7, vcc_lo, v8, v11, vcc_lo
.LBB67_11:
	s_or_saveexec_b32 s2, s21
	s_load_b512 s[16:31], s[0:1], 0x18
	s_xor_b32 exec_lo, exec_lo, s2
	s_cbranch_execz .LBB67_13
; %bb.12:
	v_cvt_f32_u32_e32 v6, s3
	s_sub_i32 s33, 0, s3
	s_delay_alu instid0(VALU_DEP_1) | instskip(SKIP_2) | instid1(VALU_DEP_1)
	v_rcp_iflag_f32_e32 v6, v6
	s_waitcnt_depctr 0xfff
	v_mul_f32_e32 v6, 0x4f7ffffe, v6
	v_cvt_u32_f32_e32 v6, v6
	s_delay_alu instid0(VALU_DEP_1) | instskip(NEXT) | instid1(VALU_DEP_1)
	v_mul_lo_u32 v7, s33, v6
	v_mul_hi_u32 v7, v6, v7
	s_delay_alu instid0(VALU_DEP_1) | instskip(NEXT) | instid1(VALU_DEP_1)
	v_add_nc_u32_e32 v6, v6, v7
	v_mul_hi_u32 v6, v2, v6
	s_delay_alu instid0(VALU_DEP_1) | instskip(SKIP_1) | instid1(VALU_DEP_2)
	v_mul_lo_u32 v7, v6, s3
	v_add_nc_u32_e32 v8, 1, v6
	v_sub_nc_u32_e32 v7, v2, v7
	s_delay_alu instid0(VALU_DEP_1) | instskip(SKIP_1) | instid1(VALU_DEP_2)
	v_subrev_nc_u32_e32 v9, s3, v7
	v_cmp_le_u32_e32 vcc_lo, s3, v7
	v_dual_cndmask_b32 v7, v7, v9 :: v_dual_cndmask_b32 v6, v6, v8
	s_delay_alu instid0(VALU_DEP_1) | instskip(NEXT) | instid1(VALU_DEP_2)
	v_cmp_le_u32_e32 vcc_lo, s3, v7
	v_dual_mov_b32 v7, 0 :: v_dual_add_nc_u32 v8, 1, v6
	s_delay_alu instid0(VALU_DEP_1)
	v_cndmask_b32_e32 v6, v6, v8, vcc_lo
.LBB67_13:
	s_or_b32 exec_lo, exec_lo, s2
	s_load_b256 s[36:43], s[0:1], 0xb0
	v_mul_lo_u32 v5, v5, s34
	v_mul_lo_u32 v10, v4, s35
	v_mad_u64_u32 v[8:9], null, v4, s34, 0
	s_load_b64 s[0:1], s[0:1], 0xd0
	s_delay_alu instid0(VALU_DEP_1) | instskip(NEXT) | instid1(VALU_DEP_2)
	v_add3_u32 v4, v9, v10, v5
	v_sub_co_u32 v10, vcc_lo, v2, v8
	s_delay_alu instid0(VALU_DEP_2)
	v_sub_co_ci_u32_e32 v11, vcc_lo, v3, v4, vcc_lo
	s_waitcnt lgkmcnt(0)
	s_sub_u32 s2, 0, s36
	s_subb_u32 s3, 0, s37
	s_sub_u32 s34, 0, s38
	v_cmp_gt_i64_e64 s50, s[2:3], 0
	s_subb_u32 s35, 0, s39
	v_cmp_gt_i64_e64 s33, s[36:37], 0
	s_sub_u32 s48, 0, s40
	s_subb_u32 s49, 0, s41
	v_cmp_gt_i64_e64 s54, s[34:35], 0
	v_cmp_gt_i64_e64 s52, s[38:39], 0
	;; [unrolled: 1-line block ×4, first 2 shown]
	s_and_b32 s50, s50, exec_lo
	s_cselect_b32 s56, s3, 0
	s_cselect_b32 s57, s2, 0
	s_and_b32 s2, s33, exec_lo
	s_cselect_b32 s51, s37, 0
	s_cselect_b32 s50, s36, 0
	;; [unrolled: 3-line block ×5, first 2 shown]
	s_and_b32 s2, s53, exec_lo
	v_sub_co_u32 v2, vcc_lo, v10, s36
	s_cselect_b32 s3, s41, 0
	s_cselect_b32 s2, s40, 0
	s_add_u32 s48, s20, s36
	v_subrev_co_ci_u32_e32 v3, vcc_lo, s37, v11, vcc_lo
	s_addc_u32 s49, s21, s37
	v_sub_co_u32 v4, vcc_lo, v10, s48
	v_subrev_co_ci_u32_e32 v5, vcc_lo, s49, v11, vcc_lo
	s_delay_alu instid0(VALU_DEP_3) | instskip(NEXT) | instid1(VALU_DEP_3)
	v_ashrrev_i32_e32 v8, 31, v3
	v_add_co_u32 v4, vcc_lo, v4, 1
	s_delay_alu instid0(VALU_DEP_3) | instskip(NEXT) | instid1(VALU_DEP_3)
	v_add_co_ci_u32_e32 v5, vcc_lo, 0, v5, vcc_lo
	v_xor_b32_e32 v2, v2, v8
	v_xor_b32_e32 v3, v3, v8
	s_lshl_b64 s[36:37], s[36:37], 1
	s_delay_alu instid0(VALU_DEP_3) | instskip(SKIP_3) | instid1(VALU_DEP_3)
	v_ashrrev_i32_e32 v9, 31, v5
	s_not_b64 s[48:49], s[50:51]
	v_sub_co_u32 v2, vcc_lo, v2, v8
	v_sub_co_ci_u32_e32 v3, vcc_lo, v3, v8, vcc_lo
	v_xor_b32_e32 v4, v4, v9
	v_xor_b32_e32 v5, v5, v9
	s_add_u32 s36, s36, s48
	s_addc_u32 s37, s37, s49
	s_add_u32 s36, s36, s57
	v_sub_co_u32 v4, vcc_lo, v4, v9
	v_sub_co_ci_u32_e32 v5, vcc_lo, v5, v9, vcc_lo
	s_addc_u32 s37, s37, s56
	s_delay_alu instid0(VALU_DEP_2) | instskip(NEXT) | instid1(VALU_DEP_2)
	v_add_co_u32 v4, vcc_lo, v10, v4
	v_add_co_ci_u32_e32 v5, vcc_lo, v11, v5, vcc_lo
	v_sub_co_u32 v8, vcc_lo, v0, s38
	s_add_u32 s20, s36, s20
	v_subrev_co_ci_u32_e32 v9, vcc_lo, s39, v1, vcc_lo
	s_addc_u32 s21, s37, s21
	v_sub_co_u32 v4, vcc_lo, s20, v4
	s_add_u32 s20, s18, s38
	v_sub_co_ci_u32_e32 v5, vcc_lo, s21, v5, vcc_lo
	s_addc_u32 s21, s19, s39
	v_sub_co_u32 v13, vcc_lo, v0, s20
	v_subrev_co_ci_u32_e32 v14, vcc_lo, s21, v1, vcc_lo
	v_ashrrev_i32_e32 v12, 31, v9
	s_delay_alu instid0(VALU_DEP_3) | instskip(NEXT) | instid1(VALU_DEP_3)
	v_add_co_u32 v13, vcc_lo, v13, 1
	v_add_co_ci_u32_e32 v14, vcc_lo, 0, v14, vcc_lo
	v_add_co_u32 v15, vcc_lo, v4, v2
	v_add_co_ci_u32_e32 v16, vcc_lo, v5, v3, vcc_lo
	s_delay_alu instid0(VALU_DEP_3)
	v_ashrrev_i32_e32 v3, 31, v14
	v_xor_b32_e32 v8, v8, v12
	v_xor_b32_e32 v2, v9, v12
	s_lshl_b64 s[20:21], s[38:39], 1
	s_not_b64 s[34:35], s[34:35]
	v_xor_b32_e32 v5, v13, v3
	v_sub_co_u32 v4, vcc_lo, v8, v12
	v_xor_b32_e32 v8, v14, v3
	v_sub_co_ci_u32_e32 v2, vcc_lo, v2, v12, vcc_lo
	s_delay_alu instid0(VALU_DEP_4) | instskip(NEXT) | instid1(VALU_DEP_3)
	v_sub_co_u32 v5, vcc_lo, v5, v3
	v_sub_co_ci_u32_e32 v3, vcc_lo, v8, v3, vcc_lo
	s_add_u32 s20, s20, s34
	s_delay_alu instid0(VALU_DEP_2)
	v_add_co_u32 v5, vcc_lo, v0, v5
	s_addc_u32 s21, s21, s35
	s_add_u32 s20, s20, s54
	v_add_co_ci_u32_e32 v3, vcc_lo, v1, v3, vcc_lo
	s_addc_u32 s21, s21, s33
	v_sub_co_u32 v8, vcc_lo, v6, s40
	s_add_u32 s18, s20, s18
	v_subrev_co_ci_u32_e32 v9, vcc_lo, s41, v7, vcc_lo
	s_addc_u32 s19, s21, s19
	v_sub_co_u32 v5, vcc_lo, s18, v5
	s_add_u32 s18, s16, s40
	v_sub_co_ci_u32_e32 v3, vcc_lo, s19, v3, vcc_lo
	s_addc_u32 s19, s17, s41
	v_sub_co_u32 v13, vcc_lo, v6, s18
	v_subrev_co_ci_u32_e32 v14, vcc_lo, s19, v7, vcc_lo
	v_ashrrev_i32_e32 v12, 31, v9
	s_delay_alu instid0(VALU_DEP_3) | instskip(NEXT) | instid1(VALU_DEP_3)
	v_add_co_u32 v13, vcc_lo, v13, 1
	v_add_co_ci_u32_e32 v14, vcc_lo, 0, v14, vcc_lo
	v_add_co_u32 v17, vcc_lo, v5, v4
	s_delay_alu instid0(VALU_DEP_4) | instskip(SKIP_1) | instid1(VALU_DEP_4)
	v_xor_b32_e32 v8, v8, v12
	v_add_co_ci_u32_e32 v4, vcc_lo, v3, v2, vcc_lo
	v_ashrrev_i32_e32 v3, 31, v14
	v_xor_b32_e32 v2, v9, v12
	s_delay_alu instid0(VALU_DEP_4) | instskip(SKIP_1) | instid1(VALU_DEP_3)
	v_sub_co_u32 v5, vcc_lo, v8, v12
	s_lshl_b64 s[18:19], s[40:41], 1
	v_xor_b32_e32 v8, v13, v3
	v_xor_b32_e32 v9, v14, v3
	v_sub_co_ci_u32_e32 v2, vcc_lo, v2, v12, vcc_lo
	s_not_b64 s[2:3], s[2:3]
	s_delay_alu instid0(VALU_DEP_3) | instskip(NEXT) | instid1(VALU_DEP_3)
	v_sub_co_u32 v8, vcc_lo, v8, v3
	v_sub_co_ci_u32_e32 v3, vcc_lo, v9, v3, vcc_lo
	s_add_u32 s2, s18, s2
	s_addc_u32 s3, s19, s3
	s_delay_alu instid0(VALU_DEP_2)
	v_add_co_u32 v8, vcc_lo, v6, v8
	s_add_u32 s2, s2, s55
	s_addc_u32 s3, s3, s52
	v_add_co_ci_u32_e32 v3, vcc_lo, v7, v3, vcc_lo
	s_add_u32 s2, s2, s16
	s_addc_u32 s3, s3, s17
	v_sub_co_u32 v8, vcc_lo, s2, v8
	s_delay_alu instid0(VALU_DEP_2) | instskip(SKIP_1) | instid1(VALU_DEP_2)
	v_sub_co_ci_u32_e32 v3, vcc_lo, s3, v3, vcc_lo
	s_add_u32 s14, s14, s42
	v_add_co_u32 v5, vcc_lo, v8, v5
	s_delay_alu instid0(VALU_DEP_2)
	v_add_co_ci_u32_e32 v2, vcc_lo, v3, v2, vcc_lo
	s_addc_u32 s16, 0, s43
	s_add_u32 s15, s15, s0
	s_addc_u32 s17, 0, s1
	s_mul_hi_u32 s1, s22, s15
	s_mul_i32 s0, s22, s17
	v_mul_lo_u32 v8, v2, s26
	v_mul_lo_u32 v9, v5, s27
	v_mad_u64_u32 v[2:3], null, v5, s26, 0
	s_add_i32 s0, s1, s0
	s_mul_i32 s1, s23, s15
	v_mul_lo_u32 v12, v4, s28
	s_add_i32 s1, s0, s1
	s_mul_i32 s0, s22, s15
	v_mul_lo_u32 v13, v17, s29
	v_mad_u64_u32 v[4:5], null, v17, s28, 0
	s_lshl_b64 s[0:1], s[0:1], 1
	v_add3_u32 v3, v3, v9, v8
	s_add_u32 s2, s46, s0
	s_addc_u32 s3, s47, s1
	s_mul_i32 s0, s24, s16
	s_mul_hi_u32 s1, s24, s14
	v_mul_lo_u32 v14, v16, s30
	v_mul_lo_u32 v16, v15, s31
	v_mad_u64_u32 v[8:9], null, v15, s30, 0
	s_add_i32 s0, s1, s0
	s_mul_i32 s1, s25, s14
	v_add3_u32 v5, v5, v13, v12
	s_add_i32 s1, s0, s1
	s_mul_i32 s0, s24, s14
	v_lshlrev_b64 v[2:3], 1, v[2:3]
	s_lshl_b64 s[0:1], s[0:1], 1
	v_lshlrev_b64 v[4:5], 1, v[4:5]
	s_add_u32 s0, s2, s0
	v_add3_u32 v9, v9, v16, v14
	s_addc_u32 s1, s3, s1
	v_add_co_u32 v12, vcc_lo, s0, v2
	v_add_co_ci_u32_e32 v13, vcc_lo, s1, v3, vcc_lo
	s_delay_alu instid0(VALU_DEP_3) | instskip(NEXT) | instid1(VALU_DEP_3)
	v_lshlrev_b64 v[2:3], 1, v[8:9]
	v_add_co_u32 v4, vcc_lo, v12, v4
	s_delay_alu instid0(VALU_DEP_3) | instskip(SKIP_1) | instid1(VALU_DEP_2)
	v_add_co_ci_u32_e32 v5, vcc_lo, v13, v5, vcc_lo
	s_mul_i32 s0, s4, s17
	v_add_co_u32 v2, vcc_lo, v4, v2
	s_delay_alu instid0(VALU_DEP_2)
	v_add_co_ci_u32_e32 v3, vcc_lo, v5, v3, vcc_lo
	s_mul_hi_u32 s1, s4, s15
	v_mul_lo_u32 v7, v7, s8
	v_mul_lo_u32 v9, v6, s9
	global_load_u16 v8, v[2:3], off
	v_mad_u64_u32 v[2:3], null, v6, s8, 0
	s_add_i32 s0, s1, s0
	s_mul_i32 s1, s5, s15
	v_mul_lo_u32 v6, v1, s10
	s_add_i32 s1, s0, s1
	s_mul_i32 s0, s4, s15
	v_mul_lo_u32 v12, v0, s11
	v_mad_u64_u32 v[4:5], null, v0, s10, 0
	s_lshl_b64 s[0:1], s[0:1], 1
	v_add3_u32 v3, v3, v9, v7
	s_add_u32 s2, s44, s0
	s_addc_u32 s3, s45, s1
	s_mul_i32 s0, s6, s16
	s_mul_hi_u32 s1, s6, s14
	v_mul_lo_u32 v7, v11, s12
	v_mul_lo_u32 v9, v10, s13
	v_mad_u64_u32 v[0:1], null, v10, s12, 0
	s_add_i32 s0, s1, s0
	s_mul_i32 s1, s7, s14
	v_add3_u32 v5, v5, v12, v6
	s_add_i32 s1, s0, s1
	s_mul_i32 s0, s6, s14
	v_lshlrev_b64 v[2:3], 1, v[2:3]
	s_lshl_b64 s[0:1], s[0:1], 1
	v_lshlrev_b64 v[4:5], 1, v[4:5]
	s_add_u32 s0, s2, s0
	v_add3_u32 v1, v1, v9, v7
	s_addc_u32 s1, s3, s1
	v_add_co_u32 v2, vcc_lo, s0, v2
	v_add_co_ci_u32_e32 v3, vcc_lo, s1, v3, vcc_lo
	s_delay_alu instid0(VALU_DEP_3) | instskip(NEXT) | instid1(VALU_DEP_3)
	v_lshlrev_b64 v[0:1], 1, v[0:1]
	v_add_co_u32 v2, vcc_lo, v2, v4
	s_delay_alu instid0(VALU_DEP_3) | instskip(NEXT) | instid1(VALU_DEP_2)
	v_add_co_ci_u32_e32 v3, vcc_lo, v3, v5, vcc_lo
	v_add_co_u32 v0, vcc_lo, v2, v0
	s_delay_alu instid0(VALU_DEP_2)
	v_add_co_ci_u32_e32 v1, vcc_lo, v3, v1, vcc_lo
	s_waitcnt vmcnt(0)
	global_store_b16 v[0:1], v8, off
.LBB67_14:
	s_nop 0
	s_sendmsg sendmsg(MSG_DEALLOC_VGPRS)
	s_endpgm
	.section	.rodata,"a",@progbits
	.p2align	6, 0x0
	.amdhsa_kernel _ZN2at6native12_GLOBAL__N_127reflection_pad3d_out_kernelIN3c108BFloat16EEEvN5torch10headeronly6detail27GenericPackedTensorAccessorINS7_14TensorAccessorINS3_8ArrayRefIlEEKT_Lm4ENS6_16DefaultPtrTraitsElEENS_6detail16IndexBoundsCheckILm5ElEESD_Lm5ESE_lEENS8_INS9_ISB_SC_Lm4ESE_lEESI_SC_Lm5ESE_lEElllll
		.amdhsa_group_segment_fixed_size 0
		.amdhsa_private_segment_fixed_size 0
		.amdhsa_kernarg_size 472
		.amdhsa_user_sgpr_count 13
		.amdhsa_user_sgpr_dispatch_ptr 0
		.amdhsa_user_sgpr_queue_ptr 0
		.amdhsa_user_sgpr_kernarg_segment_ptr 1
		.amdhsa_user_sgpr_dispatch_id 0
		.amdhsa_user_sgpr_private_segment_size 0
		.amdhsa_wavefront_size32 1
		.amdhsa_uses_dynamic_stack 0
		.amdhsa_enable_private_segment 0
		.amdhsa_system_sgpr_workgroup_id_x 1
		.amdhsa_system_sgpr_workgroup_id_y 1
		.amdhsa_system_sgpr_workgroup_id_z 1
		.amdhsa_system_sgpr_workgroup_info 0
		.amdhsa_system_vgpr_workitem_id 0
		.amdhsa_next_free_vgpr 18
		.amdhsa_next_free_sgpr 58
		.amdhsa_reserve_vcc 1
		.amdhsa_float_round_mode_32 0
		.amdhsa_float_round_mode_16_64 0
		.amdhsa_float_denorm_mode_32 3
		.amdhsa_float_denorm_mode_16_64 3
		.amdhsa_dx10_clamp 1
		.amdhsa_ieee_mode 1
		.amdhsa_fp16_overflow 0
		.amdhsa_workgroup_processor_mode 1
		.amdhsa_memory_ordered 1
		.amdhsa_forward_progress 0
		.amdhsa_shared_vgpr_count 0
		.amdhsa_exception_fp_ieee_invalid_op 0
		.amdhsa_exception_fp_denorm_src 0
		.amdhsa_exception_fp_ieee_div_zero 0
		.amdhsa_exception_fp_ieee_overflow 0
		.amdhsa_exception_fp_ieee_underflow 0
		.amdhsa_exception_fp_ieee_inexact 0
		.amdhsa_exception_int_div_zero 0
	.end_amdhsa_kernel
	.section	.text._ZN2at6native12_GLOBAL__N_127reflection_pad3d_out_kernelIN3c108BFloat16EEEvN5torch10headeronly6detail27GenericPackedTensorAccessorINS7_14TensorAccessorINS3_8ArrayRefIlEEKT_Lm4ENS6_16DefaultPtrTraitsElEENS_6detail16IndexBoundsCheckILm5ElEESD_Lm5ESE_lEENS8_INS9_ISB_SC_Lm4ESE_lEESI_SC_Lm5ESE_lEElllll,"axG",@progbits,_ZN2at6native12_GLOBAL__N_127reflection_pad3d_out_kernelIN3c108BFloat16EEEvN5torch10headeronly6detail27GenericPackedTensorAccessorINS7_14TensorAccessorINS3_8ArrayRefIlEEKT_Lm4ENS6_16DefaultPtrTraitsElEENS_6detail16IndexBoundsCheckILm5ElEESD_Lm5ESE_lEENS8_INS9_ISB_SC_Lm4ESE_lEESI_SC_Lm5ESE_lEElllll,comdat
.Lfunc_end67:
	.size	_ZN2at6native12_GLOBAL__N_127reflection_pad3d_out_kernelIN3c108BFloat16EEEvN5torch10headeronly6detail27GenericPackedTensorAccessorINS7_14TensorAccessorINS3_8ArrayRefIlEEKT_Lm4ENS6_16DefaultPtrTraitsElEENS_6detail16IndexBoundsCheckILm5ElEESD_Lm5ESE_lEENS8_INS9_ISB_SC_Lm4ESE_lEESI_SC_Lm5ESE_lEElllll, .Lfunc_end67-_ZN2at6native12_GLOBAL__N_127reflection_pad3d_out_kernelIN3c108BFloat16EEEvN5torch10headeronly6detail27GenericPackedTensorAccessorINS7_14TensorAccessorINS3_8ArrayRefIlEEKT_Lm4ENS6_16DefaultPtrTraitsElEENS_6detail16IndexBoundsCheckILm5ElEESD_Lm5ESE_lEENS8_INS9_ISB_SC_Lm4ESE_lEESI_SC_Lm5ESE_lEElllll
                                        ; -- End function
	.section	.AMDGPU.csdata,"",@progbits
; Kernel info:
; codeLenInByte = 4444
; NumSgprs: 60
; NumVgprs: 18
; ScratchSize: 0
; MemoryBound: 0
; FloatMode: 240
; IeeeMode: 1
; LDSByteSize: 0 bytes/workgroup (compile time only)
; SGPRBlocks: 7
; VGPRBlocks: 2
; NumSGPRsForWavesPerEU: 60
; NumVGPRsForWavesPerEU: 18
; Occupancy: 16
; WaveLimiterHint : 0
; COMPUTE_PGM_RSRC2:SCRATCH_EN: 0
; COMPUTE_PGM_RSRC2:USER_SGPR: 13
; COMPUTE_PGM_RSRC2:TRAP_HANDLER: 0
; COMPUTE_PGM_RSRC2:TGID_X_EN: 1
; COMPUTE_PGM_RSRC2:TGID_Y_EN: 1
; COMPUTE_PGM_RSRC2:TGID_Z_EN: 1
; COMPUTE_PGM_RSRC2:TIDIG_COMP_CNT: 0
	.section	.text._ZN2at6native12_GLOBAL__N_136reflection_pad3d_backward_out_kernelIdEEvN5torch10headeronly6detail27GenericPackedTensorAccessorINS5_14TensorAccessorIN3c108ArrayRefIlEET_Lm4ENS4_16DefaultPtrTraitsElEENS_6detail16IndexBoundsCheckILm5ElEESB_Lm5ESC_lEENS6_INS7_ISA_KSB_Lm4ESC_lEESG_SI_Lm5ESC_lEElllll,"axG",@progbits,_ZN2at6native12_GLOBAL__N_136reflection_pad3d_backward_out_kernelIdEEvN5torch10headeronly6detail27GenericPackedTensorAccessorINS5_14TensorAccessorIN3c108ArrayRefIlEET_Lm4ENS4_16DefaultPtrTraitsElEENS_6detail16IndexBoundsCheckILm5ElEESB_Lm5ESC_lEENS6_INS7_ISA_KSB_Lm4ESC_lEESG_SI_Lm5ESC_lEElllll,comdat
	.globl	_ZN2at6native12_GLOBAL__N_136reflection_pad3d_backward_out_kernelIdEEvN5torch10headeronly6detail27GenericPackedTensorAccessorINS5_14TensorAccessorIN3c108ArrayRefIlEET_Lm4ENS4_16DefaultPtrTraitsElEENS_6detail16IndexBoundsCheckILm5ElEESB_Lm5ESC_lEENS6_INS7_ISA_KSB_Lm4ESC_lEESG_SI_Lm5ESC_lEElllll ; -- Begin function _ZN2at6native12_GLOBAL__N_136reflection_pad3d_backward_out_kernelIdEEvN5torch10headeronly6detail27GenericPackedTensorAccessorINS5_14TensorAccessorIN3c108ArrayRefIlEET_Lm4ENS4_16DefaultPtrTraitsElEENS_6detail16IndexBoundsCheckILm5ElEESB_Lm5ESC_lEENS6_INS7_ISA_KSB_Lm4ESC_lEESG_SI_Lm5ESC_lEElllll
	.p2align	8
	.type	_ZN2at6native12_GLOBAL__N_136reflection_pad3d_backward_out_kernelIdEEvN5torch10headeronly6detail27GenericPackedTensorAccessorINS5_14TensorAccessorIN3c108ArrayRefIlEET_Lm4ENS4_16DefaultPtrTraitsElEENS_6detail16IndexBoundsCheckILm5ElEESB_Lm5ESC_lEENS6_INS7_ISA_KSB_Lm4ESC_lEESG_SI_Lm5ESC_lEElllll,@function
_ZN2at6native12_GLOBAL__N_136reflection_pad3d_backward_out_kernelIdEEvN5torch10headeronly6detail27GenericPackedTensorAccessorINS5_14TensorAccessorIN3c108ArrayRefIlEET_Lm4ENS4_16DefaultPtrTraitsElEENS_6detail16IndexBoundsCheckILm5ElEESB_Lm5ESC_lEENS6_INS7_ISA_KSB_Lm4ESC_lEESG_SI_Lm5ESC_lEElllll: ; @_ZN2at6native12_GLOBAL__N_136reflection_pad3d_backward_out_kernelIdEEvN5torch10headeronly6detail27GenericPackedTensorAccessorINS5_14TensorAccessorIN3c108ArrayRefIlEET_Lm4ENS4_16DefaultPtrTraitsElEENS_6detail16IndexBoundsCheckILm5ElEESB_Lm5ESC_lEENS6_INS7_ISA_KSB_Lm4ESC_lEESG_SI_Lm5ESC_lEElllll
; %bb.0:
	s_clause 0x2
	s_load_b32 s2, s[0:1], 0xe4
	s_load_b128 s[16:19], s[0:1], 0x70
	s_load_b64 s[34:35], s[0:1], 0x80
	v_mov_b32_e32 v4, 0
	s_delay_alu instid0(VALU_DEP_1)
	v_mov_b32_e32 v1, v4
	s_waitcnt lgkmcnt(0)
	s_and_b32 s2, s2, 0xffff
	s_mul_i32 s4, s34, s19
	s_mul_hi_u32 s5, s34, s18
	s_mul_i32 s6, s35, s18
	s_mul_i32 s3, s34, s18
	v_mad_u64_u32 v[2:3], null, s2, s13, v[0:1]
	s_add_i32 s20, s5, s4
	s_mul_i32 s2, s3, s17
	s_mul_hi_u32 s4, s3, s16
	s_add_i32 s20, s20, s6
	s_add_i32 s2, s4, s2
	s_mul_i32 s4, s20, s16
	s_delay_alu instid0(SALU_CYCLE_1)
	s_add_i32 s5, s2, s4
	s_mul_i32 s4, s3, s16
	s_mov_b32 s2, exec_lo
	v_cmpx_gt_i64_e64 s[4:5], v[2:3]
	s_cbranch_execz .LBB68_15
; %bb.1:
	v_or_b32_e32 v5, s35, v3
	s_delay_alu instid0(VALU_DEP_1) | instskip(SKIP_1) | instid1(SALU_CYCLE_1)
	v_cmp_ne_u64_e32 vcc_lo, 0, v[4:5]
                                        ; implicit-def: $vgpr4_vgpr5
	s_and_saveexec_b32 s2, vcc_lo
	s_xor_b32 s8, exec_lo, s2
	s_cbranch_execz .LBB68_3
; %bb.2:
	s_ashr_i32 s4, s35, 31
	s_delay_alu instid0(SALU_CYCLE_1) | instskip(SKIP_2) | instid1(SALU_CYCLE_1)
	s_add_u32 s6, s34, s4
	s_mov_b32 s5, s4
	s_addc_u32 s7, s35, s4
	s_xor_b64 s[6:7], s[6:7], s[4:5]
	s_delay_alu instid0(SALU_CYCLE_1) | instskip(SKIP_3) | instid1(VALU_DEP_1)
	v_cvt_f32_u32_e32 v0, s6
	v_cvt_f32_u32_e32 v1, s7
	s_sub_u32 s2, 0, s6
	s_subb_u32 s5, 0, s7
	v_fmamk_f32 v0, v1, 0x4f800000, v0
	s_delay_alu instid0(VALU_DEP_1) | instskip(SKIP_2) | instid1(VALU_DEP_1)
	v_rcp_f32_e32 v0, v0
	s_waitcnt_depctr 0xfff
	v_mul_f32_e32 v0, 0x5f7ffffc, v0
	v_mul_f32_e32 v1, 0x2f800000, v0
	s_delay_alu instid0(VALU_DEP_1) | instskip(NEXT) | instid1(VALU_DEP_1)
	v_trunc_f32_e32 v1, v1
	v_fmamk_f32 v0, v1, 0xcf800000, v0
	v_cvt_u32_f32_e32 v1, v1
	s_delay_alu instid0(VALU_DEP_2) | instskip(NEXT) | instid1(VALU_DEP_2)
	v_cvt_u32_f32_e32 v0, v0
	v_mul_lo_u32 v4, s2, v1
	s_delay_alu instid0(VALU_DEP_2) | instskip(SKIP_1) | instid1(VALU_DEP_2)
	v_mul_hi_u32 v5, s2, v0
	v_mul_lo_u32 v6, s5, v0
	v_add_nc_u32_e32 v4, v5, v4
	v_mul_lo_u32 v5, s2, v0
	s_delay_alu instid0(VALU_DEP_2) | instskip(NEXT) | instid1(VALU_DEP_2)
	v_add_nc_u32_e32 v4, v4, v6
	v_mul_hi_u32 v6, v0, v5
	s_delay_alu instid0(VALU_DEP_2)
	v_mul_lo_u32 v7, v0, v4
	v_mul_hi_u32 v8, v0, v4
	v_mul_hi_u32 v9, v1, v5
	v_mul_lo_u32 v5, v1, v5
	v_mul_hi_u32 v10, v1, v4
	v_mul_lo_u32 v4, v1, v4
	v_add_co_u32 v6, vcc_lo, v6, v7
	v_add_co_ci_u32_e32 v7, vcc_lo, 0, v8, vcc_lo
	s_delay_alu instid0(VALU_DEP_2) | instskip(NEXT) | instid1(VALU_DEP_2)
	v_add_co_u32 v5, vcc_lo, v6, v5
	v_add_co_ci_u32_e32 v5, vcc_lo, v7, v9, vcc_lo
	v_add_co_ci_u32_e32 v6, vcc_lo, 0, v10, vcc_lo
	v_ashrrev_i32_e32 v9, 31, v3
	s_delay_alu instid0(VALU_DEP_3) | instskip(NEXT) | instid1(VALU_DEP_3)
	v_add_co_u32 v4, vcc_lo, v5, v4
	v_add_co_ci_u32_e32 v5, vcc_lo, 0, v6, vcc_lo
	s_delay_alu instid0(VALU_DEP_2) | instskip(NEXT) | instid1(VALU_DEP_2)
	v_add_co_u32 v0, vcc_lo, v0, v4
	v_add_co_ci_u32_e32 v1, vcc_lo, v1, v5, vcc_lo
	s_delay_alu instid0(VALU_DEP_2) | instskip(SKIP_1) | instid1(VALU_DEP_3)
	v_mul_hi_u32 v4, s2, v0
	v_mul_lo_u32 v6, s5, v0
	v_mul_lo_u32 v5, s2, v1
	s_delay_alu instid0(VALU_DEP_1) | instskip(SKIP_1) | instid1(VALU_DEP_2)
	v_add_nc_u32_e32 v4, v4, v5
	v_mul_lo_u32 v5, s2, v0
	v_add_nc_u32_e32 v4, v4, v6
	s_delay_alu instid0(VALU_DEP_2) | instskip(NEXT) | instid1(VALU_DEP_2)
	v_mul_hi_u32 v6, v0, v5
	v_mul_lo_u32 v7, v0, v4
	v_mul_hi_u32 v8, v0, v4
	v_mul_hi_u32 v10, v1, v5
	v_mul_lo_u32 v5, v1, v5
	v_mul_hi_u32 v11, v1, v4
	v_mul_lo_u32 v4, v1, v4
	v_add_co_u32 v6, vcc_lo, v6, v7
	v_add_co_ci_u32_e32 v7, vcc_lo, 0, v8, vcc_lo
	s_delay_alu instid0(VALU_DEP_2) | instskip(NEXT) | instid1(VALU_DEP_2)
	v_add_co_u32 v5, vcc_lo, v6, v5
	v_add_co_ci_u32_e32 v5, vcc_lo, v7, v10, vcc_lo
	v_add_co_ci_u32_e32 v6, vcc_lo, 0, v11, vcc_lo
	v_add_co_u32 v7, vcc_lo, v2, v9
	v_add_co_ci_u32_e32 v8, vcc_lo, v3, v9, vcc_lo
	s_delay_alu instid0(VALU_DEP_4) | instskip(NEXT) | instid1(VALU_DEP_4)
	v_add_co_u32 v4, vcc_lo, v5, v4
	v_add_co_ci_u32_e32 v5, vcc_lo, 0, v6, vcc_lo
	s_delay_alu instid0(VALU_DEP_4) | instskip(NEXT) | instid1(VALU_DEP_3)
	v_xor_b32_e32 v10, v7, v9
	v_add_co_u32 v6, vcc_lo, v0, v4
	s_delay_alu instid0(VALU_DEP_3) | instskip(SKIP_1) | instid1(VALU_DEP_3)
	v_add_co_ci_u32_e32 v11, vcc_lo, v1, v5, vcc_lo
	v_xor_b32_e32 v8, v8, v9
	v_mul_hi_u32 v12, v10, v6
	s_delay_alu instid0(VALU_DEP_3) | instskip(NEXT) | instid1(VALU_DEP_3)
	v_mad_u64_u32 v[0:1], null, v10, v11, 0
	v_mad_u64_u32 v[4:5], null, v8, v6, 0
	;; [unrolled: 1-line block ×3, first 2 shown]
	s_delay_alu instid0(VALU_DEP_3) | instskip(NEXT) | instid1(VALU_DEP_4)
	v_add_co_u32 v0, vcc_lo, v12, v0
	v_add_co_ci_u32_e32 v1, vcc_lo, 0, v1, vcc_lo
	s_delay_alu instid0(VALU_DEP_2) | instskip(NEXT) | instid1(VALU_DEP_2)
	v_add_co_u32 v0, vcc_lo, v0, v4
	v_add_co_ci_u32_e32 v0, vcc_lo, v1, v5, vcc_lo
	v_add_co_ci_u32_e32 v1, vcc_lo, 0, v7, vcc_lo
	s_delay_alu instid0(VALU_DEP_2) | instskip(NEXT) | instid1(VALU_DEP_2)
	v_add_co_u32 v4, vcc_lo, v0, v6
	v_add_co_ci_u32_e32 v5, vcc_lo, 0, v1, vcc_lo
	s_delay_alu instid0(VALU_DEP_2) | instskip(SKIP_1) | instid1(VALU_DEP_3)
	v_mul_lo_u32 v6, s7, v4
	v_mad_u64_u32 v[0:1], null, s6, v4, 0
	v_mul_lo_u32 v7, s6, v5
	s_delay_alu instid0(VALU_DEP_2) | instskip(NEXT) | instid1(VALU_DEP_2)
	v_sub_co_u32 v0, vcc_lo, v10, v0
	v_add3_u32 v1, v1, v7, v6
	s_delay_alu instid0(VALU_DEP_1) | instskip(NEXT) | instid1(VALU_DEP_1)
	v_sub_nc_u32_e32 v6, v8, v1
	v_subrev_co_ci_u32_e64 v6, s2, s7, v6, vcc_lo
	v_add_co_u32 v7, s2, v4, 2
	s_delay_alu instid0(VALU_DEP_1) | instskip(SKIP_3) | instid1(VALU_DEP_3)
	v_add_co_ci_u32_e64 v10, s2, 0, v5, s2
	v_sub_co_u32 v11, s2, v0, s6
	v_sub_co_ci_u32_e32 v1, vcc_lo, v8, v1, vcc_lo
	v_subrev_co_ci_u32_e64 v6, s2, 0, v6, s2
	v_cmp_le_u32_e32 vcc_lo, s6, v11
	s_delay_alu instid0(VALU_DEP_3) | instskip(SKIP_1) | instid1(VALU_DEP_4)
	v_cmp_eq_u32_e64 s2, s7, v1
	v_cndmask_b32_e64 v8, 0, -1, vcc_lo
	v_cmp_le_u32_e32 vcc_lo, s7, v6
	v_cndmask_b32_e64 v11, 0, -1, vcc_lo
	v_cmp_le_u32_e32 vcc_lo, s6, v0
	;; [unrolled: 2-line block ×3, first 2 shown]
	v_cndmask_b32_e64 v12, 0, -1, vcc_lo
	v_cmp_eq_u32_e32 vcc_lo, s7, v6
	s_delay_alu instid0(VALU_DEP_2) | instskip(SKIP_3) | instid1(VALU_DEP_3)
	v_cndmask_b32_e64 v0, v12, v0, s2
	v_cndmask_b32_e32 v6, v11, v8, vcc_lo
	v_add_co_u32 v8, vcc_lo, v4, 1
	v_add_co_ci_u32_e32 v11, vcc_lo, 0, v5, vcc_lo
	v_cmp_ne_u32_e32 vcc_lo, 0, v6
	s_delay_alu instid0(VALU_DEP_2) | instskip(SKIP_2) | instid1(VALU_DEP_3)
	v_dual_cndmask_b32 v1, v11, v10 :: v_dual_cndmask_b32 v6, v8, v7
	v_cmp_ne_u32_e32 vcc_lo, 0, v0
	v_xor_b32_e32 v0, s4, v9
	v_dual_cndmask_b32 v4, v4, v6 :: v_dual_cndmask_b32 v1, v5, v1
	s_delay_alu instid0(VALU_DEP_1) | instskip(NEXT) | instid1(VALU_DEP_2)
	v_xor_b32_e32 v4, v4, v0
	v_xor_b32_e32 v1, v1, v0
	s_delay_alu instid0(VALU_DEP_2) | instskip(NEXT) | instid1(VALU_DEP_2)
	v_sub_co_u32 v4, vcc_lo, v4, v0
	v_sub_co_ci_u32_e32 v5, vcc_lo, v1, v0, vcc_lo
.LBB68_3:
	s_and_not1_saveexec_b32 s2, s8
	s_cbranch_execz .LBB68_5
; %bb.4:
	v_cvt_f32_u32_e32 v0, s34
	s_sub_i32 s4, 0, s34
	s_delay_alu instid0(VALU_DEP_1) | instskip(SKIP_2) | instid1(VALU_DEP_1)
	v_rcp_iflag_f32_e32 v0, v0
	s_waitcnt_depctr 0xfff
	v_mul_f32_e32 v0, 0x4f7ffffe, v0
	v_cvt_u32_f32_e32 v0, v0
	s_delay_alu instid0(VALU_DEP_1) | instskip(NEXT) | instid1(VALU_DEP_1)
	v_mul_lo_u32 v1, s4, v0
	v_mul_hi_u32 v1, v0, v1
	s_delay_alu instid0(VALU_DEP_1) | instskip(NEXT) | instid1(VALU_DEP_1)
	v_add_nc_u32_e32 v0, v0, v1
	v_mul_hi_u32 v0, v2, v0
	s_delay_alu instid0(VALU_DEP_1) | instskip(SKIP_1) | instid1(VALU_DEP_2)
	v_mul_lo_u32 v1, v0, s34
	v_add_nc_u32_e32 v4, 1, v0
	v_sub_nc_u32_e32 v1, v2, v1
	s_delay_alu instid0(VALU_DEP_1) | instskip(SKIP_1) | instid1(VALU_DEP_2)
	v_subrev_nc_u32_e32 v5, s34, v1
	v_cmp_le_u32_e32 vcc_lo, s34, v1
	v_cndmask_b32_e32 v1, v1, v5, vcc_lo
	v_dual_mov_b32 v5, 0 :: v_dual_cndmask_b32 v0, v0, v4
	s_delay_alu instid0(VALU_DEP_2) | instskip(NEXT) | instid1(VALU_DEP_2)
	v_cmp_le_u32_e32 vcc_lo, s34, v1
	v_add_nc_u32_e32 v4, 1, v0
	s_delay_alu instid0(VALU_DEP_1)
	v_cndmask_b32_e32 v4, v0, v4, vcc_lo
.LBB68_5:
	s_or_b32 exec_lo, exec_lo, s2
	s_delay_alu instid0(VALU_DEP_1) | instskip(SKIP_1) | instid1(VALU_DEP_1)
	v_or_b32_e32 v1, s19, v5
	v_mov_b32_e32 v0, 0
	v_cmp_ne_u64_e32 vcc_lo, 0, v[0:1]
                                        ; implicit-def: $vgpr0_vgpr1
	s_and_saveexec_b32 s2, vcc_lo
	s_delay_alu instid0(SALU_CYCLE_1)
	s_xor_b32 s6, exec_lo, s2
	s_cbranch_execz .LBB68_7
; %bb.6:
	s_ashr_i32 s4, s19, 31
	s_delay_alu instid0(SALU_CYCLE_1) | instskip(SKIP_2) | instid1(SALU_CYCLE_1)
	s_add_u32 s8, s18, s4
	s_mov_b32 s5, s4
	s_addc_u32 s9, s19, s4
	s_xor_b64 s[4:5], s[8:9], s[4:5]
	s_delay_alu instid0(SALU_CYCLE_1) | instskip(SKIP_3) | instid1(VALU_DEP_1)
	v_cvt_f32_u32_e32 v0, s4
	v_cvt_f32_u32_e32 v1, s5
	s_sub_u32 s2, 0, s4
	s_subb_u32 s7, 0, s5
	v_fmamk_f32 v0, v1, 0x4f800000, v0
	s_delay_alu instid0(VALU_DEP_1) | instskip(SKIP_2) | instid1(VALU_DEP_1)
	v_rcp_f32_e32 v0, v0
	s_waitcnt_depctr 0xfff
	v_mul_f32_e32 v0, 0x5f7ffffc, v0
	v_mul_f32_e32 v1, 0x2f800000, v0
	s_delay_alu instid0(VALU_DEP_1) | instskip(NEXT) | instid1(VALU_DEP_1)
	v_trunc_f32_e32 v1, v1
	v_fmamk_f32 v0, v1, 0xcf800000, v0
	v_cvt_u32_f32_e32 v1, v1
	s_delay_alu instid0(VALU_DEP_2) | instskip(NEXT) | instid1(VALU_DEP_2)
	v_cvt_u32_f32_e32 v0, v0
	v_mul_lo_u32 v6, s2, v1
	s_delay_alu instid0(VALU_DEP_2) | instskip(SKIP_1) | instid1(VALU_DEP_2)
	v_mul_hi_u32 v7, s2, v0
	v_mul_lo_u32 v8, s7, v0
	v_add_nc_u32_e32 v6, v7, v6
	v_mul_lo_u32 v7, s2, v0
	s_delay_alu instid0(VALU_DEP_2) | instskip(NEXT) | instid1(VALU_DEP_2)
	v_add_nc_u32_e32 v6, v6, v8
	v_mul_hi_u32 v8, v0, v7
	s_delay_alu instid0(VALU_DEP_2)
	v_mul_lo_u32 v9, v0, v6
	v_mul_hi_u32 v10, v0, v6
	v_mul_hi_u32 v11, v1, v7
	v_mul_lo_u32 v7, v1, v7
	v_mul_hi_u32 v12, v1, v6
	v_mul_lo_u32 v6, v1, v6
	v_add_co_u32 v8, vcc_lo, v8, v9
	v_add_co_ci_u32_e32 v9, vcc_lo, 0, v10, vcc_lo
	s_delay_alu instid0(VALU_DEP_2) | instskip(NEXT) | instid1(VALU_DEP_2)
	v_add_co_u32 v7, vcc_lo, v8, v7
	v_add_co_ci_u32_e32 v7, vcc_lo, v9, v11, vcc_lo
	v_add_co_ci_u32_e32 v8, vcc_lo, 0, v12, vcc_lo
	v_ashrrev_i32_e32 v11, 31, v5
	s_delay_alu instid0(VALU_DEP_3) | instskip(NEXT) | instid1(VALU_DEP_3)
	v_add_co_u32 v6, vcc_lo, v7, v6
	v_add_co_ci_u32_e32 v7, vcc_lo, 0, v8, vcc_lo
	s_delay_alu instid0(VALU_DEP_2) | instskip(NEXT) | instid1(VALU_DEP_2)
	v_add_co_u32 v0, vcc_lo, v0, v6
	v_add_co_ci_u32_e32 v1, vcc_lo, v1, v7, vcc_lo
	s_delay_alu instid0(VALU_DEP_2) | instskip(SKIP_1) | instid1(VALU_DEP_3)
	v_mul_hi_u32 v6, s2, v0
	v_mul_lo_u32 v8, s7, v0
	v_mul_lo_u32 v7, s2, v1
	s_delay_alu instid0(VALU_DEP_1) | instskip(SKIP_1) | instid1(VALU_DEP_2)
	v_add_nc_u32_e32 v6, v6, v7
	v_mul_lo_u32 v7, s2, v0
	v_add_nc_u32_e32 v6, v6, v8
	s_delay_alu instid0(VALU_DEP_2) | instskip(NEXT) | instid1(VALU_DEP_2)
	v_mul_hi_u32 v8, v0, v7
	v_mul_lo_u32 v9, v0, v6
	v_mul_hi_u32 v10, v0, v6
	v_mul_hi_u32 v12, v1, v7
	v_mul_lo_u32 v7, v1, v7
	v_mul_hi_u32 v13, v1, v6
	v_mul_lo_u32 v6, v1, v6
	v_add_co_u32 v8, vcc_lo, v8, v9
	v_add_co_ci_u32_e32 v9, vcc_lo, 0, v10, vcc_lo
	s_delay_alu instid0(VALU_DEP_2) | instskip(NEXT) | instid1(VALU_DEP_2)
	v_add_co_u32 v7, vcc_lo, v8, v7
	v_add_co_ci_u32_e32 v7, vcc_lo, v9, v12, vcc_lo
	v_add_co_ci_u32_e32 v8, vcc_lo, 0, v13, vcc_lo
	v_add_co_u32 v9, vcc_lo, v4, v11
	v_add_co_ci_u32_e32 v10, vcc_lo, v5, v11, vcc_lo
	s_delay_alu instid0(VALU_DEP_4) | instskip(NEXT) | instid1(VALU_DEP_4)
	v_add_co_u32 v6, vcc_lo, v7, v6
	v_add_co_ci_u32_e32 v7, vcc_lo, 0, v8, vcc_lo
	s_delay_alu instid0(VALU_DEP_4) | instskip(NEXT) | instid1(VALU_DEP_3)
	v_xor_b32_e32 v12, v9, v11
	v_add_co_u32 v8, vcc_lo, v0, v6
	s_delay_alu instid0(VALU_DEP_3) | instskip(SKIP_1) | instid1(VALU_DEP_3)
	v_add_co_ci_u32_e32 v13, vcc_lo, v1, v7, vcc_lo
	v_xor_b32_e32 v10, v10, v11
	v_mul_hi_u32 v14, v12, v8
	s_delay_alu instid0(VALU_DEP_3) | instskip(NEXT) | instid1(VALU_DEP_3)
	v_mad_u64_u32 v[0:1], null, v12, v13, 0
	v_mad_u64_u32 v[6:7], null, v10, v8, 0
	;; [unrolled: 1-line block ×3, first 2 shown]
	s_delay_alu instid0(VALU_DEP_3) | instskip(NEXT) | instid1(VALU_DEP_4)
	v_add_co_u32 v0, vcc_lo, v14, v0
	v_add_co_ci_u32_e32 v1, vcc_lo, 0, v1, vcc_lo
	s_delay_alu instid0(VALU_DEP_2) | instskip(NEXT) | instid1(VALU_DEP_2)
	v_add_co_u32 v0, vcc_lo, v0, v6
	v_add_co_ci_u32_e32 v0, vcc_lo, v1, v7, vcc_lo
	v_add_co_ci_u32_e32 v1, vcc_lo, 0, v9, vcc_lo
	s_delay_alu instid0(VALU_DEP_2) | instskip(NEXT) | instid1(VALU_DEP_2)
	v_add_co_u32 v6, vcc_lo, v0, v8
	v_add_co_ci_u32_e32 v7, vcc_lo, 0, v1, vcc_lo
	s_delay_alu instid0(VALU_DEP_2) | instskip(SKIP_1) | instid1(VALU_DEP_3)
	v_mul_lo_u32 v8, s5, v6
	v_mad_u64_u32 v[0:1], null, s4, v6, 0
	v_mul_lo_u32 v6, s4, v7
	s_delay_alu instid0(VALU_DEP_2) | instskip(NEXT) | instid1(VALU_DEP_2)
	v_sub_co_u32 v0, vcc_lo, v12, v0
	v_add3_u32 v1, v1, v6, v8
	s_delay_alu instid0(VALU_DEP_1) | instskip(NEXT) | instid1(VALU_DEP_1)
	v_sub_nc_u32_e32 v6, v10, v1
	v_subrev_co_ci_u32_e64 v6, s2, s5, v6, vcc_lo
	v_sub_co_ci_u32_e32 v1, vcc_lo, v10, v1, vcc_lo
	v_sub_co_u32 v7, vcc_lo, v0, s4
	s_delay_alu instid0(VALU_DEP_1) | instskip(SKIP_3) | instid1(VALU_DEP_3)
	v_subrev_co_ci_u32_e64 v8, s2, 0, v6, vcc_lo
	v_cmp_le_u32_e64 s2, s4, v0
	v_subrev_co_ci_u32_e32 v6, vcc_lo, s5, v6, vcc_lo
	v_cmp_le_u32_e32 vcc_lo, s5, v1
	v_cndmask_b32_e64 v9, 0, -1, s2
	v_cmp_le_u32_e64 s2, s4, v7
	v_cndmask_b32_e64 v13, 0, -1, vcc_lo
	v_cmp_eq_u32_e32 vcc_lo, s5, v8
	s_delay_alu instid0(VALU_DEP_3) | instskip(SKIP_1) | instid1(VALU_DEP_1)
	v_cndmask_b32_e64 v10, 0, -1, s2
	v_cmp_le_u32_e64 s2, s5, v8
	v_cndmask_b32_e64 v12, 0, -1, s2
	v_cmp_eq_u32_e64 s2, s5, v1
	s_delay_alu instid0(VALU_DEP_2) | instskip(SKIP_2) | instid1(VALU_DEP_3)
	v_cndmask_b32_e32 v10, v12, v10, vcc_lo
	v_sub_co_u32 v12, vcc_lo, v7, s4
	v_subrev_co_ci_u32_e32 v6, vcc_lo, 0, v6, vcc_lo
	v_cmp_ne_u32_e32 vcc_lo, 0, v10
	v_cndmask_b32_e64 v9, v13, v9, s2
	s_delay_alu instid0(VALU_DEP_3) | instskip(NEXT) | instid1(VALU_DEP_2)
	v_dual_cndmask_b32 v6, v8, v6 :: v_dual_cndmask_b32 v7, v7, v12
	v_cmp_ne_u32_e32 vcc_lo, 0, v9
	s_delay_alu instid0(VALU_DEP_2) | instskip(NEXT) | instid1(VALU_DEP_1)
	v_dual_cndmask_b32 v0, v0, v7 :: v_dual_cndmask_b32 v1, v1, v6
	v_xor_b32_e32 v0, v0, v11
	s_delay_alu instid0(VALU_DEP_2) | instskip(NEXT) | instid1(VALU_DEP_2)
	v_xor_b32_e32 v1, v1, v11
	v_sub_co_u32 v0, vcc_lo, v0, v11
	s_delay_alu instid0(VALU_DEP_2)
	v_sub_co_ci_u32_e32 v1, vcc_lo, v1, v11, vcc_lo
.LBB68_7:
	s_or_saveexec_b32 s2, s6
	s_clause 0x1
	s_load_b64 s[12:13], s[0:1], 0xa8
	s_load_b256 s[4:11], s[0:1], 0x88
	s_xor_b32 exec_lo, exec_lo, s2
	s_cbranch_execz .LBB68_9
; %bb.8:
	v_cvt_f32_u32_e32 v0, s18
	s_sub_i32 s16, 0, s18
	s_delay_alu instid0(VALU_DEP_1) | instskip(SKIP_2) | instid1(VALU_DEP_1)
	v_rcp_iflag_f32_e32 v0, v0
	s_waitcnt_depctr 0xfff
	v_mul_f32_e32 v0, 0x4f7ffffe, v0
	v_cvt_u32_f32_e32 v0, v0
	s_delay_alu instid0(VALU_DEP_1) | instskip(NEXT) | instid1(VALU_DEP_1)
	v_mul_lo_u32 v1, s16, v0
	v_mul_hi_u32 v1, v0, v1
	s_delay_alu instid0(VALU_DEP_1) | instskip(NEXT) | instid1(VALU_DEP_1)
	v_add_nc_u32_e32 v0, v0, v1
	v_mul_hi_u32 v0, v4, v0
	s_delay_alu instid0(VALU_DEP_1) | instskip(NEXT) | instid1(VALU_DEP_1)
	v_mul_lo_u32 v0, v0, s18
	v_sub_nc_u32_e32 v0, v4, v0
	s_delay_alu instid0(VALU_DEP_1) | instskip(SKIP_1) | instid1(VALU_DEP_2)
	v_subrev_nc_u32_e32 v1, s18, v0
	v_cmp_le_u32_e32 vcc_lo, s18, v0
	v_cndmask_b32_e32 v0, v0, v1, vcc_lo
	s_delay_alu instid0(VALU_DEP_1) | instskip(SKIP_1) | instid1(VALU_DEP_2)
	v_subrev_nc_u32_e32 v1, s18, v0
	v_cmp_le_u32_e32 vcc_lo, s18, v0
	v_dual_cndmask_b32 v0, v0, v1 :: v_dual_mov_b32 v1, 0
.LBB68_9:
	s_or_b32 exec_lo, exec_lo, s2
	s_clause 0x1
	s_load_b64 s[46:47], s[0:1], 0x58
	s_load_b64 s[44:45], s[0:1], 0x0
	v_or_b32_e32 v7, s20, v3
	v_mov_b32_e32 v6, 0
	s_delay_alu instid0(VALU_DEP_1) | instskip(SKIP_1) | instid1(SALU_CYCLE_1)
	v_cmp_ne_u64_e32 vcc_lo, 0, v[6:7]
                                        ; implicit-def: $vgpr6_vgpr7
	s_and_saveexec_b32 s2, vcc_lo
	s_xor_b32 s21, exec_lo, s2
	s_cbranch_execz .LBB68_11
; %bb.10:
	s_ashr_i32 s16, s20, 31
	s_delay_alu instid0(SALU_CYCLE_1) | instskip(SKIP_2) | instid1(SALU_CYCLE_1)
	s_add_u32 s18, s3, s16
	s_mov_b32 s17, s16
	s_addc_u32 s19, s20, s16
	s_xor_b64 s[18:19], s[18:19], s[16:17]
	s_delay_alu instid0(SALU_CYCLE_1) | instskip(SKIP_3) | instid1(VALU_DEP_1)
	v_cvt_f32_u32_e32 v6, s18
	v_cvt_f32_u32_e32 v7, s19
	s_sub_u32 s2, 0, s18
	s_subb_u32 s17, 0, s19
	v_fmamk_f32 v6, v7, 0x4f800000, v6
	s_delay_alu instid0(VALU_DEP_1) | instskip(SKIP_2) | instid1(VALU_DEP_1)
	v_rcp_f32_e32 v6, v6
	s_waitcnt_depctr 0xfff
	v_mul_f32_e32 v6, 0x5f7ffffc, v6
	v_mul_f32_e32 v7, 0x2f800000, v6
	s_delay_alu instid0(VALU_DEP_1) | instskip(NEXT) | instid1(VALU_DEP_1)
	v_trunc_f32_e32 v7, v7
	v_fmamk_f32 v6, v7, 0xcf800000, v6
	v_cvt_u32_f32_e32 v7, v7
	s_delay_alu instid0(VALU_DEP_2) | instskip(NEXT) | instid1(VALU_DEP_2)
	v_cvt_u32_f32_e32 v6, v6
	v_mul_lo_u32 v8, s2, v7
	s_delay_alu instid0(VALU_DEP_2) | instskip(SKIP_1) | instid1(VALU_DEP_2)
	v_mul_hi_u32 v9, s2, v6
	v_mul_lo_u32 v10, s17, v6
	v_add_nc_u32_e32 v8, v9, v8
	v_mul_lo_u32 v9, s2, v6
	s_delay_alu instid0(VALU_DEP_2) | instskip(NEXT) | instid1(VALU_DEP_2)
	v_add_nc_u32_e32 v8, v8, v10
	v_mul_hi_u32 v10, v6, v9
	s_delay_alu instid0(VALU_DEP_2)
	v_mul_lo_u32 v11, v6, v8
	v_mul_hi_u32 v12, v6, v8
	v_mul_hi_u32 v13, v7, v9
	v_mul_lo_u32 v9, v7, v9
	v_mul_hi_u32 v14, v7, v8
	v_mul_lo_u32 v8, v7, v8
	v_add_co_u32 v10, vcc_lo, v10, v11
	v_add_co_ci_u32_e32 v11, vcc_lo, 0, v12, vcc_lo
	s_delay_alu instid0(VALU_DEP_2) | instskip(NEXT) | instid1(VALU_DEP_2)
	v_add_co_u32 v9, vcc_lo, v10, v9
	v_add_co_ci_u32_e32 v9, vcc_lo, v11, v13, vcc_lo
	v_add_co_ci_u32_e32 v10, vcc_lo, 0, v14, vcc_lo
	v_ashrrev_i32_e32 v13, 31, v3
	s_delay_alu instid0(VALU_DEP_3) | instskip(NEXT) | instid1(VALU_DEP_3)
	v_add_co_u32 v8, vcc_lo, v9, v8
	v_add_co_ci_u32_e32 v9, vcc_lo, 0, v10, vcc_lo
	s_delay_alu instid0(VALU_DEP_2) | instskip(NEXT) | instid1(VALU_DEP_2)
	v_add_co_u32 v6, vcc_lo, v6, v8
	v_add_co_ci_u32_e32 v7, vcc_lo, v7, v9, vcc_lo
	s_delay_alu instid0(VALU_DEP_2) | instskip(SKIP_1) | instid1(VALU_DEP_3)
	v_mul_hi_u32 v8, s2, v6
	v_mul_lo_u32 v10, s17, v6
	v_mul_lo_u32 v9, s2, v7
	s_delay_alu instid0(VALU_DEP_1) | instskip(SKIP_1) | instid1(VALU_DEP_2)
	v_add_nc_u32_e32 v8, v8, v9
	v_mul_lo_u32 v9, s2, v6
	v_add_nc_u32_e32 v8, v8, v10
	s_delay_alu instid0(VALU_DEP_2) | instskip(NEXT) | instid1(VALU_DEP_2)
	v_mul_hi_u32 v10, v6, v9
	v_mul_lo_u32 v11, v6, v8
	v_mul_hi_u32 v12, v6, v8
	v_mul_hi_u32 v14, v7, v9
	v_mul_lo_u32 v9, v7, v9
	v_mul_hi_u32 v15, v7, v8
	v_mul_lo_u32 v8, v7, v8
	v_add_co_u32 v10, vcc_lo, v10, v11
	v_add_co_ci_u32_e32 v11, vcc_lo, 0, v12, vcc_lo
	s_delay_alu instid0(VALU_DEP_2) | instskip(NEXT) | instid1(VALU_DEP_2)
	v_add_co_u32 v9, vcc_lo, v10, v9
	v_add_co_ci_u32_e32 v9, vcc_lo, v11, v14, vcc_lo
	v_add_co_ci_u32_e32 v10, vcc_lo, 0, v15, vcc_lo
	v_add_co_u32 v11, vcc_lo, v2, v13
	v_add_co_ci_u32_e32 v12, vcc_lo, v3, v13, vcc_lo
	s_delay_alu instid0(VALU_DEP_4) | instskip(NEXT) | instid1(VALU_DEP_4)
	v_add_co_u32 v8, vcc_lo, v9, v8
	v_add_co_ci_u32_e32 v9, vcc_lo, 0, v10, vcc_lo
	s_delay_alu instid0(VALU_DEP_4) | instskip(NEXT) | instid1(VALU_DEP_3)
	v_xor_b32_e32 v14, v11, v13
	v_add_co_u32 v10, vcc_lo, v6, v8
	s_delay_alu instid0(VALU_DEP_3) | instskip(SKIP_1) | instid1(VALU_DEP_3)
	v_add_co_ci_u32_e32 v15, vcc_lo, v7, v9, vcc_lo
	v_xor_b32_e32 v12, v12, v13
	v_mul_hi_u32 v16, v14, v10
	s_delay_alu instid0(VALU_DEP_3) | instskip(NEXT) | instid1(VALU_DEP_3)
	v_mad_u64_u32 v[6:7], null, v14, v15, 0
	v_mad_u64_u32 v[8:9], null, v12, v10, 0
	v_mad_u64_u32 v[10:11], null, v12, v15, 0
	s_delay_alu instid0(VALU_DEP_3) | instskip(NEXT) | instid1(VALU_DEP_4)
	v_add_co_u32 v6, vcc_lo, v16, v6
	v_add_co_ci_u32_e32 v7, vcc_lo, 0, v7, vcc_lo
	s_delay_alu instid0(VALU_DEP_2) | instskip(NEXT) | instid1(VALU_DEP_2)
	v_add_co_u32 v6, vcc_lo, v6, v8
	v_add_co_ci_u32_e32 v6, vcc_lo, v7, v9, vcc_lo
	v_add_co_ci_u32_e32 v7, vcc_lo, 0, v11, vcc_lo
	s_delay_alu instid0(VALU_DEP_2) | instskip(NEXT) | instid1(VALU_DEP_2)
	v_add_co_u32 v8, vcc_lo, v6, v10
	v_add_co_ci_u32_e32 v9, vcc_lo, 0, v7, vcc_lo
	s_delay_alu instid0(VALU_DEP_2) | instskip(SKIP_1) | instid1(VALU_DEP_3)
	v_mul_lo_u32 v10, s19, v8
	v_mad_u64_u32 v[6:7], null, s18, v8, 0
	v_mul_lo_u32 v11, s18, v9
	s_delay_alu instid0(VALU_DEP_2) | instskip(NEXT) | instid1(VALU_DEP_2)
	v_sub_co_u32 v6, vcc_lo, v14, v6
	v_add3_u32 v7, v7, v11, v10
	s_delay_alu instid0(VALU_DEP_1) | instskip(NEXT) | instid1(VALU_DEP_1)
	v_sub_nc_u32_e32 v10, v12, v7
	v_subrev_co_ci_u32_e64 v10, s2, s19, v10, vcc_lo
	v_add_co_u32 v11, s2, v8, 2
	s_delay_alu instid0(VALU_DEP_1) | instskip(SKIP_3) | instid1(VALU_DEP_3)
	v_add_co_ci_u32_e64 v14, s2, 0, v9, s2
	v_sub_co_u32 v15, s2, v6, s18
	v_sub_co_ci_u32_e32 v7, vcc_lo, v12, v7, vcc_lo
	v_subrev_co_ci_u32_e64 v10, s2, 0, v10, s2
	v_cmp_le_u32_e32 vcc_lo, s18, v15
	s_delay_alu instid0(VALU_DEP_3) | instskip(SKIP_1) | instid1(VALU_DEP_4)
	v_cmp_eq_u32_e64 s2, s19, v7
	v_cndmask_b32_e64 v12, 0, -1, vcc_lo
	v_cmp_le_u32_e32 vcc_lo, s19, v10
	v_cndmask_b32_e64 v15, 0, -1, vcc_lo
	v_cmp_le_u32_e32 vcc_lo, s18, v6
	;; [unrolled: 2-line block ×3, first 2 shown]
	v_cndmask_b32_e64 v16, 0, -1, vcc_lo
	v_cmp_eq_u32_e32 vcc_lo, s19, v10
	s_delay_alu instid0(VALU_DEP_2) | instskip(SKIP_3) | instid1(VALU_DEP_3)
	v_cndmask_b32_e64 v6, v16, v6, s2
	v_cndmask_b32_e32 v10, v15, v12, vcc_lo
	v_add_co_u32 v12, vcc_lo, v8, 1
	v_add_co_ci_u32_e32 v15, vcc_lo, 0, v9, vcc_lo
	v_cmp_ne_u32_e32 vcc_lo, 0, v10
	s_delay_alu instid0(VALU_DEP_2) | instskip(SKIP_2) | instid1(VALU_DEP_3)
	v_dual_cndmask_b32 v7, v15, v14 :: v_dual_cndmask_b32 v10, v12, v11
	v_cmp_ne_u32_e32 vcc_lo, 0, v6
	v_xor_b32_e32 v11, s16, v13
	v_dual_cndmask_b32 v6, v9, v7 :: v_dual_cndmask_b32 v7, v8, v10
	s_delay_alu instid0(VALU_DEP_1) | instskip(NEXT) | instid1(VALU_DEP_2)
	v_xor_b32_e32 v8, v6, v11
	v_xor_b32_e32 v7, v7, v11
	s_delay_alu instid0(VALU_DEP_1) | instskip(NEXT) | instid1(VALU_DEP_3)
	v_sub_co_u32 v6, vcc_lo, v7, v11
	v_sub_co_ci_u32_e32 v7, vcc_lo, v8, v11, vcc_lo
.LBB68_11:
	s_or_saveexec_b32 s2, s21
	s_load_b512 s[16:31], s[0:1], 0x18
	s_xor_b32 exec_lo, exec_lo, s2
	s_cbranch_execz .LBB68_13
; %bb.12:
	v_cvt_f32_u32_e32 v6, s3
	s_sub_i32 s33, 0, s3
	s_delay_alu instid0(VALU_DEP_1) | instskip(SKIP_2) | instid1(VALU_DEP_1)
	v_rcp_iflag_f32_e32 v6, v6
	s_waitcnt_depctr 0xfff
	v_mul_f32_e32 v6, 0x4f7ffffe, v6
	v_cvt_u32_f32_e32 v6, v6
	s_delay_alu instid0(VALU_DEP_1) | instskip(NEXT) | instid1(VALU_DEP_1)
	v_mul_lo_u32 v7, s33, v6
	v_mul_hi_u32 v7, v6, v7
	s_delay_alu instid0(VALU_DEP_1) | instskip(NEXT) | instid1(VALU_DEP_1)
	v_add_nc_u32_e32 v6, v6, v7
	v_mul_hi_u32 v6, v2, v6
	s_delay_alu instid0(VALU_DEP_1) | instskip(SKIP_1) | instid1(VALU_DEP_2)
	v_mul_lo_u32 v7, v6, s3
	v_add_nc_u32_e32 v8, 1, v6
	v_sub_nc_u32_e32 v7, v2, v7
	s_delay_alu instid0(VALU_DEP_1) | instskip(SKIP_1) | instid1(VALU_DEP_2)
	v_subrev_nc_u32_e32 v9, s3, v7
	v_cmp_le_u32_e32 vcc_lo, s3, v7
	v_dual_cndmask_b32 v7, v7, v9 :: v_dual_cndmask_b32 v6, v6, v8
	s_delay_alu instid0(VALU_DEP_1) | instskip(NEXT) | instid1(VALU_DEP_2)
	v_cmp_le_u32_e32 vcc_lo, s3, v7
	v_dual_mov_b32 v7, 0 :: v_dual_add_nc_u32 v8, 1, v6
	s_delay_alu instid0(VALU_DEP_1)
	v_cndmask_b32_e32 v6, v6, v8, vcc_lo
.LBB68_13:
	s_or_b32 exec_lo, exec_lo, s2
	s_load_b256 s[36:43], s[0:1], 0xb0
	v_mul_lo_u32 v5, v5, s34
	v_mul_lo_u32 v10, v4, s35
	v_mad_u64_u32 v[8:9], null, v4, s34, 0
	s_load_b64 s[0:1], s[0:1], 0xd0
	s_delay_alu instid0(VALU_DEP_1) | instskip(NEXT) | instid1(VALU_DEP_2)
	v_add3_u32 v4, v9, v10, v5
	v_sub_co_u32 v8, vcc_lo, v2, v8
	s_delay_alu instid0(VALU_DEP_2)
	v_sub_co_ci_u32_e32 v9, vcc_lo, v3, v4, vcc_lo
	s_waitcnt lgkmcnt(0)
	s_sub_u32 s2, 0, s36
	s_subb_u32 s3, 0, s37
	s_sub_u32 s34, 0, s38
	v_cmp_gt_i64_e64 s50, s[2:3], 0
	s_subb_u32 s35, 0, s39
	v_cmp_gt_i64_e64 s33, s[36:37], 0
	s_sub_u32 s48, 0, s40
	s_subb_u32 s49, 0, s41
	v_cmp_gt_i64_e64 s54, s[34:35], 0
	v_cmp_gt_i64_e64 s52, s[38:39], 0
	;; [unrolled: 1-line block ×4, first 2 shown]
	s_and_b32 s50, s50, exec_lo
	s_cselect_b32 s56, s3, 0
	s_cselect_b32 s57, s2, 0
	s_and_b32 s2, s33, exec_lo
	s_cselect_b32 s51, s37, 0
	s_cselect_b32 s50, s36, 0
	;; [unrolled: 3-line block ×5, first 2 shown]
	s_and_b32 s2, s53, exec_lo
	v_sub_co_u32 v2, vcc_lo, v8, s36
	s_cselect_b32 s3, s41, 0
	s_cselect_b32 s2, s40, 0
	s_add_u32 s48, s20, s36
	v_subrev_co_ci_u32_e32 v3, vcc_lo, s37, v9, vcc_lo
	s_addc_u32 s49, s21, s37
	v_sub_co_u32 v4, vcc_lo, v8, s48
	v_subrev_co_ci_u32_e32 v5, vcc_lo, s49, v9, vcc_lo
	s_delay_alu instid0(VALU_DEP_3) | instskip(NEXT) | instid1(VALU_DEP_3)
	v_ashrrev_i32_e32 v10, 31, v3
	v_add_co_u32 v4, vcc_lo, v4, 1
	s_delay_alu instid0(VALU_DEP_3) | instskip(NEXT) | instid1(VALU_DEP_3)
	v_add_co_ci_u32_e32 v5, vcc_lo, 0, v5, vcc_lo
	v_xor_b32_e32 v2, v2, v10
	v_xor_b32_e32 v3, v3, v10
	s_lshl_b64 s[36:37], s[36:37], 1
	s_delay_alu instid0(VALU_DEP_3) | instskip(SKIP_3) | instid1(VALU_DEP_3)
	v_ashrrev_i32_e32 v11, 31, v5
	s_not_b64 s[48:49], s[50:51]
	v_sub_co_u32 v2, vcc_lo, v2, v10
	v_sub_co_ci_u32_e32 v3, vcc_lo, v3, v10, vcc_lo
	v_xor_b32_e32 v4, v4, v11
	v_xor_b32_e32 v5, v5, v11
	s_add_u32 s36, s36, s48
	s_addc_u32 s37, s37, s49
	s_add_u32 s36, s36, s57
	v_sub_co_u32 v4, vcc_lo, v4, v11
	v_sub_co_ci_u32_e32 v5, vcc_lo, v5, v11, vcc_lo
	v_sub_co_u32 v10, vcc_lo, v0, s38
	s_addc_u32 s37, s37, s56
	s_add_u32 s20, s36, s20
	v_subrev_co_ci_u32_e32 v11, vcc_lo, s39, v1, vcc_lo
	s_addc_u32 s21, s37, s21
	v_add_co_u32 v4, vcc_lo, v8, v4
	s_add_u32 s36, s18, s38
	v_add_co_ci_u32_e32 v5, vcc_lo, v9, v5, vcc_lo
	s_addc_u32 s37, s19, s39
	v_sub_co_u32 v13, vcc_lo, v0, s36
	v_subrev_co_ci_u32_e32 v14, vcc_lo, s37, v1, vcc_lo
	v_ashrrev_i32_e32 v12, 31, v11
	s_delay_alu instid0(VALU_DEP_3) | instskip(NEXT) | instid1(VALU_DEP_3)
	v_add_co_u32 v13, vcc_lo, v13, 1
	v_add_co_ci_u32_e32 v14, vcc_lo, 0, v14, vcc_lo
	s_delay_alu instid0(VALU_DEP_3) | instskip(SKIP_2) | instid1(VALU_DEP_4)
	v_xor_b32_e32 v10, v10, v12
	v_sub_co_u32 v4, vcc_lo, s20, v4
	v_xor_b32_e32 v11, v11, v12
	v_ashrrev_i32_e32 v15, 31, v14
	v_sub_co_ci_u32_e32 v5, vcc_lo, s21, v5, vcc_lo
	v_sub_co_u32 v10, vcc_lo, v10, v12
	s_delay_alu instid0(VALU_DEP_4) | instskip(NEXT) | instid1(VALU_DEP_4)
	v_sub_co_ci_u32_e32 v11, vcc_lo, v11, v12, vcc_lo
	v_xor_b32_e32 v12, v13, v15
	v_xor_b32_e32 v13, v14, v15
	s_lshl_b64 s[20:21], s[38:39], 1
	s_not_b64 s[34:35], s[34:35]
	s_delay_alu instid0(VALU_DEP_2) | instskip(NEXT) | instid1(VALU_DEP_2)
	v_sub_co_u32 v12, vcc_lo, v12, v15
	v_sub_co_ci_u32_e32 v13, vcc_lo, v13, v15, vcc_lo
	s_add_u32 s20, s20, s34
	s_addc_u32 s21, s21, s35
	s_delay_alu instid0(VALU_DEP_2)
	v_add_co_u32 v12, vcc_lo, v0, v12
	s_add_u32 s20, s20, s54
	s_addc_u32 s21, s21, s33
	v_add_co_ci_u32_e32 v13, vcc_lo, v1, v13, vcc_lo
	s_add_u32 s18, s20, s18
	s_addc_u32 s19, s21, s19
	v_sub_co_u32 v12, vcc_lo, s18, v12
	s_delay_alu instid0(VALU_DEP_2) | instskip(SKIP_2) | instid1(VALU_DEP_4)
	v_sub_co_ci_u32_e32 v13, vcc_lo, s19, v13, vcc_lo
	v_add_co_u32 v14, vcc_lo, v4, v2
	v_add_co_ci_u32_e32 v15, vcc_lo, v5, v3, vcc_lo
	v_add_co_u32 v10, vcc_lo, v12, v10
	s_delay_alu instid0(VALU_DEP_4)
	v_add_co_ci_u32_e32 v11, vcc_lo, v13, v11, vcc_lo
	v_sub_co_u32 v2, vcc_lo, v6, s40
	s_add_u32 s18, s16, s40
	v_subrev_co_ci_u32_e32 v3, vcc_lo, s41, v7, vcc_lo
	s_addc_u32 s19, s17, s41
	v_sub_co_u32 v4, vcc_lo, v6, s18
	v_subrev_co_ci_u32_e32 v5, vcc_lo, s19, v7, vcc_lo
	s_delay_alu instid0(VALU_DEP_3) | instskip(NEXT) | instid1(VALU_DEP_3)
	v_ashrrev_i32_e32 v12, 31, v3
	v_add_co_u32 v4, vcc_lo, v4, 1
	s_delay_alu instid0(VALU_DEP_3) | instskip(NEXT) | instid1(VALU_DEP_3)
	v_add_co_ci_u32_e32 v5, vcc_lo, 0, v5, vcc_lo
	v_xor_b32_e32 v2, v2, v12
	v_xor_b32_e32 v3, v3, v12
	s_lshl_b64 s[18:19], s[40:41], 1
	s_delay_alu instid0(VALU_DEP_3) | instskip(SKIP_3) | instid1(VALU_DEP_2)
	v_ashrrev_i32_e32 v13, 31, v5
	s_not_b64 s[2:3], s[2:3]
	v_sub_co_u32 v16, vcc_lo, v2, v12
	s_add_u32 s2, s18, s2
	v_xor_b32_e32 v2, v4, v13
	v_sub_co_ci_u32_e32 v12, vcc_lo, v3, v12, vcc_lo
	v_xor_b32_e32 v3, v5, v13
	s_addc_u32 s3, s19, s3
	s_add_u32 s2, s2, s55
	s_addc_u32 s3, s3, s52
	v_sub_co_u32 v2, vcc_lo, v2, v13
	s_add_u32 s2, s2, s16
	s_addc_u32 s3, s3, s17
	v_sub_co_ci_u32_e32 v3, vcc_lo, v3, v13, vcc_lo
	s_add_u32 s14, s14, s42
	s_addc_u32 s16, 0, s43
	s_add_u32 s15, s15, s0
	v_add_co_u32 v4, vcc_lo, v6, v2
	s_addc_u32 s17, 0, s1
	v_add_co_ci_u32_e32 v5, vcc_lo, v7, v3, vcc_lo
	v_mul_lo_u32 v7, v7, s8
	v_mul_lo_u32 v13, v6, s9
	v_mad_u64_u32 v[2:3], null, v6, s8, 0
	s_mul_i32 s0, s4, s17
	s_mul_hi_u32 s1, s4, s15
	v_sub_co_u32 v6, vcc_lo, s2, v4
	s_add_i32 s0, s1, s0
	s_mul_i32 s1, s5, s15
	v_sub_co_ci_u32_e32 v17, vcc_lo, s3, v5, vcc_lo
	s_add_i32 s1, s0, s1
	s_mul_i32 s0, s4, s15
	v_add3_u32 v3, v3, v13, v7
	s_lshl_b64 s[0:1], s[0:1], 3
	v_mul_lo_u32 v7, v1, s10
	v_mul_lo_u32 v13, v0, s11
	v_mad_u64_u32 v[4:5], null, v0, s10, 0
	s_add_u32 s4, s46, s0
	s_mul_i32 s0, s6, s16
	s_mul_hi_u32 s5, s6, s14
	s_addc_u32 s18, s47, s1
	s_add_i32 s0, s5, s0
	s_mul_i32 s1, s7, s14
	v_lshlrev_b64 v[0:1], 3, v[2:3]
	s_add_i32 s1, s0, s1
	s_mul_i32 s0, s6, s14
	v_add_co_u32 v6, vcc_lo, v6, v16
	s_lshl_b64 s[0:1], s[0:1], 3
	v_add3_u32 v5, v5, v13, v7
	s_add_u32 s0, s4, s0
	v_add_co_ci_u32_e32 v12, vcc_lo, v17, v12, vcc_lo
	s_addc_u32 s1, s18, s1
	v_add_co_u32 v7, vcc_lo, s0, v0
	v_add_co_ci_u32_e32 v13, vcc_lo, s1, v1, vcc_lo
	v_lshlrev_b64 v[0:1], 3, v[4:5]
	v_mul_lo_u32 v4, v9, s12
	v_mul_lo_u32 v5, v8, s13
	v_mad_u64_u32 v[2:3], null, v8, s12, 0
	s_mul_i32 s0, s22, s17
	s_delay_alu instid0(VALU_DEP_4)
	v_add_co_u32 v8, vcc_lo, v7, v0
	v_add_co_ci_u32_e32 v9, vcc_lo, v13, v1, vcc_lo
	v_mul_lo_u32 v7, v12, s26
	v_mul_lo_u32 v12, v6, s27
	v_mad_u64_u32 v[0:1], null, v6, s26, 0
	s_mul_hi_u32 s1, s22, s15
	v_add3_u32 v3, v3, v5, v4
	s_add_i32 s0, s1, s0
	s_mul_i32 s1, s23, s15
	v_mul_lo_u32 v6, v11, s28
	s_add_i32 s1, s0, s1
	s_mul_i32 s0, s22, s15
	v_mul_lo_u32 v11, v10, s29
	v_mad_u64_u32 v[4:5], null, v10, s28, 0
	s_lshl_b64 s[0:1], s[0:1], 3
	v_add3_u32 v1, v1, v12, v7
	s_add_u32 s2, s44, s0
	s_mul_i32 s0, s24, s16
	s_mul_hi_u32 s3, s24, s14
	s_addc_u32 s4, s45, s1
	s_add_i32 s0, s3, s0
	s_mul_i32 s1, s25, s14
	v_lshlrev_b64 v[0:1], 3, v[0:1]
	s_add_i32 s1, s0, s1
	s_mul_i32 s0, s24, s14
	v_add3_u32 v5, v5, v11, v6
	v_mul_lo_u32 v10, v15, s30
	v_mul_lo_u32 v11, v14, s31
	v_mad_u64_u32 v[6:7], null, v14, s30, 0
	s_lshl_b64 s[0:1], s[0:1], 3
	v_lshlrev_b64 v[4:5], 3, v[4:5]
	s_add_u32 s0, s2, s0
	s_addc_u32 s1, s4, s1
	v_add_co_u32 v0, vcc_lo, s0, v0
	v_add_co_ci_u32_e32 v1, vcc_lo, s1, v1, vcc_lo
	s_delay_alu instid0(VALU_DEP_4) | instskip(SKIP_1) | instid1(VALU_DEP_4)
	v_add3_u32 v7, v7, v11, v10
	v_lshlrev_b64 v[2:3], 3, v[2:3]
	v_add_co_u32 v4, vcc_lo, v0, v4
	s_delay_alu instid0(VALU_DEP_4) | instskip(NEXT) | instid1(VALU_DEP_4)
	v_add_co_ci_u32_e32 v5, vcc_lo, v1, v5, vcc_lo
	v_lshlrev_b64 v[0:1], 3, v[6:7]
	s_delay_alu instid0(VALU_DEP_4) | instskip(SKIP_2) | instid1(VALU_DEP_3)
	v_add_co_u32 v2, vcc_lo, v8, v2
	v_add_co_ci_u32_e32 v3, vcc_lo, v9, v3, vcc_lo
	s_mov_b32 s0, 0
	v_add_co_u32 v4, vcc_lo, v4, v0
	s_delay_alu instid0(VALU_DEP_4)
	v_add_co_ci_u32_e32 v5, vcc_lo, v5, v1, vcc_lo
	global_load_b64 v[6:7], v[2:3], off
	global_load_b64 v[2:3], v[4:5], off
.LBB68_14:                              ; =>This Inner Loop Header: Depth=1
	s_waitcnt vmcnt(0)
	v_add_f64 v[0:1], v[2:3], v[6:7]
	global_atomic_cmpswap_b64 v[0:1], v[4:5], v[0:3], off glc
	s_waitcnt vmcnt(0)
	v_cmp_eq_u64_e32 vcc_lo, v[0:1], v[2:3]
	v_dual_mov_b32 v3, v1 :: v_dual_mov_b32 v2, v0
	s_or_b32 s0, vcc_lo, s0
	s_delay_alu instid0(SALU_CYCLE_1)
	s_and_not1_b32 exec_lo, exec_lo, s0
	s_cbranch_execnz .LBB68_14
.LBB68_15:
	s_endpgm
	.section	.rodata,"a",@progbits
	.p2align	6, 0x0
	.amdhsa_kernel _ZN2at6native12_GLOBAL__N_136reflection_pad3d_backward_out_kernelIdEEvN5torch10headeronly6detail27GenericPackedTensorAccessorINS5_14TensorAccessorIN3c108ArrayRefIlEET_Lm4ENS4_16DefaultPtrTraitsElEENS_6detail16IndexBoundsCheckILm5ElEESB_Lm5ESC_lEENS6_INS7_ISA_KSB_Lm4ESC_lEESG_SI_Lm5ESC_lEElllll
		.amdhsa_group_segment_fixed_size 0
		.amdhsa_private_segment_fixed_size 0
		.amdhsa_kernarg_size 472
		.amdhsa_user_sgpr_count 13
		.amdhsa_user_sgpr_dispatch_ptr 0
		.amdhsa_user_sgpr_queue_ptr 0
		.amdhsa_user_sgpr_kernarg_segment_ptr 1
		.amdhsa_user_sgpr_dispatch_id 0
		.amdhsa_user_sgpr_private_segment_size 0
		.amdhsa_wavefront_size32 1
		.amdhsa_uses_dynamic_stack 0
		.amdhsa_enable_private_segment 0
		.amdhsa_system_sgpr_workgroup_id_x 1
		.amdhsa_system_sgpr_workgroup_id_y 1
		.amdhsa_system_sgpr_workgroup_id_z 1
		.amdhsa_system_sgpr_workgroup_info 0
		.amdhsa_system_vgpr_workitem_id 0
		.amdhsa_next_free_vgpr 18
		.amdhsa_next_free_sgpr 58
		.amdhsa_reserve_vcc 1
		.amdhsa_float_round_mode_32 0
		.amdhsa_float_round_mode_16_64 0
		.amdhsa_float_denorm_mode_32 3
		.amdhsa_float_denorm_mode_16_64 3
		.amdhsa_dx10_clamp 1
		.amdhsa_ieee_mode 1
		.amdhsa_fp16_overflow 0
		.amdhsa_workgroup_processor_mode 1
		.amdhsa_memory_ordered 1
		.amdhsa_forward_progress 0
		.amdhsa_shared_vgpr_count 0
		.amdhsa_exception_fp_ieee_invalid_op 0
		.amdhsa_exception_fp_denorm_src 0
		.amdhsa_exception_fp_ieee_div_zero 0
		.amdhsa_exception_fp_ieee_overflow 0
		.amdhsa_exception_fp_ieee_underflow 0
		.amdhsa_exception_fp_ieee_inexact 0
		.amdhsa_exception_int_div_zero 0
	.end_amdhsa_kernel
	.section	.text._ZN2at6native12_GLOBAL__N_136reflection_pad3d_backward_out_kernelIdEEvN5torch10headeronly6detail27GenericPackedTensorAccessorINS5_14TensorAccessorIN3c108ArrayRefIlEET_Lm4ENS4_16DefaultPtrTraitsElEENS_6detail16IndexBoundsCheckILm5ElEESB_Lm5ESC_lEENS6_INS7_ISA_KSB_Lm4ESC_lEESG_SI_Lm5ESC_lEElllll,"axG",@progbits,_ZN2at6native12_GLOBAL__N_136reflection_pad3d_backward_out_kernelIdEEvN5torch10headeronly6detail27GenericPackedTensorAccessorINS5_14TensorAccessorIN3c108ArrayRefIlEET_Lm4ENS4_16DefaultPtrTraitsElEENS_6detail16IndexBoundsCheckILm5ElEESB_Lm5ESC_lEENS6_INS7_ISA_KSB_Lm4ESC_lEESG_SI_Lm5ESC_lEElllll,comdat
.Lfunc_end68:
	.size	_ZN2at6native12_GLOBAL__N_136reflection_pad3d_backward_out_kernelIdEEvN5torch10headeronly6detail27GenericPackedTensorAccessorINS5_14TensorAccessorIN3c108ArrayRefIlEET_Lm4ENS4_16DefaultPtrTraitsElEENS_6detail16IndexBoundsCheckILm5ElEESB_Lm5ESC_lEENS6_INS7_ISA_KSB_Lm4ESC_lEESG_SI_Lm5ESC_lEElllll, .Lfunc_end68-_ZN2at6native12_GLOBAL__N_136reflection_pad3d_backward_out_kernelIdEEvN5torch10headeronly6detail27GenericPackedTensorAccessorINS5_14TensorAccessorIN3c108ArrayRefIlEET_Lm4ENS4_16DefaultPtrTraitsElEENS_6detail16IndexBoundsCheckILm5ElEESB_Lm5ESC_lEENS6_INS7_ISA_KSB_Lm4ESC_lEESG_SI_Lm5ESC_lEElllll
                                        ; -- End function
	.section	.AMDGPU.csdata,"",@progbits
; Kernel info:
; codeLenInByte = 4476
; NumSgprs: 60
; NumVgprs: 18
; ScratchSize: 0
; MemoryBound: 0
; FloatMode: 240
; IeeeMode: 1
; LDSByteSize: 0 bytes/workgroup (compile time only)
; SGPRBlocks: 7
; VGPRBlocks: 2
; NumSGPRsForWavesPerEU: 60
; NumVGPRsForWavesPerEU: 18
; Occupancy: 16
; WaveLimiterHint : 0
; COMPUTE_PGM_RSRC2:SCRATCH_EN: 0
; COMPUTE_PGM_RSRC2:USER_SGPR: 13
; COMPUTE_PGM_RSRC2:TRAP_HANDLER: 0
; COMPUTE_PGM_RSRC2:TGID_X_EN: 1
; COMPUTE_PGM_RSRC2:TGID_Y_EN: 1
; COMPUTE_PGM_RSRC2:TGID_Z_EN: 1
; COMPUTE_PGM_RSRC2:TIDIG_COMP_CNT: 0
	.section	.text._ZN2at6native12_GLOBAL__N_136reflection_pad3d_backward_out_kernelIfEEvN5torch10headeronly6detail27GenericPackedTensorAccessorINS5_14TensorAccessorIN3c108ArrayRefIlEET_Lm4ENS4_16DefaultPtrTraitsElEENS_6detail16IndexBoundsCheckILm5ElEESB_Lm5ESC_lEENS6_INS7_ISA_KSB_Lm4ESC_lEESG_SI_Lm5ESC_lEElllll,"axG",@progbits,_ZN2at6native12_GLOBAL__N_136reflection_pad3d_backward_out_kernelIfEEvN5torch10headeronly6detail27GenericPackedTensorAccessorINS5_14TensorAccessorIN3c108ArrayRefIlEET_Lm4ENS4_16DefaultPtrTraitsElEENS_6detail16IndexBoundsCheckILm5ElEESB_Lm5ESC_lEENS6_INS7_ISA_KSB_Lm4ESC_lEESG_SI_Lm5ESC_lEElllll,comdat
	.globl	_ZN2at6native12_GLOBAL__N_136reflection_pad3d_backward_out_kernelIfEEvN5torch10headeronly6detail27GenericPackedTensorAccessorINS5_14TensorAccessorIN3c108ArrayRefIlEET_Lm4ENS4_16DefaultPtrTraitsElEENS_6detail16IndexBoundsCheckILm5ElEESB_Lm5ESC_lEENS6_INS7_ISA_KSB_Lm4ESC_lEESG_SI_Lm5ESC_lEElllll ; -- Begin function _ZN2at6native12_GLOBAL__N_136reflection_pad3d_backward_out_kernelIfEEvN5torch10headeronly6detail27GenericPackedTensorAccessorINS5_14TensorAccessorIN3c108ArrayRefIlEET_Lm4ENS4_16DefaultPtrTraitsElEENS_6detail16IndexBoundsCheckILm5ElEESB_Lm5ESC_lEENS6_INS7_ISA_KSB_Lm4ESC_lEESG_SI_Lm5ESC_lEElllll
	.p2align	8
	.type	_ZN2at6native12_GLOBAL__N_136reflection_pad3d_backward_out_kernelIfEEvN5torch10headeronly6detail27GenericPackedTensorAccessorINS5_14TensorAccessorIN3c108ArrayRefIlEET_Lm4ENS4_16DefaultPtrTraitsElEENS_6detail16IndexBoundsCheckILm5ElEESB_Lm5ESC_lEENS6_INS7_ISA_KSB_Lm4ESC_lEESG_SI_Lm5ESC_lEElllll,@function
_ZN2at6native12_GLOBAL__N_136reflection_pad3d_backward_out_kernelIfEEvN5torch10headeronly6detail27GenericPackedTensorAccessorINS5_14TensorAccessorIN3c108ArrayRefIlEET_Lm4ENS4_16DefaultPtrTraitsElEENS_6detail16IndexBoundsCheckILm5ElEESB_Lm5ESC_lEENS6_INS7_ISA_KSB_Lm4ESC_lEESG_SI_Lm5ESC_lEElllll: ; @_ZN2at6native12_GLOBAL__N_136reflection_pad3d_backward_out_kernelIfEEvN5torch10headeronly6detail27GenericPackedTensorAccessorINS5_14TensorAccessorIN3c108ArrayRefIlEET_Lm4ENS4_16DefaultPtrTraitsElEENS_6detail16IndexBoundsCheckILm5ElEESB_Lm5ESC_lEENS6_INS7_ISA_KSB_Lm4ESC_lEESG_SI_Lm5ESC_lEElllll
; %bb.0:
	s_clause 0x2
	s_load_b32 s2, s[0:1], 0xe4
	s_load_b128 s[16:19], s[0:1], 0x70
	s_load_b64 s[34:35], s[0:1], 0x80
	v_mov_b32_e32 v4, 0
	s_delay_alu instid0(VALU_DEP_1)
	v_mov_b32_e32 v1, v4
	s_waitcnt lgkmcnt(0)
	s_and_b32 s2, s2, 0xffff
	s_mul_i32 s4, s34, s19
	s_mul_hi_u32 s5, s34, s18
	s_mul_i32 s6, s35, s18
	s_mul_i32 s3, s34, s18
	v_mad_u64_u32 v[2:3], null, s2, s13, v[0:1]
	s_add_i32 s20, s5, s4
	s_mul_i32 s2, s3, s17
	s_mul_hi_u32 s4, s3, s16
	s_add_i32 s20, s20, s6
	s_add_i32 s2, s4, s2
	s_mul_i32 s4, s20, s16
	s_delay_alu instid0(SALU_CYCLE_1)
	s_add_i32 s5, s2, s4
	s_mul_i32 s4, s3, s16
	s_mov_b32 s2, exec_lo
	v_cmpx_gt_i64_e64 s[4:5], v[2:3]
	s_cbranch_execz .LBB69_15
; %bb.1:
	v_or_b32_e32 v5, s35, v3
	s_delay_alu instid0(VALU_DEP_1) | instskip(SKIP_1) | instid1(SALU_CYCLE_1)
	v_cmp_ne_u64_e32 vcc_lo, 0, v[4:5]
                                        ; implicit-def: $vgpr4_vgpr5
	s_and_saveexec_b32 s2, vcc_lo
	s_xor_b32 s8, exec_lo, s2
	s_cbranch_execz .LBB69_3
; %bb.2:
	s_ashr_i32 s4, s35, 31
	s_delay_alu instid0(SALU_CYCLE_1) | instskip(SKIP_2) | instid1(SALU_CYCLE_1)
	s_add_u32 s6, s34, s4
	s_mov_b32 s5, s4
	s_addc_u32 s7, s35, s4
	s_xor_b64 s[6:7], s[6:7], s[4:5]
	s_delay_alu instid0(SALU_CYCLE_1) | instskip(SKIP_3) | instid1(VALU_DEP_1)
	v_cvt_f32_u32_e32 v0, s6
	v_cvt_f32_u32_e32 v1, s7
	s_sub_u32 s2, 0, s6
	s_subb_u32 s5, 0, s7
	v_fmamk_f32 v0, v1, 0x4f800000, v0
	s_delay_alu instid0(VALU_DEP_1) | instskip(SKIP_2) | instid1(VALU_DEP_1)
	v_rcp_f32_e32 v0, v0
	s_waitcnt_depctr 0xfff
	v_mul_f32_e32 v0, 0x5f7ffffc, v0
	v_mul_f32_e32 v1, 0x2f800000, v0
	s_delay_alu instid0(VALU_DEP_1) | instskip(NEXT) | instid1(VALU_DEP_1)
	v_trunc_f32_e32 v1, v1
	v_fmamk_f32 v0, v1, 0xcf800000, v0
	v_cvt_u32_f32_e32 v1, v1
	s_delay_alu instid0(VALU_DEP_2) | instskip(NEXT) | instid1(VALU_DEP_2)
	v_cvt_u32_f32_e32 v0, v0
	v_mul_lo_u32 v4, s2, v1
	s_delay_alu instid0(VALU_DEP_2) | instskip(SKIP_1) | instid1(VALU_DEP_2)
	v_mul_hi_u32 v5, s2, v0
	v_mul_lo_u32 v6, s5, v0
	v_add_nc_u32_e32 v4, v5, v4
	v_mul_lo_u32 v5, s2, v0
	s_delay_alu instid0(VALU_DEP_2) | instskip(NEXT) | instid1(VALU_DEP_2)
	v_add_nc_u32_e32 v4, v4, v6
	v_mul_hi_u32 v6, v0, v5
	s_delay_alu instid0(VALU_DEP_2)
	v_mul_lo_u32 v7, v0, v4
	v_mul_hi_u32 v8, v0, v4
	v_mul_hi_u32 v9, v1, v5
	v_mul_lo_u32 v5, v1, v5
	v_mul_hi_u32 v10, v1, v4
	v_mul_lo_u32 v4, v1, v4
	v_add_co_u32 v6, vcc_lo, v6, v7
	v_add_co_ci_u32_e32 v7, vcc_lo, 0, v8, vcc_lo
	s_delay_alu instid0(VALU_DEP_2) | instskip(NEXT) | instid1(VALU_DEP_2)
	v_add_co_u32 v5, vcc_lo, v6, v5
	v_add_co_ci_u32_e32 v5, vcc_lo, v7, v9, vcc_lo
	v_add_co_ci_u32_e32 v6, vcc_lo, 0, v10, vcc_lo
	v_ashrrev_i32_e32 v9, 31, v3
	s_delay_alu instid0(VALU_DEP_3) | instskip(NEXT) | instid1(VALU_DEP_3)
	v_add_co_u32 v4, vcc_lo, v5, v4
	v_add_co_ci_u32_e32 v5, vcc_lo, 0, v6, vcc_lo
	s_delay_alu instid0(VALU_DEP_2) | instskip(NEXT) | instid1(VALU_DEP_2)
	v_add_co_u32 v0, vcc_lo, v0, v4
	v_add_co_ci_u32_e32 v1, vcc_lo, v1, v5, vcc_lo
	s_delay_alu instid0(VALU_DEP_2) | instskip(SKIP_1) | instid1(VALU_DEP_3)
	v_mul_hi_u32 v4, s2, v0
	v_mul_lo_u32 v6, s5, v0
	v_mul_lo_u32 v5, s2, v1
	s_delay_alu instid0(VALU_DEP_1) | instskip(SKIP_1) | instid1(VALU_DEP_2)
	v_add_nc_u32_e32 v4, v4, v5
	v_mul_lo_u32 v5, s2, v0
	v_add_nc_u32_e32 v4, v4, v6
	s_delay_alu instid0(VALU_DEP_2) | instskip(NEXT) | instid1(VALU_DEP_2)
	v_mul_hi_u32 v6, v0, v5
	v_mul_lo_u32 v7, v0, v4
	v_mul_hi_u32 v8, v0, v4
	v_mul_hi_u32 v10, v1, v5
	v_mul_lo_u32 v5, v1, v5
	v_mul_hi_u32 v11, v1, v4
	v_mul_lo_u32 v4, v1, v4
	v_add_co_u32 v6, vcc_lo, v6, v7
	v_add_co_ci_u32_e32 v7, vcc_lo, 0, v8, vcc_lo
	s_delay_alu instid0(VALU_DEP_2) | instskip(NEXT) | instid1(VALU_DEP_2)
	v_add_co_u32 v5, vcc_lo, v6, v5
	v_add_co_ci_u32_e32 v5, vcc_lo, v7, v10, vcc_lo
	v_add_co_ci_u32_e32 v6, vcc_lo, 0, v11, vcc_lo
	v_add_co_u32 v7, vcc_lo, v2, v9
	v_add_co_ci_u32_e32 v8, vcc_lo, v3, v9, vcc_lo
	s_delay_alu instid0(VALU_DEP_4) | instskip(NEXT) | instid1(VALU_DEP_4)
	v_add_co_u32 v4, vcc_lo, v5, v4
	v_add_co_ci_u32_e32 v5, vcc_lo, 0, v6, vcc_lo
	s_delay_alu instid0(VALU_DEP_4) | instskip(NEXT) | instid1(VALU_DEP_3)
	v_xor_b32_e32 v10, v7, v9
	v_add_co_u32 v6, vcc_lo, v0, v4
	s_delay_alu instid0(VALU_DEP_3) | instskip(SKIP_1) | instid1(VALU_DEP_3)
	v_add_co_ci_u32_e32 v11, vcc_lo, v1, v5, vcc_lo
	v_xor_b32_e32 v8, v8, v9
	v_mul_hi_u32 v12, v10, v6
	s_delay_alu instid0(VALU_DEP_3) | instskip(NEXT) | instid1(VALU_DEP_3)
	v_mad_u64_u32 v[0:1], null, v10, v11, 0
	v_mad_u64_u32 v[4:5], null, v8, v6, 0
	;; [unrolled: 1-line block ×3, first 2 shown]
	s_delay_alu instid0(VALU_DEP_3) | instskip(NEXT) | instid1(VALU_DEP_4)
	v_add_co_u32 v0, vcc_lo, v12, v0
	v_add_co_ci_u32_e32 v1, vcc_lo, 0, v1, vcc_lo
	s_delay_alu instid0(VALU_DEP_2) | instskip(NEXT) | instid1(VALU_DEP_2)
	v_add_co_u32 v0, vcc_lo, v0, v4
	v_add_co_ci_u32_e32 v0, vcc_lo, v1, v5, vcc_lo
	v_add_co_ci_u32_e32 v1, vcc_lo, 0, v7, vcc_lo
	s_delay_alu instid0(VALU_DEP_2) | instskip(NEXT) | instid1(VALU_DEP_2)
	v_add_co_u32 v4, vcc_lo, v0, v6
	v_add_co_ci_u32_e32 v5, vcc_lo, 0, v1, vcc_lo
	s_delay_alu instid0(VALU_DEP_2) | instskip(SKIP_1) | instid1(VALU_DEP_3)
	v_mul_lo_u32 v6, s7, v4
	v_mad_u64_u32 v[0:1], null, s6, v4, 0
	v_mul_lo_u32 v7, s6, v5
	s_delay_alu instid0(VALU_DEP_2) | instskip(NEXT) | instid1(VALU_DEP_2)
	v_sub_co_u32 v0, vcc_lo, v10, v0
	v_add3_u32 v1, v1, v7, v6
	s_delay_alu instid0(VALU_DEP_1) | instskip(NEXT) | instid1(VALU_DEP_1)
	v_sub_nc_u32_e32 v6, v8, v1
	v_subrev_co_ci_u32_e64 v6, s2, s7, v6, vcc_lo
	v_add_co_u32 v7, s2, v4, 2
	s_delay_alu instid0(VALU_DEP_1) | instskip(SKIP_3) | instid1(VALU_DEP_3)
	v_add_co_ci_u32_e64 v10, s2, 0, v5, s2
	v_sub_co_u32 v11, s2, v0, s6
	v_sub_co_ci_u32_e32 v1, vcc_lo, v8, v1, vcc_lo
	v_subrev_co_ci_u32_e64 v6, s2, 0, v6, s2
	v_cmp_le_u32_e32 vcc_lo, s6, v11
	s_delay_alu instid0(VALU_DEP_3) | instskip(SKIP_1) | instid1(VALU_DEP_4)
	v_cmp_eq_u32_e64 s2, s7, v1
	v_cndmask_b32_e64 v8, 0, -1, vcc_lo
	v_cmp_le_u32_e32 vcc_lo, s7, v6
	v_cndmask_b32_e64 v11, 0, -1, vcc_lo
	v_cmp_le_u32_e32 vcc_lo, s6, v0
	;; [unrolled: 2-line block ×3, first 2 shown]
	v_cndmask_b32_e64 v12, 0, -1, vcc_lo
	v_cmp_eq_u32_e32 vcc_lo, s7, v6
	s_delay_alu instid0(VALU_DEP_2) | instskip(SKIP_3) | instid1(VALU_DEP_3)
	v_cndmask_b32_e64 v0, v12, v0, s2
	v_cndmask_b32_e32 v6, v11, v8, vcc_lo
	v_add_co_u32 v8, vcc_lo, v4, 1
	v_add_co_ci_u32_e32 v11, vcc_lo, 0, v5, vcc_lo
	v_cmp_ne_u32_e32 vcc_lo, 0, v6
	s_delay_alu instid0(VALU_DEP_2) | instskip(SKIP_2) | instid1(VALU_DEP_3)
	v_dual_cndmask_b32 v1, v11, v10 :: v_dual_cndmask_b32 v6, v8, v7
	v_cmp_ne_u32_e32 vcc_lo, 0, v0
	v_xor_b32_e32 v0, s4, v9
	v_dual_cndmask_b32 v4, v4, v6 :: v_dual_cndmask_b32 v1, v5, v1
	s_delay_alu instid0(VALU_DEP_1) | instskip(NEXT) | instid1(VALU_DEP_2)
	v_xor_b32_e32 v4, v4, v0
	v_xor_b32_e32 v1, v1, v0
	s_delay_alu instid0(VALU_DEP_2) | instskip(NEXT) | instid1(VALU_DEP_2)
	v_sub_co_u32 v4, vcc_lo, v4, v0
	v_sub_co_ci_u32_e32 v5, vcc_lo, v1, v0, vcc_lo
.LBB69_3:
	s_and_not1_saveexec_b32 s2, s8
	s_cbranch_execz .LBB69_5
; %bb.4:
	v_cvt_f32_u32_e32 v0, s34
	s_sub_i32 s4, 0, s34
	s_delay_alu instid0(VALU_DEP_1) | instskip(SKIP_2) | instid1(VALU_DEP_1)
	v_rcp_iflag_f32_e32 v0, v0
	s_waitcnt_depctr 0xfff
	v_mul_f32_e32 v0, 0x4f7ffffe, v0
	v_cvt_u32_f32_e32 v0, v0
	s_delay_alu instid0(VALU_DEP_1) | instskip(NEXT) | instid1(VALU_DEP_1)
	v_mul_lo_u32 v1, s4, v0
	v_mul_hi_u32 v1, v0, v1
	s_delay_alu instid0(VALU_DEP_1) | instskip(NEXT) | instid1(VALU_DEP_1)
	v_add_nc_u32_e32 v0, v0, v1
	v_mul_hi_u32 v0, v2, v0
	s_delay_alu instid0(VALU_DEP_1) | instskip(SKIP_1) | instid1(VALU_DEP_2)
	v_mul_lo_u32 v1, v0, s34
	v_add_nc_u32_e32 v4, 1, v0
	v_sub_nc_u32_e32 v1, v2, v1
	s_delay_alu instid0(VALU_DEP_1) | instskip(SKIP_1) | instid1(VALU_DEP_2)
	v_subrev_nc_u32_e32 v5, s34, v1
	v_cmp_le_u32_e32 vcc_lo, s34, v1
	v_cndmask_b32_e32 v1, v1, v5, vcc_lo
	v_dual_mov_b32 v5, 0 :: v_dual_cndmask_b32 v0, v0, v4
	s_delay_alu instid0(VALU_DEP_2) | instskip(NEXT) | instid1(VALU_DEP_2)
	v_cmp_le_u32_e32 vcc_lo, s34, v1
	v_add_nc_u32_e32 v4, 1, v0
	s_delay_alu instid0(VALU_DEP_1)
	v_cndmask_b32_e32 v4, v0, v4, vcc_lo
.LBB69_5:
	s_or_b32 exec_lo, exec_lo, s2
	s_delay_alu instid0(VALU_DEP_1) | instskip(SKIP_1) | instid1(VALU_DEP_1)
	v_or_b32_e32 v1, s19, v5
	v_mov_b32_e32 v0, 0
	v_cmp_ne_u64_e32 vcc_lo, 0, v[0:1]
                                        ; implicit-def: $vgpr0_vgpr1
	s_and_saveexec_b32 s2, vcc_lo
	s_delay_alu instid0(SALU_CYCLE_1)
	s_xor_b32 s6, exec_lo, s2
	s_cbranch_execz .LBB69_7
; %bb.6:
	s_ashr_i32 s4, s19, 31
	s_delay_alu instid0(SALU_CYCLE_1) | instskip(SKIP_2) | instid1(SALU_CYCLE_1)
	s_add_u32 s8, s18, s4
	s_mov_b32 s5, s4
	s_addc_u32 s9, s19, s4
	s_xor_b64 s[4:5], s[8:9], s[4:5]
	s_delay_alu instid0(SALU_CYCLE_1) | instskip(SKIP_3) | instid1(VALU_DEP_1)
	v_cvt_f32_u32_e32 v0, s4
	v_cvt_f32_u32_e32 v1, s5
	s_sub_u32 s2, 0, s4
	s_subb_u32 s7, 0, s5
	v_fmamk_f32 v0, v1, 0x4f800000, v0
	s_delay_alu instid0(VALU_DEP_1) | instskip(SKIP_2) | instid1(VALU_DEP_1)
	v_rcp_f32_e32 v0, v0
	s_waitcnt_depctr 0xfff
	v_mul_f32_e32 v0, 0x5f7ffffc, v0
	v_mul_f32_e32 v1, 0x2f800000, v0
	s_delay_alu instid0(VALU_DEP_1) | instskip(NEXT) | instid1(VALU_DEP_1)
	v_trunc_f32_e32 v1, v1
	v_fmamk_f32 v0, v1, 0xcf800000, v0
	v_cvt_u32_f32_e32 v1, v1
	s_delay_alu instid0(VALU_DEP_2) | instskip(NEXT) | instid1(VALU_DEP_2)
	v_cvt_u32_f32_e32 v0, v0
	v_mul_lo_u32 v6, s2, v1
	s_delay_alu instid0(VALU_DEP_2) | instskip(SKIP_1) | instid1(VALU_DEP_2)
	v_mul_hi_u32 v7, s2, v0
	v_mul_lo_u32 v8, s7, v0
	v_add_nc_u32_e32 v6, v7, v6
	v_mul_lo_u32 v7, s2, v0
	s_delay_alu instid0(VALU_DEP_2) | instskip(NEXT) | instid1(VALU_DEP_2)
	v_add_nc_u32_e32 v6, v6, v8
	v_mul_hi_u32 v8, v0, v7
	s_delay_alu instid0(VALU_DEP_2)
	v_mul_lo_u32 v9, v0, v6
	v_mul_hi_u32 v10, v0, v6
	v_mul_hi_u32 v11, v1, v7
	v_mul_lo_u32 v7, v1, v7
	v_mul_hi_u32 v12, v1, v6
	v_mul_lo_u32 v6, v1, v6
	v_add_co_u32 v8, vcc_lo, v8, v9
	v_add_co_ci_u32_e32 v9, vcc_lo, 0, v10, vcc_lo
	s_delay_alu instid0(VALU_DEP_2) | instskip(NEXT) | instid1(VALU_DEP_2)
	v_add_co_u32 v7, vcc_lo, v8, v7
	v_add_co_ci_u32_e32 v7, vcc_lo, v9, v11, vcc_lo
	v_add_co_ci_u32_e32 v8, vcc_lo, 0, v12, vcc_lo
	v_ashrrev_i32_e32 v11, 31, v5
	s_delay_alu instid0(VALU_DEP_3) | instskip(NEXT) | instid1(VALU_DEP_3)
	v_add_co_u32 v6, vcc_lo, v7, v6
	v_add_co_ci_u32_e32 v7, vcc_lo, 0, v8, vcc_lo
	s_delay_alu instid0(VALU_DEP_2) | instskip(NEXT) | instid1(VALU_DEP_2)
	v_add_co_u32 v0, vcc_lo, v0, v6
	v_add_co_ci_u32_e32 v1, vcc_lo, v1, v7, vcc_lo
	s_delay_alu instid0(VALU_DEP_2) | instskip(SKIP_1) | instid1(VALU_DEP_3)
	v_mul_hi_u32 v6, s2, v0
	v_mul_lo_u32 v8, s7, v0
	v_mul_lo_u32 v7, s2, v1
	s_delay_alu instid0(VALU_DEP_1) | instskip(SKIP_1) | instid1(VALU_DEP_2)
	v_add_nc_u32_e32 v6, v6, v7
	v_mul_lo_u32 v7, s2, v0
	v_add_nc_u32_e32 v6, v6, v8
	s_delay_alu instid0(VALU_DEP_2) | instskip(NEXT) | instid1(VALU_DEP_2)
	v_mul_hi_u32 v8, v0, v7
	v_mul_lo_u32 v9, v0, v6
	v_mul_hi_u32 v10, v0, v6
	v_mul_hi_u32 v12, v1, v7
	v_mul_lo_u32 v7, v1, v7
	v_mul_hi_u32 v13, v1, v6
	v_mul_lo_u32 v6, v1, v6
	v_add_co_u32 v8, vcc_lo, v8, v9
	v_add_co_ci_u32_e32 v9, vcc_lo, 0, v10, vcc_lo
	s_delay_alu instid0(VALU_DEP_2) | instskip(NEXT) | instid1(VALU_DEP_2)
	v_add_co_u32 v7, vcc_lo, v8, v7
	v_add_co_ci_u32_e32 v7, vcc_lo, v9, v12, vcc_lo
	v_add_co_ci_u32_e32 v8, vcc_lo, 0, v13, vcc_lo
	v_add_co_u32 v9, vcc_lo, v4, v11
	v_add_co_ci_u32_e32 v10, vcc_lo, v5, v11, vcc_lo
	s_delay_alu instid0(VALU_DEP_4) | instskip(NEXT) | instid1(VALU_DEP_4)
	v_add_co_u32 v6, vcc_lo, v7, v6
	v_add_co_ci_u32_e32 v7, vcc_lo, 0, v8, vcc_lo
	s_delay_alu instid0(VALU_DEP_4) | instskip(NEXT) | instid1(VALU_DEP_3)
	v_xor_b32_e32 v12, v9, v11
	v_add_co_u32 v8, vcc_lo, v0, v6
	s_delay_alu instid0(VALU_DEP_3) | instskip(SKIP_1) | instid1(VALU_DEP_3)
	v_add_co_ci_u32_e32 v13, vcc_lo, v1, v7, vcc_lo
	v_xor_b32_e32 v10, v10, v11
	v_mul_hi_u32 v14, v12, v8
	s_delay_alu instid0(VALU_DEP_3) | instskip(NEXT) | instid1(VALU_DEP_3)
	v_mad_u64_u32 v[0:1], null, v12, v13, 0
	v_mad_u64_u32 v[6:7], null, v10, v8, 0
	;; [unrolled: 1-line block ×3, first 2 shown]
	s_delay_alu instid0(VALU_DEP_3) | instskip(NEXT) | instid1(VALU_DEP_4)
	v_add_co_u32 v0, vcc_lo, v14, v0
	v_add_co_ci_u32_e32 v1, vcc_lo, 0, v1, vcc_lo
	s_delay_alu instid0(VALU_DEP_2) | instskip(NEXT) | instid1(VALU_DEP_2)
	v_add_co_u32 v0, vcc_lo, v0, v6
	v_add_co_ci_u32_e32 v0, vcc_lo, v1, v7, vcc_lo
	v_add_co_ci_u32_e32 v1, vcc_lo, 0, v9, vcc_lo
	s_delay_alu instid0(VALU_DEP_2) | instskip(NEXT) | instid1(VALU_DEP_2)
	v_add_co_u32 v6, vcc_lo, v0, v8
	v_add_co_ci_u32_e32 v7, vcc_lo, 0, v1, vcc_lo
	s_delay_alu instid0(VALU_DEP_2) | instskip(SKIP_1) | instid1(VALU_DEP_3)
	v_mul_lo_u32 v8, s5, v6
	v_mad_u64_u32 v[0:1], null, s4, v6, 0
	v_mul_lo_u32 v6, s4, v7
	s_delay_alu instid0(VALU_DEP_2) | instskip(NEXT) | instid1(VALU_DEP_2)
	v_sub_co_u32 v0, vcc_lo, v12, v0
	v_add3_u32 v1, v1, v6, v8
	s_delay_alu instid0(VALU_DEP_1) | instskip(NEXT) | instid1(VALU_DEP_1)
	v_sub_nc_u32_e32 v6, v10, v1
	v_subrev_co_ci_u32_e64 v6, s2, s5, v6, vcc_lo
	v_sub_co_ci_u32_e32 v1, vcc_lo, v10, v1, vcc_lo
	v_sub_co_u32 v7, vcc_lo, v0, s4
	s_delay_alu instid0(VALU_DEP_1) | instskip(SKIP_3) | instid1(VALU_DEP_3)
	v_subrev_co_ci_u32_e64 v8, s2, 0, v6, vcc_lo
	v_cmp_le_u32_e64 s2, s4, v0
	v_subrev_co_ci_u32_e32 v6, vcc_lo, s5, v6, vcc_lo
	v_cmp_le_u32_e32 vcc_lo, s5, v1
	v_cndmask_b32_e64 v9, 0, -1, s2
	v_cmp_le_u32_e64 s2, s4, v7
	v_cndmask_b32_e64 v13, 0, -1, vcc_lo
	v_cmp_eq_u32_e32 vcc_lo, s5, v8
	s_delay_alu instid0(VALU_DEP_3) | instskip(SKIP_1) | instid1(VALU_DEP_1)
	v_cndmask_b32_e64 v10, 0, -1, s2
	v_cmp_le_u32_e64 s2, s5, v8
	v_cndmask_b32_e64 v12, 0, -1, s2
	v_cmp_eq_u32_e64 s2, s5, v1
	s_delay_alu instid0(VALU_DEP_2) | instskip(SKIP_2) | instid1(VALU_DEP_3)
	v_cndmask_b32_e32 v10, v12, v10, vcc_lo
	v_sub_co_u32 v12, vcc_lo, v7, s4
	v_subrev_co_ci_u32_e32 v6, vcc_lo, 0, v6, vcc_lo
	v_cmp_ne_u32_e32 vcc_lo, 0, v10
	v_cndmask_b32_e64 v9, v13, v9, s2
	s_delay_alu instid0(VALU_DEP_3) | instskip(NEXT) | instid1(VALU_DEP_2)
	v_dual_cndmask_b32 v6, v8, v6 :: v_dual_cndmask_b32 v7, v7, v12
	v_cmp_ne_u32_e32 vcc_lo, 0, v9
	s_delay_alu instid0(VALU_DEP_2) | instskip(NEXT) | instid1(VALU_DEP_1)
	v_dual_cndmask_b32 v0, v0, v7 :: v_dual_cndmask_b32 v1, v1, v6
	v_xor_b32_e32 v0, v0, v11
	s_delay_alu instid0(VALU_DEP_2) | instskip(NEXT) | instid1(VALU_DEP_2)
	v_xor_b32_e32 v1, v1, v11
	v_sub_co_u32 v0, vcc_lo, v0, v11
	s_delay_alu instid0(VALU_DEP_2)
	v_sub_co_ci_u32_e32 v1, vcc_lo, v1, v11, vcc_lo
.LBB69_7:
	s_or_saveexec_b32 s2, s6
	s_clause 0x1
	s_load_b64 s[12:13], s[0:1], 0xa8
	s_load_b256 s[4:11], s[0:1], 0x88
	s_xor_b32 exec_lo, exec_lo, s2
	s_cbranch_execz .LBB69_9
; %bb.8:
	v_cvt_f32_u32_e32 v0, s18
	s_sub_i32 s16, 0, s18
	s_delay_alu instid0(VALU_DEP_1) | instskip(SKIP_2) | instid1(VALU_DEP_1)
	v_rcp_iflag_f32_e32 v0, v0
	s_waitcnt_depctr 0xfff
	v_mul_f32_e32 v0, 0x4f7ffffe, v0
	v_cvt_u32_f32_e32 v0, v0
	s_delay_alu instid0(VALU_DEP_1) | instskip(NEXT) | instid1(VALU_DEP_1)
	v_mul_lo_u32 v1, s16, v0
	v_mul_hi_u32 v1, v0, v1
	s_delay_alu instid0(VALU_DEP_1) | instskip(NEXT) | instid1(VALU_DEP_1)
	v_add_nc_u32_e32 v0, v0, v1
	v_mul_hi_u32 v0, v4, v0
	s_delay_alu instid0(VALU_DEP_1) | instskip(NEXT) | instid1(VALU_DEP_1)
	v_mul_lo_u32 v0, v0, s18
	v_sub_nc_u32_e32 v0, v4, v0
	s_delay_alu instid0(VALU_DEP_1) | instskip(SKIP_1) | instid1(VALU_DEP_2)
	v_subrev_nc_u32_e32 v1, s18, v0
	v_cmp_le_u32_e32 vcc_lo, s18, v0
	v_cndmask_b32_e32 v0, v0, v1, vcc_lo
	s_delay_alu instid0(VALU_DEP_1) | instskip(SKIP_1) | instid1(VALU_DEP_2)
	v_subrev_nc_u32_e32 v1, s18, v0
	v_cmp_le_u32_e32 vcc_lo, s18, v0
	v_dual_cndmask_b32 v0, v0, v1 :: v_dual_mov_b32 v1, 0
.LBB69_9:
	s_or_b32 exec_lo, exec_lo, s2
	s_clause 0x1
	s_load_b64 s[46:47], s[0:1], 0x58
	s_load_b64 s[44:45], s[0:1], 0x0
	v_or_b32_e32 v7, s20, v3
	v_mov_b32_e32 v6, 0
	s_delay_alu instid0(VALU_DEP_1) | instskip(SKIP_1) | instid1(SALU_CYCLE_1)
	v_cmp_ne_u64_e32 vcc_lo, 0, v[6:7]
                                        ; implicit-def: $vgpr6_vgpr7
	s_and_saveexec_b32 s2, vcc_lo
	s_xor_b32 s21, exec_lo, s2
	s_cbranch_execz .LBB69_11
; %bb.10:
	s_ashr_i32 s16, s20, 31
	s_delay_alu instid0(SALU_CYCLE_1) | instskip(SKIP_2) | instid1(SALU_CYCLE_1)
	s_add_u32 s18, s3, s16
	s_mov_b32 s17, s16
	s_addc_u32 s19, s20, s16
	s_xor_b64 s[18:19], s[18:19], s[16:17]
	s_delay_alu instid0(SALU_CYCLE_1) | instskip(SKIP_3) | instid1(VALU_DEP_1)
	v_cvt_f32_u32_e32 v6, s18
	v_cvt_f32_u32_e32 v7, s19
	s_sub_u32 s2, 0, s18
	s_subb_u32 s17, 0, s19
	v_fmamk_f32 v6, v7, 0x4f800000, v6
	s_delay_alu instid0(VALU_DEP_1) | instskip(SKIP_2) | instid1(VALU_DEP_1)
	v_rcp_f32_e32 v6, v6
	s_waitcnt_depctr 0xfff
	v_mul_f32_e32 v6, 0x5f7ffffc, v6
	v_mul_f32_e32 v7, 0x2f800000, v6
	s_delay_alu instid0(VALU_DEP_1) | instskip(NEXT) | instid1(VALU_DEP_1)
	v_trunc_f32_e32 v7, v7
	v_fmamk_f32 v6, v7, 0xcf800000, v6
	v_cvt_u32_f32_e32 v7, v7
	s_delay_alu instid0(VALU_DEP_2) | instskip(NEXT) | instid1(VALU_DEP_2)
	v_cvt_u32_f32_e32 v6, v6
	v_mul_lo_u32 v8, s2, v7
	s_delay_alu instid0(VALU_DEP_2) | instskip(SKIP_1) | instid1(VALU_DEP_2)
	v_mul_hi_u32 v9, s2, v6
	v_mul_lo_u32 v10, s17, v6
	v_add_nc_u32_e32 v8, v9, v8
	v_mul_lo_u32 v9, s2, v6
	s_delay_alu instid0(VALU_DEP_2) | instskip(NEXT) | instid1(VALU_DEP_2)
	v_add_nc_u32_e32 v8, v8, v10
	v_mul_hi_u32 v10, v6, v9
	s_delay_alu instid0(VALU_DEP_2)
	v_mul_lo_u32 v11, v6, v8
	v_mul_hi_u32 v12, v6, v8
	v_mul_hi_u32 v13, v7, v9
	v_mul_lo_u32 v9, v7, v9
	v_mul_hi_u32 v14, v7, v8
	v_mul_lo_u32 v8, v7, v8
	v_add_co_u32 v10, vcc_lo, v10, v11
	v_add_co_ci_u32_e32 v11, vcc_lo, 0, v12, vcc_lo
	s_delay_alu instid0(VALU_DEP_2) | instskip(NEXT) | instid1(VALU_DEP_2)
	v_add_co_u32 v9, vcc_lo, v10, v9
	v_add_co_ci_u32_e32 v9, vcc_lo, v11, v13, vcc_lo
	v_add_co_ci_u32_e32 v10, vcc_lo, 0, v14, vcc_lo
	v_ashrrev_i32_e32 v13, 31, v3
	s_delay_alu instid0(VALU_DEP_3) | instskip(NEXT) | instid1(VALU_DEP_3)
	v_add_co_u32 v8, vcc_lo, v9, v8
	v_add_co_ci_u32_e32 v9, vcc_lo, 0, v10, vcc_lo
	s_delay_alu instid0(VALU_DEP_2) | instskip(NEXT) | instid1(VALU_DEP_2)
	v_add_co_u32 v6, vcc_lo, v6, v8
	v_add_co_ci_u32_e32 v7, vcc_lo, v7, v9, vcc_lo
	s_delay_alu instid0(VALU_DEP_2) | instskip(SKIP_1) | instid1(VALU_DEP_3)
	v_mul_hi_u32 v8, s2, v6
	v_mul_lo_u32 v10, s17, v6
	v_mul_lo_u32 v9, s2, v7
	s_delay_alu instid0(VALU_DEP_1) | instskip(SKIP_1) | instid1(VALU_DEP_2)
	v_add_nc_u32_e32 v8, v8, v9
	v_mul_lo_u32 v9, s2, v6
	v_add_nc_u32_e32 v8, v8, v10
	s_delay_alu instid0(VALU_DEP_2) | instskip(NEXT) | instid1(VALU_DEP_2)
	v_mul_hi_u32 v10, v6, v9
	v_mul_lo_u32 v11, v6, v8
	v_mul_hi_u32 v12, v6, v8
	v_mul_hi_u32 v14, v7, v9
	v_mul_lo_u32 v9, v7, v9
	v_mul_hi_u32 v15, v7, v8
	v_mul_lo_u32 v8, v7, v8
	v_add_co_u32 v10, vcc_lo, v10, v11
	v_add_co_ci_u32_e32 v11, vcc_lo, 0, v12, vcc_lo
	s_delay_alu instid0(VALU_DEP_2) | instskip(NEXT) | instid1(VALU_DEP_2)
	v_add_co_u32 v9, vcc_lo, v10, v9
	v_add_co_ci_u32_e32 v9, vcc_lo, v11, v14, vcc_lo
	v_add_co_ci_u32_e32 v10, vcc_lo, 0, v15, vcc_lo
	v_add_co_u32 v11, vcc_lo, v2, v13
	v_add_co_ci_u32_e32 v12, vcc_lo, v3, v13, vcc_lo
	s_delay_alu instid0(VALU_DEP_4) | instskip(NEXT) | instid1(VALU_DEP_4)
	v_add_co_u32 v8, vcc_lo, v9, v8
	v_add_co_ci_u32_e32 v9, vcc_lo, 0, v10, vcc_lo
	s_delay_alu instid0(VALU_DEP_4) | instskip(NEXT) | instid1(VALU_DEP_3)
	v_xor_b32_e32 v14, v11, v13
	v_add_co_u32 v10, vcc_lo, v6, v8
	s_delay_alu instid0(VALU_DEP_3) | instskip(SKIP_1) | instid1(VALU_DEP_3)
	v_add_co_ci_u32_e32 v15, vcc_lo, v7, v9, vcc_lo
	v_xor_b32_e32 v12, v12, v13
	v_mul_hi_u32 v16, v14, v10
	s_delay_alu instid0(VALU_DEP_3) | instskip(NEXT) | instid1(VALU_DEP_3)
	v_mad_u64_u32 v[6:7], null, v14, v15, 0
	v_mad_u64_u32 v[8:9], null, v12, v10, 0
	;; [unrolled: 1-line block ×3, first 2 shown]
	s_delay_alu instid0(VALU_DEP_3) | instskip(NEXT) | instid1(VALU_DEP_4)
	v_add_co_u32 v6, vcc_lo, v16, v6
	v_add_co_ci_u32_e32 v7, vcc_lo, 0, v7, vcc_lo
	s_delay_alu instid0(VALU_DEP_2) | instskip(NEXT) | instid1(VALU_DEP_2)
	v_add_co_u32 v6, vcc_lo, v6, v8
	v_add_co_ci_u32_e32 v6, vcc_lo, v7, v9, vcc_lo
	v_add_co_ci_u32_e32 v7, vcc_lo, 0, v11, vcc_lo
	s_delay_alu instid0(VALU_DEP_2) | instskip(NEXT) | instid1(VALU_DEP_2)
	v_add_co_u32 v8, vcc_lo, v6, v10
	v_add_co_ci_u32_e32 v9, vcc_lo, 0, v7, vcc_lo
	s_delay_alu instid0(VALU_DEP_2) | instskip(SKIP_1) | instid1(VALU_DEP_3)
	v_mul_lo_u32 v10, s19, v8
	v_mad_u64_u32 v[6:7], null, s18, v8, 0
	v_mul_lo_u32 v11, s18, v9
	s_delay_alu instid0(VALU_DEP_2) | instskip(NEXT) | instid1(VALU_DEP_2)
	v_sub_co_u32 v6, vcc_lo, v14, v6
	v_add3_u32 v7, v7, v11, v10
	s_delay_alu instid0(VALU_DEP_1) | instskip(NEXT) | instid1(VALU_DEP_1)
	v_sub_nc_u32_e32 v10, v12, v7
	v_subrev_co_ci_u32_e64 v10, s2, s19, v10, vcc_lo
	v_add_co_u32 v11, s2, v8, 2
	s_delay_alu instid0(VALU_DEP_1) | instskip(SKIP_3) | instid1(VALU_DEP_3)
	v_add_co_ci_u32_e64 v14, s2, 0, v9, s2
	v_sub_co_u32 v15, s2, v6, s18
	v_sub_co_ci_u32_e32 v7, vcc_lo, v12, v7, vcc_lo
	v_subrev_co_ci_u32_e64 v10, s2, 0, v10, s2
	v_cmp_le_u32_e32 vcc_lo, s18, v15
	s_delay_alu instid0(VALU_DEP_3) | instskip(SKIP_1) | instid1(VALU_DEP_4)
	v_cmp_eq_u32_e64 s2, s19, v7
	v_cndmask_b32_e64 v12, 0, -1, vcc_lo
	v_cmp_le_u32_e32 vcc_lo, s19, v10
	v_cndmask_b32_e64 v15, 0, -1, vcc_lo
	v_cmp_le_u32_e32 vcc_lo, s18, v6
	;; [unrolled: 2-line block ×3, first 2 shown]
	v_cndmask_b32_e64 v16, 0, -1, vcc_lo
	v_cmp_eq_u32_e32 vcc_lo, s19, v10
	s_delay_alu instid0(VALU_DEP_2) | instskip(SKIP_3) | instid1(VALU_DEP_3)
	v_cndmask_b32_e64 v6, v16, v6, s2
	v_cndmask_b32_e32 v10, v15, v12, vcc_lo
	v_add_co_u32 v12, vcc_lo, v8, 1
	v_add_co_ci_u32_e32 v15, vcc_lo, 0, v9, vcc_lo
	v_cmp_ne_u32_e32 vcc_lo, 0, v10
	s_delay_alu instid0(VALU_DEP_2) | instskip(SKIP_2) | instid1(VALU_DEP_3)
	v_dual_cndmask_b32 v7, v15, v14 :: v_dual_cndmask_b32 v10, v12, v11
	v_cmp_ne_u32_e32 vcc_lo, 0, v6
	v_xor_b32_e32 v11, s16, v13
	v_dual_cndmask_b32 v6, v9, v7 :: v_dual_cndmask_b32 v7, v8, v10
	s_delay_alu instid0(VALU_DEP_1) | instskip(NEXT) | instid1(VALU_DEP_2)
	v_xor_b32_e32 v8, v6, v11
	v_xor_b32_e32 v7, v7, v11
	s_delay_alu instid0(VALU_DEP_1) | instskip(NEXT) | instid1(VALU_DEP_3)
	v_sub_co_u32 v6, vcc_lo, v7, v11
	v_sub_co_ci_u32_e32 v7, vcc_lo, v8, v11, vcc_lo
.LBB69_11:
	s_or_saveexec_b32 s2, s21
	s_load_b512 s[16:31], s[0:1], 0x18
	s_xor_b32 exec_lo, exec_lo, s2
	s_cbranch_execz .LBB69_13
; %bb.12:
	v_cvt_f32_u32_e32 v6, s3
	s_sub_i32 s33, 0, s3
	s_delay_alu instid0(VALU_DEP_1) | instskip(SKIP_2) | instid1(VALU_DEP_1)
	v_rcp_iflag_f32_e32 v6, v6
	s_waitcnt_depctr 0xfff
	v_mul_f32_e32 v6, 0x4f7ffffe, v6
	v_cvt_u32_f32_e32 v6, v6
	s_delay_alu instid0(VALU_DEP_1) | instskip(NEXT) | instid1(VALU_DEP_1)
	v_mul_lo_u32 v7, s33, v6
	v_mul_hi_u32 v7, v6, v7
	s_delay_alu instid0(VALU_DEP_1) | instskip(NEXT) | instid1(VALU_DEP_1)
	v_add_nc_u32_e32 v6, v6, v7
	v_mul_hi_u32 v6, v2, v6
	s_delay_alu instid0(VALU_DEP_1) | instskip(SKIP_1) | instid1(VALU_DEP_2)
	v_mul_lo_u32 v7, v6, s3
	v_add_nc_u32_e32 v8, 1, v6
	v_sub_nc_u32_e32 v7, v2, v7
	s_delay_alu instid0(VALU_DEP_1) | instskip(SKIP_1) | instid1(VALU_DEP_2)
	v_subrev_nc_u32_e32 v9, s3, v7
	v_cmp_le_u32_e32 vcc_lo, s3, v7
	v_dual_cndmask_b32 v7, v7, v9 :: v_dual_cndmask_b32 v6, v6, v8
	s_delay_alu instid0(VALU_DEP_1) | instskip(NEXT) | instid1(VALU_DEP_2)
	v_cmp_le_u32_e32 vcc_lo, s3, v7
	v_dual_mov_b32 v7, 0 :: v_dual_add_nc_u32 v8, 1, v6
	s_delay_alu instid0(VALU_DEP_1)
	v_cndmask_b32_e32 v6, v6, v8, vcc_lo
.LBB69_13:
	s_or_b32 exec_lo, exec_lo, s2
	s_load_b256 s[36:43], s[0:1], 0xb0
	v_mul_lo_u32 v5, v5, s34
	v_mul_lo_u32 v10, v4, s35
	v_mad_u64_u32 v[8:9], null, v4, s34, 0
	s_load_b64 s[0:1], s[0:1], 0xd0
	s_delay_alu instid0(VALU_DEP_1) | instskip(NEXT) | instid1(VALU_DEP_2)
	v_add3_u32 v4, v9, v10, v5
	v_sub_co_u32 v8, vcc_lo, v2, v8
	s_delay_alu instid0(VALU_DEP_2)
	v_sub_co_ci_u32_e32 v9, vcc_lo, v3, v4, vcc_lo
	s_waitcnt lgkmcnt(0)
	s_sub_u32 s2, 0, s36
	s_subb_u32 s3, 0, s37
	s_sub_u32 s34, 0, s38
	v_cmp_gt_i64_e64 s50, s[2:3], 0
	s_subb_u32 s35, 0, s39
	v_cmp_gt_i64_e64 s33, s[36:37], 0
	s_sub_u32 s48, 0, s40
	s_subb_u32 s49, 0, s41
	v_cmp_gt_i64_e64 s54, s[34:35], 0
	v_cmp_gt_i64_e64 s52, s[38:39], 0
	v_cmp_gt_i64_e64 s55, s[48:49], 0
	v_cmp_gt_i64_e64 s53, s[40:41], 0
	s_and_b32 s50, s50, exec_lo
	s_cselect_b32 s56, s3, 0
	s_cselect_b32 s57, s2, 0
	s_and_b32 s2, s33, exec_lo
	s_cselect_b32 s51, s37, 0
	s_cselect_b32 s50, s36, 0
	;; [unrolled: 3-line block ×5, first 2 shown]
	s_and_b32 s2, s53, exec_lo
	v_sub_co_u32 v2, vcc_lo, v8, s36
	s_cselect_b32 s3, s41, 0
	s_cselect_b32 s2, s40, 0
	s_add_u32 s48, s20, s36
	v_subrev_co_ci_u32_e32 v3, vcc_lo, s37, v9, vcc_lo
	s_addc_u32 s49, s21, s37
	v_sub_co_u32 v4, vcc_lo, v8, s48
	v_subrev_co_ci_u32_e32 v5, vcc_lo, s49, v9, vcc_lo
	s_delay_alu instid0(VALU_DEP_3) | instskip(NEXT) | instid1(VALU_DEP_3)
	v_ashrrev_i32_e32 v10, 31, v3
	v_add_co_u32 v4, vcc_lo, v4, 1
	s_delay_alu instid0(VALU_DEP_3) | instskip(NEXT) | instid1(VALU_DEP_3)
	v_add_co_ci_u32_e32 v5, vcc_lo, 0, v5, vcc_lo
	v_xor_b32_e32 v2, v2, v10
	v_xor_b32_e32 v3, v3, v10
	s_lshl_b64 s[36:37], s[36:37], 1
	s_delay_alu instid0(VALU_DEP_3) | instskip(SKIP_3) | instid1(VALU_DEP_3)
	v_ashrrev_i32_e32 v11, 31, v5
	s_not_b64 s[48:49], s[50:51]
	v_sub_co_u32 v2, vcc_lo, v2, v10
	v_sub_co_ci_u32_e32 v3, vcc_lo, v3, v10, vcc_lo
	v_xor_b32_e32 v4, v4, v11
	v_xor_b32_e32 v5, v5, v11
	s_add_u32 s36, s36, s48
	s_addc_u32 s37, s37, s49
	s_add_u32 s36, s36, s57
	v_sub_co_u32 v4, vcc_lo, v4, v11
	v_sub_co_ci_u32_e32 v5, vcc_lo, v5, v11, vcc_lo
	v_sub_co_u32 v10, vcc_lo, v0, s38
	s_addc_u32 s37, s37, s56
	s_add_u32 s20, s36, s20
	v_subrev_co_ci_u32_e32 v11, vcc_lo, s39, v1, vcc_lo
	s_addc_u32 s21, s37, s21
	v_add_co_u32 v4, vcc_lo, v8, v4
	s_add_u32 s36, s18, s38
	v_add_co_ci_u32_e32 v5, vcc_lo, v9, v5, vcc_lo
	s_addc_u32 s37, s19, s39
	v_sub_co_u32 v13, vcc_lo, v0, s36
	v_subrev_co_ci_u32_e32 v14, vcc_lo, s37, v1, vcc_lo
	v_ashrrev_i32_e32 v12, 31, v11
	s_delay_alu instid0(VALU_DEP_3) | instskip(NEXT) | instid1(VALU_DEP_3)
	v_add_co_u32 v13, vcc_lo, v13, 1
	v_add_co_ci_u32_e32 v14, vcc_lo, 0, v14, vcc_lo
	s_delay_alu instid0(VALU_DEP_3) | instskip(SKIP_2) | instid1(VALU_DEP_4)
	v_xor_b32_e32 v10, v10, v12
	v_sub_co_u32 v4, vcc_lo, s20, v4
	v_xor_b32_e32 v11, v11, v12
	v_ashrrev_i32_e32 v15, 31, v14
	v_sub_co_ci_u32_e32 v5, vcc_lo, s21, v5, vcc_lo
	v_sub_co_u32 v10, vcc_lo, v10, v12
	s_delay_alu instid0(VALU_DEP_4) | instskip(NEXT) | instid1(VALU_DEP_4)
	v_sub_co_ci_u32_e32 v11, vcc_lo, v11, v12, vcc_lo
	v_xor_b32_e32 v12, v13, v15
	v_xor_b32_e32 v13, v14, v15
	s_lshl_b64 s[20:21], s[38:39], 1
	s_not_b64 s[34:35], s[34:35]
	s_delay_alu instid0(VALU_DEP_2) | instskip(NEXT) | instid1(VALU_DEP_2)
	v_sub_co_u32 v12, vcc_lo, v12, v15
	v_sub_co_ci_u32_e32 v13, vcc_lo, v13, v15, vcc_lo
	s_add_u32 s20, s20, s34
	s_addc_u32 s21, s21, s35
	s_delay_alu instid0(VALU_DEP_2)
	v_add_co_u32 v12, vcc_lo, v0, v12
	s_add_u32 s20, s20, s54
	s_addc_u32 s21, s21, s33
	v_add_co_ci_u32_e32 v13, vcc_lo, v1, v13, vcc_lo
	s_add_u32 s18, s20, s18
	s_addc_u32 s19, s21, s19
	v_sub_co_u32 v12, vcc_lo, s18, v12
	s_delay_alu instid0(VALU_DEP_2) | instskip(SKIP_2) | instid1(VALU_DEP_4)
	v_sub_co_ci_u32_e32 v13, vcc_lo, s19, v13, vcc_lo
	v_add_co_u32 v14, vcc_lo, v4, v2
	v_add_co_ci_u32_e32 v15, vcc_lo, v5, v3, vcc_lo
	v_add_co_u32 v10, vcc_lo, v12, v10
	s_delay_alu instid0(VALU_DEP_4)
	v_add_co_ci_u32_e32 v11, vcc_lo, v13, v11, vcc_lo
	v_sub_co_u32 v2, vcc_lo, v6, s40
	s_add_u32 s18, s16, s40
	v_subrev_co_ci_u32_e32 v3, vcc_lo, s41, v7, vcc_lo
	s_addc_u32 s19, s17, s41
	v_sub_co_u32 v4, vcc_lo, v6, s18
	v_subrev_co_ci_u32_e32 v5, vcc_lo, s19, v7, vcc_lo
	s_delay_alu instid0(VALU_DEP_3) | instskip(NEXT) | instid1(VALU_DEP_3)
	v_ashrrev_i32_e32 v12, 31, v3
	v_add_co_u32 v4, vcc_lo, v4, 1
	s_delay_alu instid0(VALU_DEP_3) | instskip(NEXT) | instid1(VALU_DEP_3)
	v_add_co_ci_u32_e32 v5, vcc_lo, 0, v5, vcc_lo
	v_xor_b32_e32 v2, v2, v12
	v_xor_b32_e32 v3, v3, v12
	s_lshl_b64 s[18:19], s[40:41], 1
	s_delay_alu instid0(VALU_DEP_3) | instskip(SKIP_3) | instid1(VALU_DEP_2)
	v_ashrrev_i32_e32 v13, 31, v5
	s_not_b64 s[2:3], s[2:3]
	v_sub_co_u32 v16, vcc_lo, v2, v12
	s_add_u32 s2, s18, s2
	v_xor_b32_e32 v2, v4, v13
	v_sub_co_ci_u32_e32 v12, vcc_lo, v3, v12, vcc_lo
	v_xor_b32_e32 v3, v5, v13
	s_addc_u32 s3, s19, s3
	s_add_u32 s2, s2, s55
	s_addc_u32 s3, s3, s52
	v_sub_co_u32 v2, vcc_lo, v2, v13
	s_add_u32 s2, s2, s16
	s_addc_u32 s3, s3, s17
	v_sub_co_ci_u32_e32 v3, vcc_lo, v3, v13, vcc_lo
	s_add_u32 s14, s14, s42
	s_addc_u32 s16, 0, s43
	s_add_u32 s15, s15, s0
	v_add_co_u32 v4, vcc_lo, v6, v2
	s_addc_u32 s17, 0, s1
	v_add_co_ci_u32_e32 v5, vcc_lo, v7, v3, vcc_lo
	v_mul_lo_u32 v7, v7, s8
	v_mul_lo_u32 v13, v6, s9
	v_mad_u64_u32 v[2:3], null, v6, s8, 0
	s_mul_i32 s0, s4, s17
	s_mul_hi_u32 s1, s4, s15
	v_sub_co_u32 v6, vcc_lo, s2, v4
	s_add_i32 s0, s1, s0
	s_mul_i32 s1, s5, s15
	v_sub_co_ci_u32_e32 v17, vcc_lo, s3, v5, vcc_lo
	s_add_i32 s1, s0, s1
	s_mul_i32 s0, s4, s15
	v_add3_u32 v3, v3, v13, v7
	s_lshl_b64 s[0:1], s[0:1], 2
	v_mul_lo_u32 v7, v1, s10
	v_mul_lo_u32 v13, v0, s11
	v_mad_u64_u32 v[4:5], null, v0, s10, 0
	s_add_u32 s4, s46, s0
	s_mul_i32 s0, s6, s16
	s_mul_hi_u32 s5, s6, s14
	s_addc_u32 s18, s47, s1
	s_add_i32 s0, s5, s0
	s_mul_i32 s1, s7, s14
	v_lshlrev_b64 v[0:1], 2, v[2:3]
	s_add_i32 s1, s0, s1
	s_mul_i32 s0, s6, s14
	v_add_co_u32 v6, vcc_lo, v6, v16
	s_lshl_b64 s[0:1], s[0:1], 2
	v_add3_u32 v5, v5, v13, v7
	s_add_u32 s0, s4, s0
	v_add_co_ci_u32_e32 v12, vcc_lo, v17, v12, vcc_lo
	s_addc_u32 s1, s18, s1
	v_add_co_u32 v7, vcc_lo, s0, v0
	v_add_co_ci_u32_e32 v13, vcc_lo, s1, v1, vcc_lo
	v_lshlrev_b64 v[0:1], 2, v[4:5]
	v_mul_lo_u32 v4, v9, s12
	v_mul_lo_u32 v5, v8, s13
	v_mad_u64_u32 v[2:3], null, v8, s12, 0
	s_mul_i32 s0, s22, s17
	s_delay_alu instid0(VALU_DEP_4)
	v_add_co_u32 v8, vcc_lo, v7, v0
	v_add_co_ci_u32_e32 v9, vcc_lo, v13, v1, vcc_lo
	v_mul_lo_u32 v7, v12, s26
	v_mul_lo_u32 v12, v6, s27
	v_mad_u64_u32 v[0:1], null, v6, s26, 0
	s_mul_hi_u32 s1, s22, s15
	v_add3_u32 v3, v3, v5, v4
	s_add_i32 s0, s1, s0
	s_mul_i32 s1, s23, s15
	v_mul_lo_u32 v6, v11, s28
	s_add_i32 s1, s0, s1
	s_mul_i32 s0, s22, s15
	v_mul_lo_u32 v11, v10, s29
	v_mad_u64_u32 v[4:5], null, v10, s28, 0
	s_lshl_b64 s[0:1], s[0:1], 2
	v_add3_u32 v1, v1, v12, v7
	s_add_u32 s2, s44, s0
	s_mul_i32 s0, s24, s16
	s_mul_hi_u32 s3, s24, s14
	s_addc_u32 s4, s45, s1
	s_add_i32 s0, s3, s0
	s_mul_i32 s1, s25, s14
	v_lshlrev_b64 v[0:1], 2, v[0:1]
	s_add_i32 s1, s0, s1
	s_mul_i32 s0, s24, s14
	v_add3_u32 v5, v5, v11, v6
	v_mul_lo_u32 v10, v15, s30
	v_mul_lo_u32 v11, v14, s31
	v_mad_u64_u32 v[6:7], null, v14, s30, 0
	s_lshl_b64 s[0:1], s[0:1], 2
	v_lshlrev_b64 v[4:5], 2, v[4:5]
	s_add_u32 s0, s2, s0
	s_addc_u32 s1, s4, s1
	v_add_co_u32 v0, vcc_lo, s0, v0
	v_add_co_ci_u32_e32 v1, vcc_lo, s1, v1, vcc_lo
	s_delay_alu instid0(VALU_DEP_4) | instskip(SKIP_1) | instid1(VALU_DEP_4)
	v_add3_u32 v7, v7, v11, v10
	v_lshlrev_b64 v[2:3], 2, v[2:3]
	v_add_co_u32 v4, vcc_lo, v0, v4
	s_delay_alu instid0(VALU_DEP_4) | instskip(NEXT) | instid1(VALU_DEP_4)
	v_add_co_ci_u32_e32 v5, vcc_lo, v1, v5, vcc_lo
	v_lshlrev_b64 v[0:1], 2, v[6:7]
	s_delay_alu instid0(VALU_DEP_4) | instskip(SKIP_2) | instid1(VALU_DEP_3)
	v_add_co_u32 v2, vcc_lo, v8, v2
	v_add_co_ci_u32_e32 v3, vcc_lo, v9, v3, vcc_lo
	s_mov_b32 s0, 0
	v_add_co_u32 v0, vcc_lo, v4, v0
	s_delay_alu instid0(VALU_DEP_4)
	v_add_co_ci_u32_e32 v1, vcc_lo, v5, v1, vcc_lo
	global_load_b32 v4, v[2:3], off
	global_load_b32 v3, v[0:1], off
.LBB69_14:                              ; =>This Inner Loop Header: Depth=1
	s_waitcnt vmcnt(0)
	v_add_f32_e32 v2, v3, v4
	global_atomic_cmpswap_b32 v2, v[0:1], v[2:3], off glc
	s_waitcnt vmcnt(0)
	v_cmp_eq_u32_e32 vcc_lo, v2, v3
	v_mov_b32_e32 v3, v2
	s_or_b32 s0, vcc_lo, s0
	s_delay_alu instid0(SALU_CYCLE_1)
	s_and_not1_b32 exec_lo, exec_lo, s0
	s_cbranch_execnz .LBB69_14
.LBB69_15:
	s_endpgm
	.section	.rodata,"a",@progbits
	.p2align	6, 0x0
	.amdhsa_kernel _ZN2at6native12_GLOBAL__N_136reflection_pad3d_backward_out_kernelIfEEvN5torch10headeronly6detail27GenericPackedTensorAccessorINS5_14TensorAccessorIN3c108ArrayRefIlEET_Lm4ENS4_16DefaultPtrTraitsElEENS_6detail16IndexBoundsCheckILm5ElEESB_Lm5ESC_lEENS6_INS7_ISA_KSB_Lm4ESC_lEESG_SI_Lm5ESC_lEElllll
		.amdhsa_group_segment_fixed_size 0
		.amdhsa_private_segment_fixed_size 0
		.amdhsa_kernarg_size 472
		.amdhsa_user_sgpr_count 13
		.amdhsa_user_sgpr_dispatch_ptr 0
		.amdhsa_user_sgpr_queue_ptr 0
		.amdhsa_user_sgpr_kernarg_segment_ptr 1
		.amdhsa_user_sgpr_dispatch_id 0
		.amdhsa_user_sgpr_private_segment_size 0
		.amdhsa_wavefront_size32 1
		.amdhsa_uses_dynamic_stack 0
		.amdhsa_enable_private_segment 0
		.amdhsa_system_sgpr_workgroup_id_x 1
		.amdhsa_system_sgpr_workgroup_id_y 1
		.amdhsa_system_sgpr_workgroup_id_z 1
		.amdhsa_system_sgpr_workgroup_info 0
		.amdhsa_system_vgpr_workitem_id 0
		.amdhsa_next_free_vgpr 18
		.amdhsa_next_free_sgpr 58
		.amdhsa_reserve_vcc 1
		.amdhsa_float_round_mode_32 0
		.amdhsa_float_round_mode_16_64 0
		.amdhsa_float_denorm_mode_32 3
		.amdhsa_float_denorm_mode_16_64 3
		.amdhsa_dx10_clamp 1
		.amdhsa_ieee_mode 1
		.amdhsa_fp16_overflow 0
		.amdhsa_workgroup_processor_mode 1
		.amdhsa_memory_ordered 1
		.amdhsa_forward_progress 0
		.amdhsa_shared_vgpr_count 0
		.amdhsa_exception_fp_ieee_invalid_op 0
		.amdhsa_exception_fp_denorm_src 0
		.amdhsa_exception_fp_ieee_div_zero 0
		.amdhsa_exception_fp_ieee_overflow 0
		.amdhsa_exception_fp_ieee_underflow 0
		.amdhsa_exception_fp_ieee_inexact 0
		.amdhsa_exception_int_div_zero 0
	.end_amdhsa_kernel
	.section	.text._ZN2at6native12_GLOBAL__N_136reflection_pad3d_backward_out_kernelIfEEvN5torch10headeronly6detail27GenericPackedTensorAccessorINS5_14TensorAccessorIN3c108ArrayRefIlEET_Lm4ENS4_16DefaultPtrTraitsElEENS_6detail16IndexBoundsCheckILm5ElEESB_Lm5ESC_lEENS6_INS7_ISA_KSB_Lm4ESC_lEESG_SI_Lm5ESC_lEElllll,"axG",@progbits,_ZN2at6native12_GLOBAL__N_136reflection_pad3d_backward_out_kernelIfEEvN5torch10headeronly6detail27GenericPackedTensorAccessorINS5_14TensorAccessorIN3c108ArrayRefIlEET_Lm4ENS4_16DefaultPtrTraitsElEENS_6detail16IndexBoundsCheckILm5ElEESB_Lm5ESC_lEENS6_INS7_ISA_KSB_Lm4ESC_lEESG_SI_Lm5ESC_lEElllll,comdat
.Lfunc_end69:
	.size	_ZN2at6native12_GLOBAL__N_136reflection_pad3d_backward_out_kernelIfEEvN5torch10headeronly6detail27GenericPackedTensorAccessorINS5_14TensorAccessorIN3c108ArrayRefIlEET_Lm4ENS4_16DefaultPtrTraitsElEENS_6detail16IndexBoundsCheckILm5ElEESB_Lm5ESC_lEENS6_INS7_ISA_KSB_Lm4ESC_lEESG_SI_Lm5ESC_lEElllll, .Lfunc_end69-_ZN2at6native12_GLOBAL__N_136reflection_pad3d_backward_out_kernelIfEEvN5torch10headeronly6detail27GenericPackedTensorAccessorINS5_14TensorAccessorIN3c108ArrayRefIlEET_Lm4ENS4_16DefaultPtrTraitsElEENS_6detail16IndexBoundsCheckILm5ElEESB_Lm5ESC_lEENS6_INS7_ISA_KSB_Lm4ESC_lEESG_SI_Lm5ESC_lEElllll
                                        ; -- End function
	.section	.AMDGPU.csdata,"",@progbits
; Kernel info:
; codeLenInByte = 4468
; NumSgprs: 60
; NumVgprs: 18
; ScratchSize: 0
; MemoryBound: 0
; FloatMode: 240
; IeeeMode: 1
; LDSByteSize: 0 bytes/workgroup (compile time only)
; SGPRBlocks: 7
; VGPRBlocks: 2
; NumSGPRsForWavesPerEU: 60
; NumVGPRsForWavesPerEU: 18
; Occupancy: 16
; WaveLimiterHint : 0
; COMPUTE_PGM_RSRC2:SCRATCH_EN: 0
; COMPUTE_PGM_RSRC2:USER_SGPR: 13
; COMPUTE_PGM_RSRC2:TRAP_HANDLER: 0
; COMPUTE_PGM_RSRC2:TGID_X_EN: 1
; COMPUTE_PGM_RSRC2:TGID_Y_EN: 1
; COMPUTE_PGM_RSRC2:TGID_Z_EN: 1
; COMPUTE_PGM_RSRC2:TIDIG_COMP_CNT: 0
	.section	.text._ZN2at6native12_GLOBAL__N_136reflection_pad3d_backward_out_kernelIN3c107complexIdEEEEvN5torch10headeronly6detail27GenericPackedTensorAccessorINS8_14TensorAccessorINS3_8ArrayRefIlEET_Lm4ENS7_16DefaultPtrTraitsElEENS_6detail16IndexBoundsCheckILm5ElEESD_Lm5ESE_lEENS9_INSA_ISC_KSD_Lm4ESE_lEESI_SK_Lm5ESE_lEElllll,"axG",@progbits,_ZN2at6native12_GLOBAL__N_136reflection_pad3d_backward_out_kernelIN3c107complexIdEEEEvN5torch10headeronly6detail27GenericPackedTensorAccessorINS8_14TensorAccessorINS3_8ArrayRefIlEET_Lm4ENS7_16DefaultPtrTraitsElEENS_6detail16IndexBoundsCheckILm5ElEESD_Lm5ESE_lEENS9_INSA_ISC_KSD_Lm4ESE_lEESI_SK_Lm5ESE_lEElllll,comdat
	.globl	_ZN2at6native12_GLOBAL__N_136reflection_pad3d_backward_out_kernelIN3c107complexIdEEEEvN5torch10headeronly6detail27GenericPackedTensorAccessorINS8_14TensorAccessorINS3_8ArrayRefIlEET_Lm4ENS7_16DefaultPtrTraitsElEENS_6detail16IndexBoundsCheckILm5ElEESD_Lm5ESE_lEENS9_INSA_ISC_KSD_Lm4ESE_lEESI_SK_Lm5ESE_lEElllll ; -- Begin function _ZN2at6native12_GLOBAL__N_136reflection_pad3d_backward_out_kernelIN3c107complexIdEEEEvN5torch10headeronly6detail27GenericPackedTensorAccessorINS8_14TensorAccessorINS3_8ArrayRefIlEET_Lm4ENS7_16DefaultPtrTraitsElEENS_6detail16IndexBoundsCheckILm5ElEESD_Lm5ESE_lEENS9_INSA_ISC_KSD_Lm4ESE_lEESI_SK_Lm5ESE_lEElllll
	.p2align	8
	.type	_ZN2at6native12_GLOBAL__N_136reflection_pad3d_backward_out_kernelIN3c107complexIdEEEEvN5torch10headeronly6detail27GenericPackedTensorAccessorINS8_14TensorAccessorINS3_8ArrayRefIlEET_Lm4ENS7_16DefaultPtrTraitsElEENS_6detail16IndexBoundsCheckILm5ElEESD_Lm5ESE_lEENS9_INSA_ISC_KSD_Lm4ESE_lEESI_SK_Lm5ESE_lEElllll,@function
_ZN2at6native12_GLOBAL__N_136reflection_pad3d_backward_out_kernelIN3c107complexIdEEEEvN5torch10headeronly6detail27GenericPackedTensorAccessorINS8_14TensorAccessorINS3_8ArrayRefIlEET_Lm4ENS7_16DefaultPtrTraitsElEENS_6detail16IndexBoundsCheckILm5ElEESD_Lm5ESE_lEENS9_INSA_ISC_KSD_Lm4ESE_lEESI_SK_Lm5ESE_lEElllll: ; @_ZN2at6native12_GLOBAL__N_136reflection_pad3d_backward_out_kernelIN3c107complexIdEEEEvN5torch10headeronly6detail27GenericPackedTensorAccessorINS8_14TensorAccessorINS3_8ArrayRefIlEET_Lm4ENS7_16DefaultPtrTraitsElEENS_6detail16IndexBoundsCheckILm5ElEESD_Lm5ESE_lEENS9_INSA_ISC_KSD_Lm4ESE_lEESI_SK_Lm5ESE_lEElllll
; %bb.0:
	s_clause 0x2
	s_load_b32 s2, s[0:1], 0xe4
	s_load_b128 s[16:19], s[0:1], 0x70
	s_load_b64 s[34:35], s[0:1], 0x80
	v_mov_b32_e32 v4, 0
	s_delay_alu instid0(VALU_DEP_1)
	v_mov_b32_e32 v1, v4
	s_waitcnt lgkmcnt(0)
	s_and_b32 s2, s2, 0xffff
	s_mul_i32 s4, s34, s19
	s_mul_hi_u32 s5, s34, s18
	s_mul_i32 s6, s35, s18
	s_mul_i32 s3, s34, s18
	v_mad_u64_u32 v[2:3], null, s2, s13, v[0:1]
	s_add_i32 s20, s5, s4
	s_mul_i32 s2, s3, s17
	s_mul_hi_u32 s4, s3, s16
	s_add_i32 s20, s20, s6
	s_add_i32 s2, s4, s2
	s_mul_i32 s4, s20, s16
	s_delay_alu instid0(SALU_CYCLE_1)
	s_add_i32 s5, s2, s4
	s_mul_i32 s4, s3, s16
	s_mov_b32 s2, exec_lo
	v_cmpx_gt_i64_e64 s[4:5], v[2:3]
	s_cbranch_execz .LBB70_17
; %bb.1:
	v_or_b32_e32 v5, s35, v3
	s_delay_alu instid0(VALU_DEP_1) | instskip(SKIP_1) | instid1(SALU_CYCLE_1)
	v_cmp_ne_u64_e32 vcc_lo, 0, v[4:5]
                                        ; implicit-def: $vgpr4_vgpr5
	s_and_saveexec_b32 s2, vcc_lo
	s_xor_b32 s8, exec_lo, s2
	s_cbranch_execz .LBB70_3
; %bb.2:
	s_ashr_i32 s4, s35, 31
	s_delay_alu instid0(SALU_CYCLE_1) | instskip(SKIP_2) | instid1(SALU_CYCLE_1)
	s_add_u32 s6, s34, s4
	s_mov_b32 s5, s4
	s_addc_u32 s7, s35, s4
	s_xor_b64 s[6:7], s[6:7], s[4:5]
	s_delay_alu instid0(SALU_CYCLE_1) | instskip(SKIP_3) | instid1(VALU_DEP_1)
	v_cvt_f32_u32_e32 v0, s6
	v_cvt_f32_u32_e32 v1, s7
	s_sub_u32 s2, 0, s6
	s_subb_u32 s5, 0, s7
	v_fmamk_f32 v0, v1, 0x4f800000, v0
	s_delay_alu instid0(VALU_DEP_1) | instskip(SKIP_2) | instid1(VALU_DEP_1)
	v_rcp_f32_e32 v0, v0
	s_waitcnt_depctr 0xfff
	v_mul_f32_e32 v0, 0x5f7ffffc, v0
	v_mul_f32_e32 v1, 0x2f800000, v0
	s_delay_alu instid0(VALU_DEP_1) | instskip(NEXT) | instid1(VALU_DEP_1)
	v_trunc_f32_e32 v1, v1
	v_fmamk_f32 v0, v1, 0xcf800000, v0
	v_cvt_u32_f32_e32 v1, v1
	s_delay_alu instid0(VALU_DEP_2) | instskip(NEXT) | instid1(VALU_DEP_2)
	v_cvt_u32_f32_e32 v0, v0
	v_mul_lo_u32 v4, s2, v1
	s_delay_alu instid0(VALU_DEP_2) | instskip(SKIP_1) | instid1(VALU_DEP_2)
	v_mul_hi_u32 v5, s2, v0
	v_mul_lo_u32 v6, s5, v0
	v_add_nc_u32_e32 v4, v5, v4
	v_mul_lo_u32 v5, s2, v0
	s_delay_alu instid0(VALU_DEP_2) | instskip(NEXT) | instid1(VALU_DEP_2)
	v_add_nc_u32_e32 v4, v4, v6
	v_mul_hi_u32 v6, v0, v5
	s_delay_alu instid0(VALU_DEP_2)
	v_mul_lo_u32 v7, v0, v4
	v_mul_hi_u32 v8, v0, v4
	v_mul_hi_u32 v9, v1, v5
	v_mul_lo_u32 v5, v1, v5
	v_mul_hi_u32 v10, v1, v4
	v_mul_lo_u32 v4, v1, v4
	v_add_co_u32 v6, vcc_lo, v6, v7
	v_add_co_ci_u32_e32 v7, vcc_lo, 0, v8, vcc_lo
	s_delay_alu instid0(VALU_DEP_2) | instskip(NEXT) | instid1(VALU_DEP_2)
	v_add_co_u32 v5, vcc_lo, v6, v5
	v_add_co_ci_u32_e32 v5, vcc_lo, v7, v9, vcc_lo
	v_add_co_ci_u32_e32 v6, vcc_lo, 0, v10, vcc_lo
	v_ashrrev_i32_e32 v9, 31, v3
	s_delay_alu instid0(VALU_DEP_3) | instskip(NEXT) | instid1(VALU_DEP_3)
	v_add_co_u32 v4, vcc_lo, v5, v4
	v_add_co_ci_u32_e32 v5, vcc_lo, 0, v6, vcc_lo
	s_delay_alu instid0(VALU_DEP_2) | instskip(NEXT) | instid1(VALU_DEP_2)
	v_add_co_u32 v0, vcc_lo, v0, v4
	v_add_co_ci_u32_e32 v1, vcc_lo, v1, v5, vcc_lo
	s_delay_alu instid0(VALU_DEP_2) | instskip(SKIP_1) | instid1(VALU_DEP_3)
	v_mul_hi_u32 v4, s2, v0
	v_mul_lo_u32 v6, s5, v0
	v_mul_lo_u32 v5, s2, v1
	s_delay_alu instid0(VALU_DEP_1) | instskip(SKIP_1) | instid1(VALU_DEP_2)
	v_add_nc_u32_e32 v4, v4, v5
	v_mul_lo_u32 v5, s2, v0
	v_add_nc_u32_e32 v4, v4, v6
	s_delay_alu instid0(VALU_DEP_2) | instskip(NEXT) | instid1(VALU_DEP_2)
	v_mul_hi_u32 v6, v0, v5
	v_mul_lo_u32 v7, v0, v4
	v_mul_hi_u32 v8, v0, v4
	v_mul_hi_u32 v10, v1, v5
	v_mul_lo_u32 v5, v1, v5
	v_mul_hi_u32 v11, v1, v4
	v_mul_lo_u32 v4, v1, v4
	v_add_co_u32 v6, vcc_lo, v6, v7
	v_add_co_ci_u32_e32 v7, vcc_lo, 0, v8, vcc_lo
	s_delay_alu instid0(VALU_DEP_2) | instskip(NEXT) | instid1(VALU_DEP_2)
	v_add_co_u32 v5, vcc_lo, v6, v5
	v_add_co_ci_u32_e32 v5, vcc_lo, v7, v10, vcc_lo
	v_add_co_ci_u32_e32 v6, vcc_lo, 0, v11, vcc_lo
	v_add_co_u32 v7, vcc_lo, v2, v9
	v_add_co_ci_u32_e32 v8, vcc_lo, v3, v9, vcc_lo
	s_delay_alu instid0(VALU_DEP_4) | instskip(NEXT) | instid1(VALU_DEP_4)
	v_add_co_u32 v4, vcc_lo, v5, v4
	v_add_co_ci_u32_e32 v5, vcc_lo, 0, v6, vcc_lo
	s_delay_alu instid0(VALU_DEP_4) | instskip(NEXT) | instid1(VALU_DEP_3)
	v_xor_b32_e32 v10, v7, v9
	v_add_co_u32 v6, vcc_lo, v0, v4
	s_delay_alu instid0(VALU_DEP_3) | instskip(SKIP_1) | instid1(VALU_DEP_3)
	v_add_co_ci_u32_e32 v11, vcc_lo, v1, v5, vcc_lo
	v_xor_b32_e32 v8, v8, v9
	v_mul_hi_u32 v12, v10, v6
	s_delay_alu instid0(VALU_DEP_3) | instskip(NEXT) | instid1(VALU_DEP_3)
	v_mad_u64_u32 v[0:1], null, v10, v11, 0
	v_mad_u64_u32 v[4:5], null, v8, v6, 0
	;; [unrolled: 1-line block ×3, first 2 shown]
	s_delay_alu instid0(VALU_DEP_3) | instskip(NEXT) | instid1(VALU_DEP_4)
	v_add_co_u32 v0, vcc_lo, v12, v0
	v_add_co_ci_u32_e32 v1, vcc_lo, 0, v1, vcc_lo
	s_delay_alu instid0(VALU_DEP_2) | instskip(NEXT) | instid1(VALU_DEP_2)
	v_add_co_u32 v0, vcc_lo, v0, v4
	v_add_co_ci_u32_e32 v0, vcc_lo, v1, v5, vcc_lo
	v_add_co_ci_u32_e32 v1, vcc_lo, 0, v7, vcc_lo
	s_delay_alu instid0(VALU_DEP_2) | instskip(NEXT) | instid1(VALU_DEP_2)
	v_add_co_u32 v4, vcc_lo, v0, v6
	v_add_co_ci_u32_e32 v5, vcc_lo, 0, v1, vcc_lo
	s_delay_alu instid0(VALU_DEP_2) | instskip(SKIP_1) | instid1(VALU_DEP_3)
	v_mul_lo_u32 v6, s7, v4
	v_mad_u64_u32 v[0:1], null, s6, v4, 0
	v_mul_lo_u32 v7, s6, v5
	s_delay_alu instid0(VALU_DEP_2) | instskip(NEXT) | instid1(VALU_DEP_2)
	v_sub_co_u32 v0, vcc_lo, v10, v0
	v_add3_u32 v1, v1, v7, v6
	s_delay_alu instid0(VALU_DEP_1) | instskip(NEXT) | instid1(VALU_DEP_1)
	v_sub_nc_u32_e32 v6, v8, v1
	v_subrev_co_ci_u32_e64 v6, s2, s7, v6, vcc_lo
	v_add_co_u32 v7, s2, v4, 2
	s_delay_alu instid0(VALU_DEP_1) | instskip(SKIP_3) | instid1(VALU_DEP_3)
	v_add_co_ci_u32_e64 v10, s2, 0, v5, s2
	v_sub_co_u32 v11, s2, v0, s6
	v_sub_co_ci_u32_e32 v1, vcc_lo, v8, v1, vcc_lo
	v_subrev_co_ci_u32_e64 v6, s2, 0, v6, s2
	v_cmp_le_u32_e32 vcc_lo, s6, v11
	s_delay_alu instid0(VALU_DEP_3) | instskip(SKIP_1) | instid1(VALU_DEP_4)
	v_cmp_eq_u32_e64 s2, s7, v1
	v_cndmask_b32_e64 v8, 0, -1, vcc_lo
	v_cmp_le_u32_e32 vcc_lo, s7, v6
	v_cndmask_b32_e64 v11, 0, -1, vcc_lo
	v_cmp_le_u32_e32 vcc_lo, s6, v0
	;; [unrolled: 2-line block ×3, first 2 shown]
	v_cndmask_b32_e64 v12, 0, -1, vcc_lo
	v_cmp_eq_u32_e32 vcc_lo, s7, v6
	s_delay_alu instid0(VALU_DEP_2) | instskip(SKIP_3) | instid1(VALU_DEP_3)
	v_cndmask_b32_e64 v0, v12, v0, s2
	v_cndmask_b32_e32 v6, v11, v8, vcc_lo
	v_add_co_u32 v8, vcc_lo, v4, 1
	v_add_co_ci_u32_e32 v11, vcc_lo, 0, v5, vcc_lo
	v_cmp_ne_u32_e32 vcc_lo, 0, v6
	s_delay_alu instid0(VALU_DEP_2) | instskip(SKIP_2) | instid1(VALU_DEP_3)
	v_dual_cndmask_b32 v1, v11, v10 :: v_dual_cndmask_b32 v6, v8, v7
	v_cmp_ne_u32_e32 vcc_lo, 0, v0
	v_xor_b32_e32 v0, s4, v9
	v_dual_cndmask_b32 v4, v4, v6 :: v_dual_cndmask_b32 v1, v5, v1
	s_delay_alu instid0(VALU_DEP_1) | instskip(NEXT) | instid1(VALU_DEP_2)
	v_xor_b32_e32 v4, v4, v0
	v_xor_b32_e32 v1, v1, v0
	s_delay_alu instid0(VALU_DEP_2) | instskip(NEXT) | instid1(VALU_DEP_2)
	v_sub_co_u32 v4, vcc_lo, v4, v0
	v_sub_co_ci_u32_e32 v5, vcc_lo, v1, v0, vcc_lo
.LBB70_3:
	s_and_not1_saveexec_b32 s2, s8
	s_cbranch_execz .LBB70_5
; %bb.4:
	v_cvt_f32_u32_e32 v0, s34
	s_sub_i32 s4, 0, s34
	s_delay_alu instid0(VALU_DEP_1) | instskip(SKIP_2) | instid1(VALU_DEP_1)
	v_rcp_iflag_f32_e32 v0, v0
	s_waitcnt_depctr 0xfff
	v_mul_f32_e32 v0, 0x4f7ffffe, v0
	v_cvt_u32_f32_e32 v0, v0
	s_delay_alu instid0(VALU_DEP_1) | instskip(NEXT) | instid1(VALU_DEP_1)
	v_mul_lo_u32 v1, s4, v0
	v_mul_hi_u32 v1, v0, v1
	s_delay_alu instid0(VALU_DEP_1) | instskip(NEXT) | instid1(VALU_DEP_1)
	v_add_nc_u32_e32 v0, v0, v1
	v_mul_hi_u32 v0, v2, v0
	s_delay_alu instid0(VALU_DEP_1) | instskip(SKIP_1) | instid1(VALU_DEP_2)
	v_mul_lo_u32 v1, v0, s34
	v_add_nc_u32_e32 v4, 1, v0
	v_sub_nc_u32_e32 v1, v2, v1
	s_delay_alu instid0(VALU_DEP_1) | instskip(SKIP_1) | instid1(VALU_DEP_2)
	v_subrev_nc_u32_e32 v5, s34, v1
	v_cmp_le_u32_e32 vcc_lo, s34, v1
	v_cndmask_b32_e32 v1, v1, v5, vcc_lo
	v_dual_mov_b32 v5, 0 :: v_dual_cndmask_b32 v0, v0, v4
	s_delay_alu instid0(VALU_DEP_2) | instskip(NEXT) | instid1(VALU_DEP_2)
	v_cmp_le_u32_e32 vcc_lo, s34, v1
	v_add_nc_u32_e32 v4, 1, v0
	s_delay_alu instid0(VALU_DEP_1)
	v_cndmask_b32_e32 v4, v0, v4, vcc_lo
.LBB70_5:
	s_or_b32 exec_lo, exec_lo, s2
	s_delay_alu instid0(VALU_DEP_1) | instskip(SKIP_1) | instid1(VALU_DEP_1)
	v_or_b32_e32 v1, s19, v5
	v_mov_b32_e32 v0, 0
	v_cmp_ne_u64_e32 vcc_lo, 0, v[0:1]
                                        ; implicit-def: $vgpr0_vgpr1
	s_and_saveexec_b32 s2, vcc_lo
	s_delay_alu instid0(SALU_CYCLE_1)
	s_xor_b32 s6, exec_lo, s2
	s_cbranch_execz .LBB70_7
; %bb.6:
	s_ashr_i32 s4, s19, 31
	s_delay_alu instid0(SALU_CYCLE_1) | instskip(SKIP_2) | instid1(SALU_CYCLE_1)
	s_add_u32 s8, s18, s4
	s_mov_b32 s5, s4
	s_addc_u32 s9, s19, s4
	s_xor_b64 s[4:5], s[8:9], s[4:5]
	s_delay_alu instid0(SALU_CYCLE_1) | instskip(SKIP_3) | instid1(VALU_DEP_1)
	v_cvt_f32_u32_e32 v0, s4
	v_cvt_f32_u32_e32 v1, s5
	s_sub_u32 s2, 0, s4
	s_subb_u32 s7, 0, s5
	v_fmamk_f32 v0, v1, 0x4f800000, v0
	s_delay_alu instid0(VALU_DEP_1) | instskip(SKIP_2) | instid1(VALU_DEP_1)
	v_rcp_f32_e32 v0, v0
	s_waitcnt_depctr 0xfff
	v_mul_f32_e32 v0, 0x5f7ffffc, v0
	v_mul_f32_e32 v1, 0x2f800000, v0
	s_delay_alu instid0(VALU_DEP_1) | instskip(NEXT) | instid1(VALU_DEP_1)
	v_trunc_f32_e32 v1, v1
	v_fmamk_f32 v0, v1, 0xcf800000, v0
	v_cvt_u32_f32_e32 v1, v1
	s_delay_alu instid0(VALU_DEP_2) | instskip(NEXT) | instid1(VALU_DEP_2)
	v_cvt_u32_f32_e32 v0, v0
	v_mul_lo_u32 v6, s2, v1
	s_delay_alu instid0(VALU_DEP_2) | instskip(SKIP_1) | instid1(VALU_DEP_2)
	v_mul_hi_u32 v7, s2, v0
	v_mul_lo_u32 v8, s7, v0
	v_add_nc_u32_e32 v6, v7, v6
	v_mul_lo_u32 v7, s2, v0
	s_delay_alu instid0(VALU_DEP_2) | instskip(NEXT) | instid1(VALU_DEP_2)
	v_add_nc_u32_e32 v6, v6, v8
	v_mul_hi_u32 v8, v0, v7
	s_delay_alu instid0(VALU_DEP_2)
	v_mul_lo_u32 v9, v0, v6
	v_mul_hi_u32 v10, v0, v6
	v_mul_hi_u32 v11, v1, v7
	v_mul_lo_u32 v7, v1, v7
	v_mul_hi_u32 v12, v1, v6
	v_mul_lo_u32 v6, v1, v6
	v_add_co_u32 v8, vcc_lo, v8, v9
	v_add_co_ci_u32_e32 v9, vcc_lo, 0, v10, vcc_lo
	s_delay_alu instid0(VALU_DEP_2) | instskip(NEXT) | instid1(VALU_DEP_2)
	v_add_co_u32 v7, vcc_lo, v8, v7
	v_add_co_ci_u32_e32 v7, vcc_lo, v9, v11, vcc_lo
	v_add_co_ci_u32_e32 v8, vcc_lo, 0, v12, vcc_lo
	v_ashrrev_i32_e32 v11, 31, v5
	s_delay_alu instid0(VALU_DEP_3) | instskip(NEXT) | instid1(VALU_DEP_3)
	v_add_co_u32 v6, vcc_lo, v7, v6
	v_add_co_ci_u32_e32 v7, vcc_lo, 0, v8, vcc_lo
	s_delay_alu instid0(VALU_DEP_2) | instskip(NEXT) | instid1(VALU_DEP_2)
	v_add_co_u32 v0, vcc_lo, v0, v6
	v_add_co_ci_u32_e32 v1, vcc_lo, v1, v7, vcc_lo
	s_delay_alu instid0(VALU_DEP_2) | instskip(SKIP_1) | instid1(VALU_DEP_3)
	v_mul_hi_u32 v6, s2, v0
	v_mul_lo_u32 v8, s7, v0
	v_mul_lo_u32 v7, s2, v1
	s_delay_alu instid0(VALU_DEP_1) | instskip(SKIP_1) | instid1(VALU_DEP_2)
	v_add_nc_u32_e32 v6, v6, v7
	v_mul_lo_u32 v7, s2, v0
	v_add_nc_u32_e32 v6, v6, v8
	s_delay_alu instid0(VALU_DEP_2) | instskip(NEXT) | instid1(VALU_DEP_2)
	v_mul_hi_u32 v8, v0, v7
	v_mul_lo_u32 v9, v0, v6
	v_mul_hi_u32 v10, v0, v6
	v_mul_hi_u32 v12, v1, v7
	v_mul_lo_u32 v7, v1, v7
	v_mul_hi_u32 v13, v1, v6
	v_mul_lo_u32 v6, v1, v6
	v_add_co_u32 v8, vcc_lo, v8, v9
	v_add_co_ci_u32_e32 v9, vcc_lo, 0, v10, vcc_lo
	s_delay_alu instid0(VALU_DEP_2) | instskip(NEXT) | instid1(VALU_DEP_2)
	v_add_co_u32 v7, vcc_lo, v8, v7
	v_add_co_ci_u32_e32 v7, vcc_lo, v9, v12, vcc_lo
	v_add_co_ci_u32_e32 v8, vcc_lo, 0, v13, vcc_lo
	v_add_co_u32 v9, vcc_lo, v4, v11
	v_add_co_ci_u32_e32 v10, vcc_lo, v5, v11, vcc_lo
	s_delay_alu instid0(VALU_DEP_4) | instskip(NEXT) | instid1(VALU_DEP_4)
	v_add_co_u32 v6, vcc_lo, v7, v6
	v_add_co_ci_u32_e32 v7, vcc_lo, 0, v8, vcc_lo
	s_delay_alu instid0(VALU_DEP_4) | instskip(NEXT) | instid1(VALU_DEP_3)
	v_xor_b32_e32 v12, v9, v11
	v_add_co_u32 v8, vcc_lo, v0, v6
	s_delay_alu instid0(VALU_DEP_3) | instskip(SKIP_1) | instid1(VALU_DEP_3)
	v_add_co_ci_u32_e32 v13, vcc_lo, v1, v7, vcc_lo
	v_xor_b32_e32 v10, v10, v11
	v_mul_hi_u32 v14, v12, v8
	s_delay_alu instid0(VALU_DEP_3) | instskip(NEXT) | instid1(VALU_DEP_3)
	v_mad_u64_u32 v[0:1], null, v12, v13, 0
	v_mad_u64_u32 v[6:7], null, v10, v8, 0
	;; [unrolled: 1-line block ×3, first 2 shown]
	s_delay_alu instid0(VALU_DEP_3) | instskip(NEXT) | instid1(VALU_DEP_4)
	v_add_co_u32 v0, vcc_lo, v14, v0
	v_add_co_ci_u32_e32 v1, vcc_lo, 0, v1, vcc_lo
	s_delay_alu instid0(VALU_DEP_2) | instskip(NEXT) | instid1(VALU_DEP_2)
	v_add_co_u32 v0, vcc_lo, v0, v6
	v_add_co_ci_u32_e32 v0, vcc_lo, v1, v7, vcc_lo
	v_add_co_ci_u32_e32 v1, vcc_lo, 0, v9, vcc_lo
	s_delay_alu instid0(VALU_DEP_2) | instskip(NEXT) | instid1(VALU_DEP_2)
	v_add_co_u32 v6, vcc_lo, v0, v8
	v_add_co_ci_u32_e32 v7, vcc_lo, 0, v1, vcc_lo
	s_delay_alu instid0(VALU_DEP_2) | instskip(SKIP_1) | instid1(VALU_DEP_3)
	v_mul_lo_u32 v8, s5, v6
	v_mad_u64_u32 v[0:1], null, s4, v6, 0
	v_mul_lo_u32 v6, s4, v7
	s_delay_alu instid0(VALU_DEP_2) | instskip(NEXT) | instid1(VALU_DEP_2)
	v_sub_co_u32 v0, vcc_lo, v12, v0
	v_add3_u32 v1, v1, v6, v8
	s_delay_alu instid0(VALU_DEP_1) | instskip(NEXT) | instid1(VALU_DEP_1)
	v_sub_nc_u32_e32 v6, v10, v1
	v_subrev_co_ci_u32_e64 v6, s2, s5, v6, vcc_lo
	v_sub_co_ci_u32_e32 v1, vcc_lo, v10, v1, vcc_lo
	v_sub_co_u32 v7, vcc_lo, v0, s4
	s_delay_alu instid0(VALU_DEP_1) | instskip(SKIP_3) | instid1(VALU_DEP_3)
	v_subrev_co_ci_u32_e64 v8, s2, 0, v6, vcc_lo
	v_cmp_le_u32_e64 s2, s4, v0
	v_subrev_co_ci_u32_e32 v6, vcc_lo, s5, v6, vcc_lo
	v_cmp_le_u32_e32 vcc_lo, s5, v1
	v_cndmask_b32_e64 v9, 0, -1, s2
	v_cmp_le_u32_e64 s2, s4, v7
	v_cndmask_b32_e64 v13, 0, -1, vcc_lo
	v_cmp_eq_u32_e32 vcc_lo, s5, v8
	s_delay_alu instid0(VALU_DEP_3) | instskip(SKIP_1) | instid1(VALU_DEP_1)
	v_cndmask_b32_e64 v10, 0, -1, s2
	v_cmp_le_u32_e64 s2, s5, v8
	v_cndmask_b32_e64 v12, 0, -1, s2
	v_cmp_eq_u32_e64 s2, s5, v1
	s_delay_alu instid0(VALU_DEP_2) | instskip(SKIP_2) | instid1(VALU_DEP_3)
	v_cndmask_b32_e32 v10, v12, v10, vcc_lo
	v_sub_co_u32 v12, vcc_lo, v7, s4
	v_subrev_co_ci_u32_e32 v6, vcc_lo, 0, v6, vcc_lo
	v_cmp_ne_u32_e32 vcc_lo, 0, v10
	v_cndmask_b32_e64 v9, v13, v9, s2
	s_delay_alu instid0(VALU_DEP_3) | instskip(NEXT) | instid1(VALU_DEP_2)
	v_dual_cndmask_b32 v6, v8, v6 :: v_dual_cndmask_b32 v7, v7, v12
	v_cmp_ne_u32_e32 vcc_lo, 0, v9
	s_delay_alu instid0(VALU_DEP_2) | instskip(NEXT) | instid1(VALU_DEP_1)
	v_dual_cndmask_b32 v0, v0, v7 :: v_dual_cndmask_b32 v1, v1, v6
	v_xor_b32_e32 v0, v0, v11
	s_delay_alu instid0(VALU_DEP_2) | instskip(NEXT) | instid1(VALU_DEP_2)
	v_xor_b32_e32 v1, v1, v11
	v_sub_co_u32 v0, vcc_lo, v0, v11
	s_delay_alu instid0(VALU_DEP_2)
	v_sub_co_ci_u32_e32 v1, vcc_lo, v1, v11, vcc_lo
.LBB70_7:
	s_or_saveexec_b32 s2, s6
	s_clause 0x1
	s_load_b64 s[12:13], s[0:1], 0xa8
	s_load_b256 s[4:11], s[0:1], 0x88
	s_xor_b32 exec_lo, exec_lo, s2
	s_cbranch_execz .LBB70_9
; %bb.8:
	v_cvt_f32_u32_e32 v0, s18
	s_sub_i32 s16, 0, s18
	s_delay_alu instid0(VALU_DEP_1) | instskip(SKIP_2) | instid1(VALU_DEP_1)
	v_rcp_iflag_f32_e32 v0, v0
	s_waitcnt_depctr 0xfff
	v_mul_f32_e32 v0, 0x4f7ffffe, v0
	v_cvt_u32_f32_e32 v0, v0
	s_delay_alu instid0(VALU_DEP_1) | instskip(NEXT) | instid1(VALU_DEP_1)
	v_mul_lo_u32 v1, s16, v0
	v_mul_hi_u32 v1, v0, v1
	s_delay_alu instid0(VALU_DEP_1) | instskip(NEXT) | instid1(VALU_DEP_1)
	v_add_nc_u32_e32 v0, v0, v1
	v_mul_hi_u32 v0, v4, v0
	s_delay_alu instid0(VALU_DEP_1) | instskip(NEXT) | instid1(VALU_DEP_1)
	v_mul_lo_u32 v0, v0, s18
	v_sub_nc_u32_e32 v0, v4, v0
	s_delay_alu instid0(VALU_DEP_1) | instskip(SKIP_1) | instid1(VALU_DEP_2)
	v_subrev_nc_u32_e32 v1, s18, v0
	v_cmp_le_u32_e32 vcc_lo, s18, v0
	v_cndmask_b32_e32 v0, v0, v1, vcc_lo
	s_delay_alu instid0(VALU_DEP_1) | instskip(SKIP_1) | instid1(VALU_DEP_2)
	v_subrev_nc_u32_e32 v1, s18, v0
	v_cmp_le_u32_e32 vcc_lo, s18, v0
	v_dual_cndmask_b32 v0, v0, v1 :: v_dual_mov_b32 v1, 0
.LBB70_9:
	s_or_b32 exec_lo, exec_lo, s2
	s_clause 0x1
	s_load_b64 s[46:47], s[0:1], 0x58
	s_load_b64 s[44:45], s[0:1], 0x0
	v_or_b32_e32 v7, s20, v3
	v_mov_b32_e32 v6, 0
	s_delay_alu instid0(VALU_DEP_1) | instskip(SKIP_1) | instid1(SALU_CYCLE_1)
	v_cmp_ne_u64_e32 vcc_lo, 0, v[6:7]
                                        ; implicit-def: $vgpr6_vgpr7
	s_and_saveexec_b32 s2, vcc_lo
	s_xor_b32 s21, exec_lo, s2
	s_cbranch_execz .LBB70_11
; %bb.10:
	s_ashr_i32 s16, s20, 31
	s_delay_alu instid0(SALU_CYCLE_1) | instskip(SKIP_2) | instid1(SALU_CYCLE_1)
	s_add_u32 s18, s3, s16
	s_mov_b32 s17, s16
	s_addc_u32 s19, s20, s16
	s_xor_b64 s[18:19], s[18:19], s[16:17]
	s_delay_alu instid0(SALU_CYCLE_1) | instskip(SKIP_3) | instid1(VALU_DEP_1)
	v_cvt_f32_u32_e32 v6, s18
	v_cvt_f32_u32_e32 v7, s19
	s_sub_u32 s2, 0, s18
	s_subb_u32 s17, 0, s19
	v_fmamk_f32 v6, v7, 0x4f800000, v6
	s_delay_alu instid0(VALU_DEP_1) | instskip(SKIP_2) | instid1(VALU_DEP_1)
	v_rcp_f32_e32 v6, v6
	s_waitcnt_depctr 0xfff
	v_mul_f32_e32 v6, 0x5f7ffffc, v6
	v_mul_f32_e32 v7, 0x2f800000, v6
	s_delay_alu instid0(VALU_DEP_1) | instskip(NEXT) | instid1(VALU_DEP_1)
	v_trunc_f32_e32 v7, v7
	v_fmamk_f32 v6, v7, 0xcf800000, v6
	v_cvt_u32_f32_e32 v7, v7
	s_delay_alu instid0(VALU_DEP_2) | instskip(NEXT) | instid1(VALU_DEP_2)
	v_cvt_u32_f32_e32 v6, v6
	v_mul_lo_u32 v8, s2, v7
	s_delay_alu instid0(VALU_DEP_2) | instskip(SKIP_1) | instid1(VALU_DEP_2)
	v_mul_hi_u32 v9, s2, v6
	v_mul_lo_u32 v10, s17, v6
	v_add_nc_u32_e32 v8, v9, v8
	v_mul_lo_u32 v9, s2, v6
	s_delay_alu instid0(VALU_DEP_2) | instskip(NEXT) | instid1(VALU_DEP_2)
	v_add_nc_u32_e32 v8, v8, v10
	v_mul_hi_u32 v10, v6, v9
	s_delay_alu instid0(VALU_DEP_2)
	v_mul_lo_u32 v11, v6, v8
	v_mul_hi_u32 v12, v6, v8
	v_mul_hi_u32 v13, v7, v9
	v_mul_lo_u32 v9, v7, v9
	v_mul_hi_u32 v14, v7, v8
	v_mul_lo_u32 v8, v7, v8
	v_add_co_u32 v10, vcc_lo, v10, v11
	v_add_co_ci_u32_e32 v11, vcc_lo, 0, v12, vcc_lo
	s_delay_alu instid0(VALU_DEP_2) | instskip(NEXT) | instid1(VALU_DEP_2)
	v_add_co_u32 v9, vcc_lo, v10, v9
	v_add_co_ci_u32_e32 v9, vcc_lo, v11, v13, vcc_lo
	v_add_co_ci_u32_e32 v10, vcc_lo, 0, v14, vcc_lo
	v_ashrrev_i32_e32 v13, 31, v3
	s_delay_alu instid0(VALU_DEP_3) | instskip(NEXT) | instid1(VALU_DEP_3)
	v_add_co_u32 v8, vcc_lo, v9, v8
	v_add_co_ci_u32_e32 v9, vcc_lo, 0, v10, vcc_lo
	s_delay_alu instid0(VALU_DEP_2) | instskip(NEXT) | instid1(VALU_DEP_2)
	v_add_co_u32 v6, vcc_lo, v6, v8
	v_add_co_ci_u32_e32 v7, vcc_lo, v7, v9, vcc_lo
	s_delay_alu instid0(VALU_DEP_2) | instskip(SKIP_1) | instid1(VALU_DEP_3)
	v_mul_hi_u32 v8, s2, v6
	v_mul_lo_u32 v10, s17, v6
	v_mul_lo_u32 v9, s2, v7
	s_delay_alu instid0(VALU_DEP_1) | instskip(SKIP_1) | instid1(VALU_DEP_2)
	v_add_nc_u32_e32 v8, v8, v9
	v_mul_lo_u32 v9, s2, v6
	v_add_nc_u32_e32 v8, v8, v10
	s_delay_alu instid0(VALU_DEP_2) | instskip(NEXT) | instid1(VALU_DEP_2)
	v_mul_hi_u32 v10, v6, v9
	v_mul_lo_u32 v11, v6, v8
	v_mul_hi_u32 v12, v6, v8
	v_mul_hi_u32 v14, v7, v9
	v_mul_lo_u32 v9, v7, v9
	v_mul_hi_u32 v15, v7, v8
	v_mul_lo_u32 v8, v7, v8
	v_add_co_u32 v10, vcc_lo, v10, v11
	v_add_co_ci_u32_e32 v11, vcc_lo, 0, v12, vcc_lo
	s_delay_alu instid0(VALU_DEP_2) | instskip(NEXT) | instid1(VALU_DEP_2)
	v_add_co_u32 v9, vcc_lo, v10, v9
	v_add_co_ci_u32_e32 v9, vcc_lo, v11, v14, vcc_lo
	v_add_co_ci_u32_e32 v10, vcc_lo, 0, v15, vcc_lo
	v_add_co_u32 v11, vcc_lo, v2, v13
	v_add_co_ci_u32_e32 v12, vcc_lo, v3, v13, vcc_lo
	s_delay_alu instid0(VALU_DEP_4) | instskip(NEXT) | instid1(VALU_DEP_4)
	v_add_co_u32 v8, vcc_lo, v9, v8
	v_add_co_ci_u32_e32 v9, vcc_lo, 0, v10, vcc_lo
	s_delay_alu instid0(VALU_DEP_4) | instskip(NEXT) | instid1(VALU_DEP_3)
	v_xor_b32_e32 v14, v11, v13
	v_add_co_u32 v10, vcc_lo, v6, v8
	s_delay_alu instid0(VALU_DEP_3) | instskip(SKIP_1) | instid1(VALU_DEP_3)
	v_add_co_ci_u32_e32 v15, vcc_lo, v7, v9, vcc_lo
	v_xor_b32_e32 v12, v12, v13
	v_mul_hi_u32 v16, v14, v10
	s_delay_alu instid0(VALU_DEP_3) | instskip(NEXT) | instid1(VALU_DEP_3)
	v_mad_u64_u32 v[6:7], null, v14, v15, 0
	v_mad_u64_u32 v[8:9], null, v12, v10, 0
	;; [unrolled: 1-line block ×3, first 2 shown]
	s_delay_alu instid0(VALU_DEP_3) | instskip(NEXT) | instid1(VALU_DEP_4)
	v_add_co_u32 v6, vcc_lo, v16, v6
	v_add_co_ci_u32_e32 v7, vcc_lo, 0, v7, vcc_lo
	s_delay_alu instid0(VALU_DEP_2) | instskip(NEXT) | instid1(VALU_DEP_2)
	v_add_co_u32 v6, vcc_lo, v6, v8
	v_add_co_ci_u32_e32 v6, vcc_lo, v7, v9, vcc_lo
	v_add_co_ci_u32_e32 v7, vcc_lo, 0, v11, vcc_lo
	s_delay_alu instid0(VALU_DEP_2) | instskip(NEXT) | instid1(VALU_DEP_2)
	v_add_co_u32 v8, vcc_lo, v6, v10
	v_add_co_ci_u32_e32 v9, vcc_lo, 0, v7, vcc_lo
	s_delay_alu instid0(VALU_DEP_2) | instskip(SKIP_1) | instid1(VALU_DEP_3)
	v_mul_lo_u32 v10, s19, v8
	v_mad_u64_u32 v[6:7], null, s18, v8, 0
	v_mul_lo_u32 v11, s18, v9
	s_delay_alu instid0(VALU_DEP_2) | instskip(NEXT) | instid1(VALU_DEP_2)
	v_sub_co_u32 v6, vcc_lo, v14, v6
	v_add3_u32 v7, v7, v11, v10
	s_delay_alu instid0(VALU_DEP_1) | instskip(NEXT) | instid1(VALU_DEP_1)
	v_sub_nc_u32_e32 v10, v12, v7
	v_subrev_co_ci_u32_e64 v10, s2, s19, v10, vcc_lo
	v_add_co_u32 v11, s2, v8, 2
	s_delay_alu instid0(VALU_DEP_1) | instskip(SKIP_3) | instid1(VALU_DEP_3)
	v_add_co_ci_u32_e64 v14, s2, 0, v9, s2
	v_sub_co_u32 v15, s2, v6, s18
	v_sub_co_ci_u32_e32 v7, vcc_lo, v12, v7, vcc_lo
	v_subrev_co_ci_u32_e64 v10, s2, 0, v10, s2
	v_cmp_le_u32_e32 vcc_lo, s18, v15
	s_delay_alu instid0(VALU_DEP_3) | instskip(SKIP_1) | instid1(VALU_DEP_4)
	v_cmp_eq_u32_e64 s2, s19, v7
	v_cndmask_b32_e64 v12, 0, -1, vcc_lo
	v_cmp_le_u32_e32 vcc_lo, s19, v10
	v_cndmask_b32_e64 v15, 0, -1, vcc_lo
	v_cmp_le_u32_e32 vcc_lo, s18, v6
	;; [unrolled: 2-line block ×3, first 2 shown]
	v_cndmask_b32_e64 v16, 0, -1, vcc_lo
	v_cmp_eq_u32_e32 vcc_lo, s19, v10
	s_delay_alu instid0(VALU_DEP_2) | instskip(SKIP_3) | instid1(VALU_DEP_3)
	v_cndmask_b32_e64 v6, v16, v6, s2
	v_cndmask_b32_e32 v10, v15, v12, vcc_lo
	v_add_co_u32 v12, vcc_lo, v8, 1
	v_add_co_ci_u32_e32 v15, vcc_lo, 0, v9, vcc_lo
	v_cmp_ne_u32_e32 vcc_lo, 0, v10
	s_delay_alu instid0(VALU_DEP_2) | instskip(SKIP_2) | instid1(VALU_DEP_3)
	v_dual_cndmask_b32 v7, v15, v14 :: v_dual_cndmask_b32 v10, v12, v11
	v_cmp_ne_u32_e32 vcc_lo, 0, v6
	v_xor_b32_e32 v11, s16, v13
	v_dual_cndmask_b32 v6, v9, v7 :: v_dual_cndmask_b32 v7, v8, v10
	s_delay_alu instid0(VALU_DEP_1) | instskip(NEXT) | instid1(VALU_DEP_2)
	v_xor_b32_e32 v8, v6, v11
	v_xor_b32_e32 v7, v7, v11
	s_delay_alu instid0(VALU_DEP_1) | instskip(NEXT) | instid1(VALU_DEP_3)
	v_sub_co_u32 v6, vcc_lo, v7, v11
	v_sub_co_ci_u32_e32 v7, vcc_lo, v8, v11, vcc_lo
.LBB70_11:
	s_or_saveexec_b32 s2, s21
	s_load_b512 s[16:31], s[0:1], 0x18
	s_xor_b32 exec_lo, exec_lo, s2
	s_cbranch_execz .LBB70_13
; %bb.12:
	v_cvt_f32_u32_e32 v6, s3
	s_sub_i32 s33, 0, s3
	s_delay_alu instid0(VALU_DEP_1) | instskip(SKIP_2) | instid1(VALU_DEP_1)
	v_rcp_iflag_f32_e32 v6, v6
	s_waitcnt_depctr 0xfff
	v_mul_f32_e32 v6, 0x4f7ffffe, v6
	v_cvt_u32_f32_e32 v6, v6
	s_delay_alu instid0(VALU_DEP_1) | instskip(NEXT) | instid1(VALU_DEP_1)
	v_mul_lo_u32 v7, s33, v6
	v_mul_hi_u32 v7, v6, v7
	s_delay_alu instid0(VALU_DEP_1) | instskip(NEXT) | instid1(VALU_DEP_1)
	v_add_nc_u32_e32 v6, v6, v7
	v_mul_hi_u32 v6, v2, v6
	s_delay_alu instid0(VALU_DEP_1) | instskip(SKIP_1) | instid1(VALU_DEP_2)
	v_mul_lo_u32 v7, v6, s3
	v_add_nc_u32_e32 v8, 1, v6
	v_sub_nc_u32_e32 v7, v2, v7
	s_delay_alu instid0(VALU_DEP_1) | instskip(SKIP_1) | instid1(VALU_DEP_2)
	v_subrev_nc_u32_e32 v9, s3, v7
	v_cmp_le_u32_e32 vcc_lo, s3, v7
	v_dual_cndmask_b32 v7, v7, v9 :: v_dual_cndmask_b32 v6, v6, v8
	s_delay_alu instid0(VALU_DEP_1) | instskip(NEXT) | instid1(VALU_DEP_2)
	v_cmp_le_u32_e32 vcc_lo, s3, v7
	v_dual_mov_b32 v7, 0 :: v_dual_add_nc_u32 v8, 1, v6
	s_delay_alu instid0(VALU_DEP_1)
	v_cndmask_b32_e32 v6, v6, v8, vcc_lo
.LBB70_13:
	s_or_b32 exec_lo, exec_lo, s2
	s_load_b256 s[36:43], s[0:1], 0xb0
	v_mul_lo_u32 v5, v5, s34
	v_mul_lo_u32 v10, v4, s35
	v_mad_u64_u32 v[8:9], null, v4, s34, 0
	s_load_b64 s[0:1], s[0:1], 0xd0
	s_delay_alu instid0(VALU_DEP_1) | instskip(NEXT) | instid1(VALU_DEP_2)
	v_add3_u32 v4, v9, v10, v5
	v_sub_co_u32 v8, vcc_lo, v2, v8
	s_delay_alu instid0(VALU_DEP_2)
	v_sub_co_ci_u32_e32 v9, vcc_lo, v3, v4, vcc_lo
	s_waitcnt lgkmcnt(0)
	s_sub_u32 s2, 0, s36
	s_subb_u32 s3, 0, s37
	s_sub_u32 s34, 0, s38
	v_cmp_gt_i64_e64 s50, s[2:3], 0
	s_subb_u32 s35, 0, s39
	v_cmp_gt_i64_e64 s33, s[36:37], 0
	s_sub_u32 s48, 0, s40
	s_subb_u32 s49, 0, s41
	v_cmp_gt_i64_e64 s54, s[34:35], 0
	v_cmp_gt_i64_e64 s52, s[38:39], 0
	;; [unrolled: 1-line block ×4, first 2 shown]
	s_and_b32 s50, s50, exec_lo
	s_cselect_b32 s56, s3, 0
	s_cselect_b32 s57, s2, 0
	s_and_b32 s2, s33, exec_lo
	s_cselect_b32 s51, s37, 0
	s_cselect_b32 s50, s36, 0
	;; [unrolled: 3-line block ×5, first 2 shown]
	s_and_b32 s2, s53, exec_lo
	v_sub_co_u32 v2, vcc_lo, v8, s36
	s_cselect_b32 s3, s41, 0
	s_cselect_b32 s2, s40, 0
	s_add_u32 s48, s20, s36
	v_subrev_co_ci_u32_e32 v3, vcc_lo, s37, v9, vcc_lo
	s_addc_u32 s49, s21, s37
	v_sub_co_u32 v4, vcc_lo, v8, s48
	v_subrev_co_ci_u32_e32 v5, vcc_lo, s49, v9, vcc_lo
	s_delay_alu instid0(VALU_DEP_3) | instskip(NEXT) | instid1(VALU_DEP_3)
	v_ashrrev_i32_e32 v10, 31, v3
	v_add_co_u32 v4, vcc_lo, v4, 1
	s_delay_alu instid0(VALU_DEP_3) | instskip(NEXT) | instid1(VALU_DEP_3)
	v_add_co_ci_u32_e32 v5, vcc_lo, 0, v5, vcc_lo
	v_xor_b32_e32 v2, v2, v10
	v_xor_b32_e32 v3, v3, v10
	s_lshl_b64 s[36:37], s[36:37], 1
	s_delay_alu instid0(VALU_DEP_3) | instskip(SKIP_3) | instid1(VALU_DEP_3)
	v_ashrrev_i32_e32 v11, 31, v5
	s_not_b64 s[48:49], s[50:51]
	v_sub_co_u32 v2, vcc_lo, v2, v10
	v_sub_co_ci_u32_e32 v3, vcc_lo, v3, v10, vcc_lo
	v_xor_b32_e32 v4, v4, v11
	v_xor_b32_e32 v5, v5, v11
	s_add_u32 s36, s36, s48
	s_addc_u32 s37, s37, s49
	s_add_u32 s36, s36, s57
	v_sub_co_u32 v4, vcc_lo, v4, v11
	v_sub_co_ci_u32_e32 v5, vcc_lo, v5, v11, vcc_lo
	v_sub_co_u32 v10, vcc_lo, v0, s38
	s_addc_u32 s37, s37, s56
	s_add_u32 s20, s36, s20
	v_subrev_co_ci_u32_e32 v11, vcc_lo, s39, v1, vcc_lo
	s_addc_u32 s21, s37, s21
	v_add_co_u32 v4, vcc_lo, v8, v4
	s_add_u32 s36, s18, s38
	v_add_co_ci_u32_e32 v5, vcc_lo, v9, v5, vcc_lo
	s_addc_u32 s37, s19, s39
	v_sub_co_u32 v13, vcc_lo, v0, s36
	v_subrev_co_ci_u32_e32 v14, vcc_lo, s37, v1, vcc_lo
	v_ashrrev_i32_e32 v12, 31, v11
	s_delay_alu instid0(VALU_DEP_3) | instskip(NEXT) | instid1(VALU_DEP_3)
	v_add_co_u32 v13, vcc_lo, v13, 1
	v_add_co_ci_u32_e32 v14, vcc_lo, 0, v14, vcc_lo
	s_delay_alu instid0(VALU_DEP_3) | instskip(SKIP_2) | instid1(VALU_DEP_4)
	v_xor_b32_e32 v10, v10, v12
	v_sub_co_u32 v4, vcc_lo, s20, v4
	v_xor_b32_e32 v11, v11, v12
	v_ashrrev_i32_e32 v15, 31, v14
	v_sub_co_ci_u32_e32 v5, vcc_lo, s21, v5, vcc_lo
	v_sub_co_u32 v10, vcc_lo, v10, v12
	s_delay_alu instid0(VALU_DEP_4) | instskip(NEXT) | instid1(VALU_DEP_4)
	v_sub_co_ci_u32_e32 v11, vcc_lo, v11, v12, vcc_lo
	v_xor_b32_e32 v12, v13, v15
	v_xor_b32_e32 v13, v14, v15
	s_lshl_b64 s[20:21], s[38:39], 1
	s_not_b64 s[34:35], s[34:35]
	s_delay_alu instid0(VALU_DEP_2) | instskip(NEXT) | instid1(VALU_DEP_2)
	v_sub_co_u32 v12, vcc_lo, v12, v15
	v_sub_co_ci_u32_e32 v13, vcc_lo, v13, v15, vcc_lo
	s_add_u32 s20, s20, s34
	s_addc_u32 s21, s21, s35
	s_delay_alu instid0(VALU_DEP_2)
	v_add_co_u32 v12, vcc_lo, v0, v12
	s_add_u32 s20, s20, s54
	s_addc_u32 s21, s21, s33
	v_add_co_ci_u32_e32 v13, vcc_lo, v1, v13, vcc_lo
	s_add_u32 s18, s20, s18
	s_addc_u32 s19, s21, s19
	v_sub_co_u32 v12, vcc_lo, s18, v12
	s_delay_alu instid0(VALU_DEP_2) | instskip(SKIP_2) | instid1(VALU_DEP_4)
	v_sub_co_ci_u32_e32 v13, vcc_lo, s19, v13, vcc_lo
	v_add_co_u32 v14, vcc_lo, v4, v2
	v_add_co_ci_u32_e32 v15, vcc_lo, v5, v3, vcc_lo
	v_add_co_u32 v10, vcc_lo, v12, v10
	s_delay_alu instid0(VALU_DEP_4)
	v_add_co_ci_u32_e32 v11, vcc_lo, v13, v11, vcc_lo
	v_sub_co_u32 v2, vcc_lo, v6, s40
	s_add_u32 s18, s16, s40
	v_subrev_co_ci_u32_e32 v3, vcc_lo, s41, v7, vcc_lo
	s_addc_u32 s19, s17, s41
	v_sub_co_u32 v4, vcc_lo, v6, s18
	v_subrev_co_ci_u32_e32 v5, vcc_lo, s19, v7, vcc_lo
	s_delay_alu instid0(VALU_DEP_3) | instskip(NEXT) | instid1(VALU_DEP_3)
	v_ashrrev_i32_e32 v12, 31, v3
	v_add_co_u32 v4, vcc_lo, v4, 1
	s_delay_alu instid0(VALU_DEP_3) | instskip(NEXT) | instid1(VALU_DEP_3)
	v_add_co_ci_u32_e32 v5, vcc_lo, 0, v5, vcc_lo
	v_xor_b32_e32 v2, v2, v12
	v_xor_b32_e32 v3, v3, v12
	s_lshl_b64 s[18:19], s[40:41], 1
	s_delay_alu instid0(VALU_DEP_3) | instskip(SKIP_3) | instid1(VALU_DEP_2)
	v_ashrrev_i32_e32 v13, 31, v5
	s_not_b64 s[2:3], s[2:3]
	v_sub_co_u32 v16, vcc_lo, v2, v12
	s_add_u32 s2, s18, s2
	v_xor_b32_e32 v2, v4, v13
	v_sub_co_ci_u32_e32 v12, vcc_lo, v3, v12, vcc_lo
	v_xor_b32_e32 v3, v5, v13
	s_addc_u32 s3, s19, s3
	s_add_u32 s2, s2, s55
	s_addc_u32 s3, s3, s52
	v_sub_co_u32 v2, vcc_lo, v2, v13
	s_add_u32 s2, s2, s16
	s_addc_u32 s3, s3, s17
	v_sub_co_ci_u32_e32 v3, vcc_lo, v3, v13, vcc_lo
	s_add_u32 s14, s14, s42
	s_addc_u32 s16, 0, s43
	s_add_u32 s15, s15, s0
	v_add_co_u32 v4, vcc_lo, v6, v2
	s_addc_u32 s17, 0, s1
	v_add_co_ci_u32_e32 v5, vcc_lo, v7, v3, vcc_lo
	v_mul_lo_u32 v7, v7, s8
	v_mul_lo_u32 v13, v6, s9
	v_mad_u64_u32 v[2:3], null, v6, s8, 0
	s_mul_i32 s0, s4, s17
	s_mul_hi_u32 s1, s4, s15
	v_sub_co_u32 v6, vcc_lo, s2, v4
	s_add_i32 s0, s1, s0
	s_mul_i32 s1, s5, s15
	v_sub_co_ci_u32_e32 v17, vcc_lo, s3, v5, vcc_lo
	s_add_i32 s1, s0, s1
	s_mul_i32 s0, s4, s15
	v_add3_u32 v3, v3, v13, v7
	s_lshl_b64 s[0:1], s[0:1], 4
	v_mul_lo_u32 v7, v1, s10
	v_mul_lo_u32 v13, v0, s11
	v_mad_u64_u32 v[4:5], null, v0, s10, 0
	s_add_u32 s4, s46, s0
	s_mul_i32 s0, s6, s16
	s_mul_hi_u32 s5, s6, s14
	s_addc_u32 s18, s47, s1
	s_add_i32 s0, s5, s0
	s_mul_i32 s1, s7, s14
	v_lshlrev_b64 v[0:1], 4, v[2:3]
	s_add_i32 s1, s0, s1
	s_mul_i32 s0, s6, s14
	v_add_co_u32 v6, vcc_lo, v6, v16
	s_lshl_b64 s[0:1], s[0:1], 4
	v_add3_u32 v5, v5, v13, v7
	s_add_u32 s0, s4, s0
	v_add_co_ci_u32_e32 v12, vcc_lo, v17, v12, vcc_lo
	s_addc_u32 s1, s18, s1
	v_add_co_u32 v7, vcc_lo, s0, v0
	v_add_co_ci_u32_e32 v13, vcc_lo, s1, v1, vcc_lo
	v_lshlrev_b64 v[0:1], 4, v[4:5]
	v_mul_lo_u32 v4, v9, s12
	v_mul_lo_u32 v5, v8, s13
	v_mad_u64_u32 v[2:3], null, v8, s12, 0
	s_mul_i32 s0, s22, s17
	s_delay_alu instid0(VALU_DEP_4)
	v_add_co_u32 v8, vcc_lo, v7, v0
	v_add_co_ci_u32_e32 v9, vcc_lo, v13, v1, vcc_lo
	v_mul_lo_u32 v7, v12, s26
	v_mul_lo_u32 v12, v6, s27
	v_mad_u64_u32 v[0:1], null, v6, s26, 0
	s_mul_hi_u32 s1, s22, s15
	v_add3_u32 v3, v3, v5, v4
	s_add_i32 s0, s1, s0
	s_mul_i32 s1, s23, s15
	v_mul_lo_u32 v6, v11, s28
	s_add_i32 s1, s0, s1
	s_mul_i32 s0, s22, s15
	v_mul_lo_u32 v11, v10, s29
	v_mad_u64_u32 v[4:5], null, v10, s28, 0
	s_lshl_b64 s[0:1], s[0:1], 4
	v_add3_u32 v1, v1, v12, v7
	s_add_u32 s2, s44, s0
	s_mul_i32 s0, s24, s16
	s_mul_hi_u32 s3, s24, s14
	s_addc_u32 s4, s45, s1
	s_add_i32 s0, s3, s0
	s_mul_i32 s1, s25, s14
	v_lshlrev_b64 v[0:1], 4, v[0:1]
	s_add_i32 s1, s0, s1
	s_mul_i32 s0, s24, s14
	v_add3_u32 v5, v5, v11, v6
	v_mul_lo_u32 v10, v15, s30
	v_mul_lo_u32 v11, v14, s31
	v_mad_u64_u32 v[6:7], null, v14, s30, 0
	s_lshl_b64 s[0:1], s[0:1], 4
	v_lshlrev_b64 v[4:5], 4, v[4:5]
	s_add_u32 s0, s2, s0
	s_addc_u32 s1, s4, s1
	v_add_co_u32 v0, vcc_lo, s0, v0
	v_add_co_ci_u32_e32 v1, vcc_lo, s1, v1, vcc_lo
	s_delay_alu instid0(VALU_DEP_4) | instskip(SKIP_1) | instid1(VALU_DEP_4)
	v_add3_u32 v7, v7, v11, v10
	v_lshlrev_b64 v[2:3], 4, v[2:3]
	v_add_co_u32 v4, vcc_lo, v0, v4
	s_delay_alu instid0(VALU_DEP_4) | instskip(NEXT) | instid1(VALU_DEP_4)
	v_add_co_ci_u32_e32 v5, vcc_lo, v1, v5, vcc_lo
	v_lshlrev_b64 v[0:1], 4, v[6:7]
	s_delay_alu instid0(VALU_DEP_4) | instskip(SKIP_2) | instid1(VALU_DEP_3)
	v_add_co_u32 v2, vcc_lo, v8, v2
	v_add_co_ci_u32_e32 v3, vcc_lo, v9, v3, vcc_lo
	s_mov_b32 s0, 0
	v_add_co_u32 v8, vcc_lo, v4, v0
	s_delay_alu instid0(VALU_DEP_4)
	v_add_co_ci_u32_e32 v9, vcc_lo, v5, v1, vcc_lo
	global_load_b128 v[0:3], v[2:3], off
	global_load_b64 v[6:7], v[8:9], off
.LBB70_14:                              ; =>This Inner Loop Header: Depth=1
	s_waitcnt vmcnt(0)
	v_add_f64 v[4:5], v[6:7], v[0:1]
	global_atomic_cmpswap_b64 v[4:5], v[8:9], v[4:7], off glc
	s_waitcnt vmcnt(0)
	v_cmp_eq_u64_e32 vcc_lo, v[4:5], v[6:7]
	v_dual_mov_b32 v7, v5 :: v_dual_mov_b32 v6, v4
	s_or_b32 s0, vcc_lo, s0
	s_delay_alu instid0(SALU_CYCLE_1)
	s_and_not1_b32 exec_lo, exec_lo, s0
	s_cbranch_execnz .LBB70_14
; %bb.15:
	s_or_b32 exec_lo, exec_lo, s0
	global_load_b64 v[6:7], v[8:9], off offset:8
	s_mov_b32 s0, 0
.LBB70_16:                              ; =>This Inner Loop Header: Depth=1
	s_waitcnt vmcnt(0)
	v_add_f64 v[4:5], v[6:7], v[2:3]
	global_atomic_cmpswap_b64 v[0:1], v[8:9], v[4:7], off offset:8 glc
	s_waitcnt vmcnt(0)
	v_cmp_eq_u64_e32 vcc_lo, v[0:1], v[6:7]
	v_dual_mov_b32 v7, v1 :: v_dual_mov_b32 v6, v0
	s_or_b32 s0, vcc_lo, s0
	s_delay_alu instid0(SALU_CYCLE_1)
	s_and_not1_b32 exec_lo, exec_lo, s0
	s_cbranch_execnz .LBB70_16
.LBB70_17:
	s_endpgm
	.section	.rodata,"a",@progbits
	.p2align	6, 0x0
	.amdhsa_kernel _ZN2at6native12_GLOBAL__N_136reflection_pad3d_backward_out_kernelIN3c107complexIdEEEEvN5torch10headeronly6detail27GenericPackedTensorAccessorINS8_14TensorAccessorINS3_8ArrayRefIlEET_Lm4ENS7_16DefaultPtrTraitsElEENS_6detail16IndexBoundsCheckILm5ElEESD_Lm5ESE_lEENS9_INSA_ISC_KSD_Lm4ESE_lEESI_SK_Lm5ESE_lEElllll
		.amdhsa_group_segment_fixed_size 0
		.amdhsa_private_segment_fixed_size 0
		.amdhsa_kernarg_size 472
		.amdhsa_user_sgpr_count 13
		.amdhsa_user_sgpr_dispatch_ptr 0
		.amdhsa_user_sgpr_queue_ptr 0
		.amdhsa_user_sgpr_kernarg_segment_ptr 1
		.amdhsa_user_sgpr_dispatch_id 0
		.amdhsa_user_sgpr_private_segment_size 0
		.amdhsa_wavefront_size32 1
		.amdhsa_uses_dynamic_stack 0
		.amdhsa_enable_private_segment 0
		.amdhsa_system_sgpr_workgroup_id_x 1
		.amdhsa_system_sgpr_workgroup_id_y 1
		.amdhsa_system_sgpr_workgroup_id_z 1
		.amdhsa_system_sgpr_workgroup_info 0
		.amdhsa_system_vgpr_workitem_id 0
		.amdhsa_next_free_vgpr 18
		.amdhsa_next_free_sgpr 58
		.amdhsa_reserve_vcc 1
		.amdhsa_float_round_mode_32 0
		.amdhsa_float_round_mode_16_64 0
		.amdhsa_float_denorm_mode_32 3
		.amdhsa_float_denorm_mode_16_64 3
		.amdhsa_dx10_clamp 1
		.amdhsa_ieee_mode 1
		.amdhsa_fp16_overflow 0
		.amdhsa_workgroup_processor_mode 1
		.amdhsa_memory_ordered 1
		.amdhsa_forward_progress 0
		.amdhsa_shared_vgpr_count 0
		.amdhsa_exception_fp_ieee_invalid_op 0
		.amdhsa_exception_fp_denorm_src 0
		.amdhsa_exception_fp_ieee_div_zero 0
		.amdhsa_exception_fp_ieee_overflow 0
		.amdhsa_exception_fp_ieee_underflow 0
		.amdhsa_exception_fp_ieee_inexact 0
		.amdhsa_exception_int_div_zero 0
	.end_amdhsa_kernel
	.section	.text._ZN2at6native12_GLOBAL__N_136reflection_pad3d_backward_out_kernelIN3c107complexIdEEEEvN5torch10headeronly6detail27GenericPackedTensorAccessorINS8_14TensorAccessorINS3_8ArrayRefIlEET_Lm4ENS7_16DefaultPtrTraitsElEENS_6detail16IndexBoundsCheckILm5ElEESD_Lm5ESE_lEENS9_INSA_ISC_KSD_Lm4ESE_lEESI_SK_Lm5ESE_lEElllll,"axG",@progbits,_ZN2at6native12_GLOBAL__N_136reflection_pad3d_backward_out_kernelIN3c107complexIdEEEEvN5torch10headeronly6detail27GenericPackedTensorAccessorINS8_14TensorAccessorINS3_8ArrayRefIlEET_Lm4ENS7_16DefaultPtrTraitsElEENS_6detail16IndexBoundsCheckILm5ElEESD_Lm5ESE_lEENS9_INSA_ISC_KSD_Lm4ESE_lEESI_SK_Lm5ESE_lEElllll,comdat
.Lfunc_end70:
	.size	_ZN2at6native12_GLOBAL__N_136reflection_pad3d_backward_out_kernelIN3c107complexIdEEEEvN5torch10headeronly6detail27GenericPackedTensorAccessorINS8_14TensorAccessorINS3_8ArrayRefIlEET_Lm4ENS7_16DefaultPtrTraitsElEENS_6detail16IndexBoundsCheckILm5ElEESD_Lm5ESE_lEENS9_INSA_ISC_KSD_Lm4ESE_lEESI_SK_Lm5ESE_lEElllll, .Lfunc_end70-_ZN2at6native12_GLOBAL__N_136reflection_pad3d_backward_out_kernelIN3c107complexIdEEEEvN5torch10headeronly6detail27GenericPackedTensorAccessorINS8_14TensorAccessorINS3_8ArrayRefIlEET_Lm4ENS7_16DefaultPtrTraitsElEENS_6detail16IndexBoundsCheckILm5ElEESD_Lm5ESE_lEENS9_INSA_ISC_KSD_Lm4ESE_lEESI_SK_Lm5ESE_lEElllll
                                        ; -- End function
	.section	.AMDGPU.csdata,"",@progbits
; Kernel info:
; codeLenInByte = 4544
; NumSgprs: 60
; NumVgprs: 18
; ScratchSize: 0
; MemoryBound: 0
; FloatMode: 240
; IeeeMode: 1
; LDSByteSize: 0 bytes/workgroup (compile time only)
; SGPRBlocks: 7
; VGPRBlocks: 2
; NumSGPRsForWavesPerEU: 60
; NumVGPRsForWavesPerEU: 18
; Occupancy: 16
; WaveLimiterHint : 0
; COMPUTE_PGM_RSRC2:SCRATCH_EN: 0
; COMPUTE_PGM_RSRC2:USER_SGPR: 13
; COMPUTE_PGM_RSRC2:TRAP_HANDLER: 0
; COMPUTE_PGM_RSRC2:TGID_X_EN: 1
; COMPUTE_PGM_RSRC2:TGID_Y_EN: 1
; COMPUTE_PGM_RSRC2:TGID_Z_EN: 1
; COMPUTE_PGM_RSRC2:TIDIG_COMP_CNT: 0
	.section	.text._ZN2at6native12_GLOBAL__N_136reflection_pad3d_backward_out_kernelIN3c107complexIfEEEEvN5torch10headeronly6detail27GenericPackedTensorAccessorINS8_14TensorAccessorINS3_8ArrayRefIlEET_Lm4ENS7_16DefaultPtrTraitsElEENS_6detail16IndexBoundsCheckILm5ElEESD_Lm5ESE_lEENS9_INSA_ISC_KSD_Lm4ESE_lEESI_SK_Lm5ESE_lEElllll,"axG",@progbits,_ZN2at6native12_GLOBAL__N_136reflection_pad3d_backward_out_kernelIN3c107complexIfEEEEvN5torch10headeronly6detail27GenericPackedTensorAccessorINS8_14TensorAccessorINS3_8ArrayRefIlEET_Lm4ENS7_16DefaultPtrTraitsElEENS_6detail16IndexBoundsCheckILm5ElEESD_Lm5ESE_lEENS9_INSA_ISC_KSD_Lm4ESE_lEESI_SK_Lm5ESE_lEElllll,comdat
	.globl	_ZN2at6native12_GLOBAL__N_136reflection_pad3d_backward_out_kernelIN3c107complexIfEEEEvN5torch10headeronly6detail27GenericPackedTensorAccessorINS8_14TensorAccessorINS3_8ArrayRefIlEET_Lm4ENS7_16DefaultPtrTraitsElEENS_6detail16IndexBoundsCheckILm5ElEESD_Lm5ESE_lEENS9_INSA_ISC_KSD_Lm4ESE_lEESI_SK_Lm5ESE_lEElllll ; -- Begin function _ZN2at6native12_GLOBAL__N_136reflection_pad3d_backward_out_kernelIN3c107complexIfEEEEvN5torch10headeronly6detail27GenericPackedTensorAccessorINS8_14TensorAccessorINS3_8ArrayRefIlEET_Lm4ENS7_16DefaultPtrTraitsElEENS_6detail16IndexBoundsCheckILm5ElEESD_Lm5ESE_lEENS9_INSA_ISC_KSD_Lm4ESE_lEESI_SK_Lm5ESE_lEElllll
	.p2align	8
	.type	_ZN2at6native12_GLOBAL__N_136reflection_pad3d_backward_out_kernelIN3c107complexIfEEEEvN5torch10headeronly6detail27GenericPackedTensorAccessorINS8_14TensorAccessorINS3_8ArrayRefIlEET_Lm4ENS7_16DefaultPtrTraitsElEENS_6detail16IndexBoundsCheckILm5ElEESD_Lm5ESE_lEENS9_INSA_ISC_KSD_Lm4ESE_lEESI_SK_Lm5ESE_lEElllll,@function
_ZN2at6native12_GLOBAL__N_136reflection_pad3d_backward_out_kernelIN3c107complexIfEEEEvN5torch10headeronly6detail27GenericPackedTensorAccessorINS8_14TensorAccessorINS3_8ArrayRefIlEET_Lm4ENS7_16DefaultPtrTraitsElEENS_6detail16IndexBoundsCheckILm5ElEESD_Lm5ESE_lEENS9_INSA_ISC_KSD_Lm4ESE_lEESI_SK_Lm5ESE_lEElllll: ; @_ZN2at6native12_GLOBAL__N_136reflection_pad3d_backward_out_kernelIN3c107complexIfEEEEvN5torch10headeronly6detail27GenericPackedTensorAccessorINS8_14TensorAccessorINS3_8ArrayRefIlEET_Lm4ENS7_16DefaultPtrTraitsElEENS_6detail16IndexBoundsCheckILm5ElEESD_Lm5ESE_lEENS9_INSA_ISC_KSD_Lm4ESE_lEESI_SK_Lm5ESE_lEElllll
; %bb.0:
	s_clause 0x2
	s_load_b32 s2, s[0:1], 0xe4
	s_load_b128 s[16:19], s[0:1], 0x70
	s_load_b64 s[34:35], s[0:1], 0x80
	v_mov_b32_e32 v4, 0
	s_delay_alu instid0(VALU_DEP_1)
	v_mov_b32_e32 v1, v4
	s_waitcnt lgkmcnt(0)
	s_and_b32 s2, s2, 0xffff
	s_mul_i32 s4, s34, s19
	s_mul_hi_u32 s5, s34, s18
	s_mul_i32 s6, s35, s18
	s_mul_i32 s3, s34, s18
	v_mad_u64_u32 v[2:3], null, s2, s13, v[0:1]
	s_add_i32 s20, s5, s4
	s_mul_i32 s2, s3, s17
	s_mul_hi_u32 s4, s3, s16
	s_add_i32 s20, s20, s6
	s_add_i32 s2, s4, s2
	s_mul_i32 s4, s20, s16
	s_delay_alu instid0(SALU_CYCLE_1)
	s_add_i32 s5, s2, s4
	s_mul_i32 s4, s3, s16
	s_mov_b32 s2, exec_lo
	v_cmpx_gt_i64_e64 s[4:5], v[2:3]
	s_cbranch_execz .LBB71_17
; %bb.1:
	v_or_b32_e32 v5, s35, v3
	s_delay_alu instid0(VALU_DEP_1) | instskip(SKIP_1) | instid1(SALU_CYCLE_1)
	v_cmp_ne_u64_e32 vcc_lo, 0, v[4:5]
                                        ; implicit-def: $vgpr4_vgpr5
	s_and_saveexec_b32 s2, vcc_lo
	s_xor_b32 s8, exec_lo, s2
	s_cbranch_execz .LBB71_3
; %bb.2:
	s_ashr_i32 s4, s35, 31
	s_delay_alu instid0(SALU_CYCLE_1) | instskip(SKIP_2) | instid1(SALU_CYCLE_1)
	s_add_u32 s6, s34, s4
	s_mov_b32 s5, s4
	s_addc_u32 s7, s35, s4
	s_xor_b64 s[6:7], s[6:7], s[4:5]
	s_delay_alu instid0(SALU_CYCLE_1) | instskip(SKIP_3) | instid1(VALU_DEP_1)
	v_cvt_f32_u32_e32 v0, s6
	v_cvt_f32_u32_e32 v1, s7
	s_sub_u32 s2, 0, s6
	s_subb_u32 s5, 0, s7
	v_fmamk_f32 v0, v1, 0x4f800000, v0
	s_delay_alu instid0(VALU_DEP_1) | instskip(SKIP_2) | instid1(VALU_DEP_1)
	v_rcp_f32_e32 v0, v0
	s_waitcnt_depctr 0xfff
	v_mul_f32_e32 v0, 0x5f7ffffc, v0
	v_mul_f32_e32 v1, 0x2f800000, v0
	s_delay_alu instid0(VALU_DEP_1) | instskip(NEXT) | instid1(VALU_DEP_1)
	v_trunc_f32_e32 v1, v1
	v_fmamk_f32 v0, v1, 0xcf800000, v0
	v_cvt_u32_f32_e32 v1, v1
	s_delay_alu instid0(VALU_DEP_2) | instskip(NEXT) | instid1(VALU_DEP_2)
	v_cvt_u32_f32_e32 v0, v0
	v_mul_lo_u32 v4, s2, v1
	s_delay_alu instid0(VALU_DEP_2) | instskip(SKIP_1) | instid1(VALU_DEP_2)
	v_mul_hi_u32 v5, s2, v0
	v_mul_lo_u32 v6, s5, v0
	v_add_nc_u32_e32 v4, v5, v4
	v_mul_lo_u32 v5, s2, v0
	s_delay_alu instid0(VALU_DEP_2) | instskip(NEXT) | instid1(VALU_DEP_2)
	v_add_nc_u32_e32 v4, v4, v6
	v_mul_hi_u32 v6, v0, v5
	s_delay_alu instid0(VALU_DEP_2)
	v_mul_lo_u32 v7, v0, v4
	v_mul_hi_u32 v8, v0, v4
	v_mul_hi_u32 v9, v1, v5
	v_mul_lo_u32 v5, v1, v5
	v_mul_hi_u32 v10, v1, v4
	v_mul_lo_u32 v4, v1, v4
	v_add_co_u32 v6, vcc_lo, v6, v7
	v_add_co_ci_u32_e32 v7, vcc_lo, 0, v8, vcc_lo
	s_delay_alu instid0(VALU_DEP_2) | instskip(NEXT) | instid1(VALU_DEP_2)
	v_add_co_u32 v5, vcc_lo, v6, v5
	v_add_co_ci_u32_e32 v5, vcc_lo, v7, v9, vcc_lo
	v_add_co_ci_u32_e32 v6, vcc_lo, 0, v10, vcc_lo
	v_ashrrev_i32_e32 v9, 31, v3
	s_delay_alu instid0(VALU_DEP_3) | instskip(NEXT) | instid1(VALU_DEP_3)
	v_add_co_u32 v4, vcc_lo, v5, v4
	v_add_co_ci_u32_e32 v5, vcc_lo, 0, v6, vcc_lo
	s_delay_alu instid0(VALU_DEP_2) | instskip(NEXT) | instid1(VALU_DEP_2)
	v_add_co_u32 v0, vcc_lo, v0, v4
	v_add_co_ci_u32_e32 v1, vcc_lo, v1, v5, vcc_lo
	s_delay_alu instid0(VALU_DEP_2) | instskip(SKIP_1) | instid1(VALU_DEP_3)
	v_mul_hi_u32 v4, s2, v0
	v_mul_lo_u32 v6, s5, v0
	v_mul_lo_u32 v5, s2, v1
	s_delay_alu instid0(VALU_DEP_1) | instskip(SKIP_1) | instid1(VALU_DEP_2)
	v_add_nc_u32_e32 v4, v4, v5
	v_mul_lo_u32 v5, s2, v0
	v_add_nc_u32_e32 v4, v4, v6
	s_delay_alu instid0(VALU_DEP_2) | instskip(NEXT) | instid1(VALU_DEP_2)
	v_mul_hi_u32 v6, v0, v5
	v_mul_lo_u32 v7, v0, v4
	v_mul_hi_u32 v8, v0, v4
	v_mul_hi_u32 v10, v1, v5
	v_mul_lo_u32 v5, v1, v5
	v_mul_hi_u32 v11, v1, v4
	v_mul_lo_u32 v4, v1, v4
	v_add_co_u32 v6, vcc_lo, v6, v7
	v_add_co_ci_u32_e32 v7, vcc_lo, 0, v8, vcc_lo
	s_delay_alu instid0(VALU_DEP_2) | instskip(NEXT) | instid1(VALU_DEP_2)
	v_add_co_u32 v5, vcc_lo, v6, v5
	v_add_co_ci_u32_e32 v5, vcc_lo, v7, v10, vcc_lo
	v_add_co_ci_u32_e32 v6, vcc_lo, 0, v11, vcc_lo
	v_add_co_u32 v7, vcc_lo, v2, v9
	v_add_co_ci_u32_e32 v8, vcc_lo, v3, v9, vcc_lo
	s_delay_alu instid0(VALU_DEP_4) | instskip(NEXT) | instid1(VALU_DEP_4)
	v_add_co_u32 v4, vcc_lo, v5, v4
	v_add_co_ci_u32_e32 v5, vcc_lo, 0, v6, vcc_lo
	s_delay_alu instid0(VALU_DEP_4) | instskip(NEXT) | instid1(VALU_DEP_3)
	v_xor_b32_e32 v10, v7, v9
	v_add_co_u32 v6, vcc_lo, v0, v4
	s_delay_alu instid0(VALU_DEP_3) | instskip(SKIP_1) | instid1(VALU_DEP_3)
	v_add_co_ci_u32_e32 v11, vcc_lo, v1, v5, vcc_lo
	v_xor_b32_e32 v8, v8, v9
	v_mul_hi_u32 v12, v10, v6
	s_delay_alu instid0(VALU_DEP_3) | instskip(NEXT) | instid1(VALU_DEP_3)
	v_mad_u64_u32 v[0:1], null, v10, v11, 0
	v_mad_u64_u32 v[4:5], null, v8, v6, 0
	;; [unrolled: 1-line block ×3, first 2 shown]
	s_delay_alu instid0(VALU_DEP_3) | instskip(NEXT) | instid1(VALU_DEP_4)
	v_add_co_u32 v0, vcc_lo, v12, v0
	v_add_co_ci_u32_e32 v1, vcc_lo, 0, v1, vcc_lo
	s_delay_alu instid0(VALU_DEP_2) | instskip(NEXT) | instid1(VALU_DEP_2)
	v_add_co_u32 v0, vcc_lo, v0, v4
	v_add_co_ci_u32_e32 v0, vcc_lo, v1, v5, vcc_lo
	v_add_co_ci_u32_e32 v1, vcc_lo, 0, v7, vcc_lo
	s_delay_alu instid0(VALU_DEP_2) | instskip(NEXT) | instid1(VALU_DEP_2)
	v_add_co_u32 v4, vcc_lo, v0, v6
	v_add_co_ci_u32_e32 v5, vcc_lo, 0, v1, vcc_lo
	s_delay_alu instid0(VALU_DEP_2) | instskip(SKIP_1) | instid1(VALU_DEP_3)
	v_mul_lo_u32 v6, s7, v4
	v_mad_u64_u32 v[0:1], null, s6, v4, 0
	v_mul_lo_u32 v7, s6, v5
	s_delay_alu instid0(VALU_DEP_2) | instskip(NEXT) | instid1(VALU_DEP_2)
	v_sub_co_u32 v0, vcc_lo, v10, v0
	v_add3_u32 v1, v1, v7, v6
	s_delay_alu instid0(VALU_DEP_1) | instskip(NEXT) | instid1(VALU_DEP_1)
	v_sub_nc_u32_e32 v6, v8, v1
	v_subrev_co_ci_u32_e64 v6, s2, s7, v6, vcc_lo
	v_add_co_u32 v7, s2, v4, 2
	s_delay_alu instid0(VALU_DEP_1) | instskip(SKIP_3) | instid1(VALU_DEP_3)
	v_add_co_ci_u32_e64 v10, s2, 0, v5, s2
	v_sub_co_u32 v11, s2, v0, s6
	v_sub_co_ci_u32_e32 v1, vcc_lo, v8, v1, vcc_lo
	v_subrev_co_ci_u32_e64 v6, s2, 0, v6, s2
	v_cmp_le_u32_e32 vcc_lo, s6, v11
	s_delay_alu instid0(VALU_DEP_3) | instskip(SKIP_1) | instid1(VALU_DEP_4)
	v_cmp_eq_u32_e64 s2, s7, v1
	v_cndmask_b32_e64 v8, 0, -1, vcc_lo
	v_cmp_le_u32_e32 vcc_lo, s7, v6
	v_cndmask_b32_e64 v11, 0, -1, vcc_lo
	v_cmp_le_u32_e32 vcc_lo, s6, v0
	;; [unrolled: 2-line block ×3, first 2 shown]
	v_cndmask_b32_e64 v12, 0, -1, vcc_lo
	v_cmp_eq_u32_e32 vcc_lo, s7, v6
	s_delay_alu instid0(VALU_DEP_2) | instskip(SKIP_3) | instid1(VALU_DEP_3)
	v_cndmask_b32_e64 v0, v12, v0, s2
	v_cndmask_b32_e32 v6, v11, v8, vcc_lo
	v_add_co_u32 v8, vcc_lo, v4, 1
	v_add_co_ci_u32_e32 v11, vcc_lo, 0, v5, vcc_lo
	v_cmp_ne_u32_e32 vcc_lo, 0, v6
	s_delay_alu instid0(VALU_DEP_2) | instskip(SKIP_2) | instid1(VALU_DEP_3)
	v_dual_cndmask_b32 v1, v11, v10 :: v_dual_cndmask_b32 v6, v8, v7
	v_cmp_ne_u32_e32 vcc_lo, 0, v0
	v_xor_b32_e32 v0, s4, v9
	v_dual_cndmask_b32 v4, v4, v6 :: v_dual_cndmask_b32 v1, v5, v1
	s_delay_alu instid0(VALU_DEP_1) | instskip(NEXT) | instid1(VALU_DEP_2)
	v_xor_b32_e32 v4, v4, v0
	v_xor_b32_e32 v1, v1, v0
	s_delay_alu instid0(VALU_DEP_2) | instskip(NEXT) | instid1(VALU_DEP_2)
	v_sub_co_u32 v4, vcc_lo, v4, v0
	v_sub_co_ci_u32_e32 v5, vcc_lo, v1, v0, vcc_lo
.LBB71_3:
	s_and_not1_saveexec_b32 s2, s8
	s_cbranch_execz .LBB71_5
; %bb.4:
	v_cvt_f32_u32_e32 v0, s34
	s_sub_i32 s4, 0, s34
	s_delay_alu instid0(VALU_DEP_1) | instskip(SKIP_2) | instid1(VALU_DEP_1)
	v_rcp_iflag_f32_e32 v0, v0
	s_waitcnt_depctr 0xfff
	v_mul_f32_e32 v0, 0x4f7ffffe, v0
	v_cvt_u32_f32_e32 v0, v0
	s_delay_alu instid0(VALU_DEP_1) | instskip(NEXT) | instid1(VALU_DEP_1)
	v_mul_lo_u32 v1, s4, v0
	v_mul_hi_u32 v1, v0, v1
	s_delay_alu instid0(VALU_DEP_1) | instskip(NEXT) | instid1(VALU_DEP_1)
	v_add_nc_u32_e32 v0, v0, v1
	v_mul_hi_u32 v0, v2, v0
	s_delay_alu instid0(VALU_DEP_1) | instskip(SKIP_1) | instid1(VALU_DEP_2)
	v_mul_lo_u32 v1, v0, s34
	v_add_nc_u32_e32 v4, 1, v0
	v_sub_nc_u32_e32 v1, v2, v1
	s_delay_alu instid0(VALU_DEP_1) | instskip(SKIP_1) | instid1(VALU_DEP_2)
	v_subrev_nc_u32_e32 v5, s34, v1
	v_cmp_le_u32_e32 vcc_lo, s34, v1
	v_cndmask_b32_e32 v1, v1, v5, vcc_lo
	v_dual_mov_b32 v5, 0 :: v_dual_cndmask_b32 v0, v0, v4
	s_delay_alu instid0(VALU_DEP_2) | instskip(NEXT) | instid1(VALU_DEP_2)
	v_cmp_le_u32_e32 vcc_lo, s34, v1
	v_add_nc_u32_e32 v4, 1, v0
	s_delay_alu instid0(VALU_DEP_1)
	v_cndmask_b32_e32 v4, v0, v4, vcc_lo
.LBB71_5:
	s_or_b32 exec_lo, exec_lo, s2
	s_delay_alu instid0(VALU_DEP_1) | instskip(SKIP_1) | instid1(VALU_DEP_1)
	v_or_b32_e32 v1, s19, v5
	v_mov_b32_e32 v0, 0
	v_cmp_ne_u64_e32 vcc_lo, 0, v[0:1]
                                        ; implicit-def: $vgpr0_vgpr1
	s_and_saveexec_b32 s2, vcc_lo
	s_delay_alu instid0(SALU_CYCLE_1)
	s_xor_b32 s6, exec_lo, s2
	s_cbranch_execz .LBB71_7
; %bb.6:
	s_ashr_i32 s4, s19, 31
	s_delay_alu instid0(SALU_CYCLE_1) | instskip(SKIP_2) | instid1(SALU_CYCLE_1)
	s_add_u32 s8, s18, s4
	s_mov_b32 s5, s4
	s_addc_u32 s9, s19, s4
	s_xor_b64 s[4:5], s[8:9], s[4:5]
	s_delay_alu instid0(SALU_CYCLE_1) | instskip(SKIP_3) | instid1(VALU_DEP_1)
	v_cvt_f32_u32_e32 v0, s4
	v_cvt_f32_u32_e32 v1, s5
	s_sub_u32 s2, 0, s4
	s_subb_u32 s7, 0, s5
	v_fmamk_f32 v0, v1, 0x4f800000, v0
	s_delay_alu instid0(VALU_DEP_1) | instskip(SKIP_2) | instid1(VALU_DEP_1)
	v_rcp_f32_e32 v0, v0
	s_waitcnt_depctr 0xfff
	v_mul_f32_e32 v0, 0x5f7ffffc, v0
	v_mul_f32_e32 v1, 0x2f800000, v0
	s_delay_alu instid0(VALU_DEP_1) | instskip(NEXT) | instid1(VALU_DEP_1)
	v_trunc_f32_e32 v1, v1
	v_fmamk_f32 v0, v1, 0xcf800000, v0
	v_cvt_u32_f32_e32 v1, v1
	s_delay_alu instid0(VALU_DEP_2) | instskip(NEXT) | instid1(VALU_DEP_2)
	v_cvt_u32_f32_e32 v0, v0
	v_mul_lo_u32 v6, s2, v1
	s_delay_alu instid0(VALU_DEP_2) | instskip(SKIP_1) | instid1(VALU_DEP_2)
	v_mul_hi_u32 v7, s2, v0
	v_mul_lo_u32 v8, s7, v0
	v_add_nc_u32_e32 v6, v7, v6
	v_mul_lo_u32 v7, s2, v0
	s_delay_alu instid0(VALU_DEP_2) | instskip(NEXT) | instid1(VALU_DEP_2)
	v_add_nc_u32_e32 v6, v6, v8
	v_mul_hi_u32 v8, v0, v7
	s_delay_alu instid0(VALU_DEP_2)
	v_mul_lo_u32 v9, v0, v6
	v_mul_hi_u32 v10, v0, v6
	v_mul_hi_u32 v11, v1, v7
	v_mul_lo_u32 v7, v1, v7
	v_mul_hi_u32 v12, v1, v6
	v_mul_lo_u32 v6, v1, v6
	v_add_co_u32 v8, vcc_lo, v8, v9
	v_add_co_ci_u32_e32 v9, vcc_lo, 0, v10, vcc_lo
	s_delay_alu instid0(VALU_DEP_2) | instskip(NEXT) | instid1(VALU_DEP_2)
	v_add_co_u32 v7, vcc_lo, v8, v7
	v_add_co_ci_u32_e32 v7, vcc_lo, v9, v11, vcc_lo
	v_add_co_ci_u32_e32 v8, vcc_lo, 0, v12, vcc_lo
	v_ashrrev_i32_e32 v11, 31, v5
	s_delay_alu instid0(VALU_DEP_3) | instskip(NEXT) | instid1(VALU_DEP_3)
	v_add_co_u32 v6, vcc_lo, v7, v6
	v_add_co_ci_u32_e32 v7, vcc_lo, 0, v8, vcc_lo
	s_delay_alu instid0(VALU_DEP_2) | instskip(NEXT) | instid1(VALU_DEP_2)
	v_add_co_u32 v0, vcc_lo, v0, v6
	v_add_co_ci_u32_e32 v1, vcc_lo, v1, v7, vcc_lo
	s_delay_alu instid0(VALU_DEP_2) | instskip(SKIP_1) | instid1(VALU_DEP_3)
	v_mul_hi_u32 v6, s2, v0
	v_mul_lo_u32 v8, s7, v0
	v_mul_lo_u32 v7, s2, v1
	s_delay_alu instid0(VALU_DEP_1) | instskip(SKIP_1) | instid1(VALU_DEP_2)
	v_add_nc_u32_e32 v6, v6, v7
	v_mul_lo_u32 v7, s2, v0
	v_add_nc_u32_e32 v6, v6, v8
	s_delay_alu instid0(VALU_DEP_2) | instskip(NEXT) | instid1(VALU_DEP_2)
	v_mul_hi_u32 v8, v0, v7
	v_mul_lo_u32 v9, v0, v6
	v_mul_hi_u32 v10, v0, v6
	v_mul_hi_u32 v12, v1, v7
	v_mul_lo_u32 v7, v1, v7
	v_mul_hi_u32 v13, v1, v6
	v_mul_lo_u32 v6, v1, v6
	v_add_co_u32 v8, vcc_lo, v8, v9
	v_add_co_ci_u32_e32 v9, vcc_lo, 0, v10, vcc_lo
	s_delay_alu instid0(VALU_DEP_2) | instskip(NEXT) | instid1(VALU_DEP_2)
	v_add_co_u32 v7, vcc_lo, v8, v7
	v_add_co_ci_u32_e32 v7, vcc_lo, v9, v12, vcc_lo
	v_add_co_ci_u32_e32 v8, vcc_lo, 0, v13, vcc_lo
	v_add_co_u32 v9, vcc_lo, v4, v11
	v_add_co_ci_u32_e32 v10, vcc_lo, v5, v11, vcc_lo
	s_delay_alu instid0(VALU_DEP_4) | instskip(NEXT) | instid1(VALU_DEP_4)
	v_add_co_u32 v6, vcc_lo, v7, v6
	v_add_co_ci_u32_e32 v7, vcc_lo, 0, v8, vcc_lo
	s_delay_alu instid0(VALU_DEP_4) | instskip(NEXT) | instid1(VALU_DEP_3)
	v_xor_b32_e32 v12, v9, v11
	v_add_co_u32 v8, vcc_lo, v0, v6
	s_delay_alu instid0(VALU_DEP_3) | instskip(SKIP_1) | instid1(VALU_DEP_3)
	v_add_co_ci_u32_e32 v13, vcc_lo, v1, v7, vcc_lo
	v_xor_b32_e32 v10, v10, v11
	v_mul_hi_u32 v14, v12, v8
	s_delay_alu instid0(VALU_DEP_3) | instskip(NEXT) | instid1(VALU_DEP_3)
	v_mad_u64_u32 v[0:1], null, v12, v13, 0
	v_mad_u64_u32 v[6:7], null, v10, v8, 0
	;; [unrolled: 1-line block ×3, first 2 shown]
	s_delay_alu instid0(VALU_DEP_3) | instskip(NEXT) | instid1(VALU_DEP_4)
	v_add_co_u32 v0, vcc_lo, v14, v0
	v_add_co_ci_u32_e32 v1, vcc_lo, 0, v1, vcc_lo
	s_delay_alu instid0(VALU_DEP_2) | instskip(NEXT) | instid1(VALU_DEP_2)
	v_add_co_u32 v0, vcc_lo, v0, v6
	v_add_co_ci_u32_e32 v0, vcc_lo, v1, v7, vcc_lo
	v_add_co_ci_u32_e32 v1, vcc_lo, 0, v9, vcc_lo
	s_delay_alu instid0(VALU_DEP_2) | instskip(NEXT) | instid1(VALU_DEP_2)
	v_add_co_u32 v6, vcc_lo, v0, v8
	v_add_co_ci_u32_e32 v7, vcc_lo, 0, v1, vcc_lo
	s_delay_alu instid0(VALU_DEP_2) | instskip(SKIP_1) | instid1(VALU_DEP_3)
	v_mul_lo_u32 v8, s5, v6
	v_mad_u64_u32 v[0:1], null, s4, v6, 0
	v_mul_lo_u32 v6, s4, v7
	s_delay_alu instid0(VALU_DEP_2) | instskip(NEXT) | instid1(VALU_DEP_2)
	v_sub_co_u32 v0, vcc_lo, v12, v0
	v_add3_u32 v1, v1, v6, v8
	s_delay_alu instid0(VALU_DEP_1) | instskip(NEXT) | instid1(VALU_DEP_1)
	v_sub_nc_u32_e32 v6, v10, v1
	v_subrev_co_ci_u32_e64 v6, s2, s5, v6, vcc_lo
	v_sub_co_ci_u32_e32 v1, vcc_lo, v10, v1, vcc_lo
	v_sub_co_u32 v7, vcc_lo, v0, s4
	s_delay_alu instid0(VALU_DEP_1) | instskip(SKIP_3) | instid1(VALU_DEP_3)
	v_subrev_co_ci_u32_e64 v8, s2, 0, v6, vcc_lo
	v_cmp_le_u32_e64 s2, s4, v0
	v_subrev_co_ci_u32_e32 v6, vcc_lo, s5, v6, vcc_lo
	v_cmp_le_u32_e32 vcc_lo, s5, v1
	v_cndmask_b32_e64 v9, 0, -1, s2
	v_cmp_le_u32_e64 s2, s4, v7
	v_cndmask_b32_e64 v13, 0, -1, vcc_lo
	v_cmp_eq_u32_e32 vcc_lo, s5, v8
	s_delay_alu instid0(VALU_DEP_3) | instskip(SKIP_1) | instid1(VALU_DEP_1)
	v_cndmask_b32_e64 v10, 0, -1, s2
	v_cmp_le_u32_e64 s2, s5, v8
	v_cndmask_b32_e64 v12, 0, -1, s2
	v_cmp_eq_u32_e64 s2, s5, v1
	s_delay_alu instid0(VALU_DEP_2) | instskip(SKIP_2) | instid1(VALU_DEP_3)
	v_cndmask_b32_e32 v10, v12, v10, vcc_lo
	v_sub_co_u32 v12, vcc_lo, v7, s4
	v_subrev_co_ci_u32_e32 v6, vcc_lo, 0, v6, vcc_lo
	v_cmp_ne_u32_e32 vcc_lo, 0, v10
	v_cndmask_b32_e64 v9, v13, v9, s2
	s_delay_alu instid0(VALU_DEP_3) | instskip(NEXT) | instid1(VALU_DEP_2)
	v_dual_cndmask_b32 v6, v8, v6 :: v_dual_cndmask_b32 v7, v7, v12
	v_cmp_ne_u32_e32 vcc_lo, 0, v9
	s_delay_alu instid0(VALU_DEP_2) | instskip(NEXT) | instid1(VALU_DEP_1)
	v_dual_cndmask_b32 v0, v0, v7 :: v_dual_cndmask_b32 v1, v1, v6
	v_xor_b32_e32 v0, v0, v11
	s_delay_alu instid0(VALU_DEP_2) | instskip(NEXT) | instid1(VALU_DEP_2)
	v_xor_b32_e32 v1, v1, v11
	v_sub_co_u32 v0, vcc_lo, v0, v11
	s_delay_alu instid0(VALU_DEP_2)
	v_sub_co_ci_u32_e32 v1, vcc_lo, v1, v11, vcc_lo
.LBB71_7:
	s_or_saveexec_b32 s2, s6
	s_clause 0x1
	s_load_b64 s[12:13], s[0:1], 0xa8
	s_load_b256 s[4:11], s[0:1], 0x88
	s_xor_b32 exec_lo, exec_lo, s2
	s_cbranch_execz .LBB71_9
; %bb.8:
	v_cvt_f32_u32_e32 v0, s18
	s_sub_i32 s16, 0, s18
	s_delay_alu instid0(VALU_DEP_1) | instskip(SKIP_2) | instid1(VALU_DEP_1)
	v_rcp_iflag_f32_e32 v0, v0
	s_waitcnt_depctr 0xfff
	v_mul_f32_e32 v0, 0x4f7ffffe, v0
	v_cvt_u32_f32_e32 v0, v0
	s_delay_alu instid0(VALU_DEP_1) | instskip(NEXT) | instid1(VALU_DEP_1)
	v_mul_lo_u32 v1, s16, v0
	v_mul_hi_u32 v1, v0, v1
	s_delay_alu instid0(VALU_DEP_1) | instskip(NEXT) | instid1(VALU_DEP_1)
	v_add_nc_u32_e32 v0, v0, v1
	v_mul_hi_u32 v0, v4, v0
	s_delay_alu instid0(VALU_DEP_1) | instskip(NEXT) | instid1(VALU_DEP_1)
	v_mul_lo_u32 v0, v0, s18
	v_sub_nc_u32_e32 v0, v4, v0
	s_delay_alu instid0(VALU_DEP_1) | instskip(SKIP_1) | instid1(VALU_DEP_2)
	v_subrev_nc_u32_e32 v1, s18, v0
	v_cmp_le_u32_e32 vcc_lo, s18, v0
	v_cndmask_b32_e32 v0, v0, v1, vcc_lo
	s_delay_alu instid0(VALU_DEP_1) | instskip(SKIP_1) | instid1(VALU_DEP_2)
	v_subrev_nc_u32_e32 v1, s18, v0
	v_cmp_le_u32_e32 vcc_lo, s18, v0
	v_dual_cndmask_b32 v0, v0, v1 :: v_dual_mov_b32 v1, 0
.LBB71_9:
	s_or_b32 exec_lo, exec_lo, s2
	s_clause 0x1
	s_load_b64 s[46:47], s[0:1], 0x58
	s_load_b64 s[44:45], s[0:1], 0x0
	v_or_b32_e32 v7, s20, v3
	v_mov_b32_e32 v6, 0
	s_delay_alu instid0(VALU_DEP_1) | instskip(SKIP_1) | instid1(SALU_CYCLE_1)
	v_cmp_ne_u64_e32 vcc_lo, 0, v[6:7]
                                        ; implicit-def: $vgpr6_vgpr7
	s_and_saveexec_b32 s2, vcc_lo
	s_xor_b32 s21, exec_lo, s2
	s_cbranch_execz .LBB71_11
; %bb.10:
	s_ashr_i32 s16, s20, 31
	s_delay_alu instid0(SALU_CYCLE_1) | instskip(SKIP_2) | instid1(SALU_CYCLE_1)
	s_add_u32 s18, s3, s16
	s_mov_b32 s17, s16
	s_addc_u32 s19, s20, s16
	s_xor_b64 s[18:19], s[18:19], s[16:17]
	s_delay_alu instid0(SALU_CYCLE_1) | instskip(SKIP_3) | instid1(VALU_DEP_1)
	v_cvt_f32_u32_e32 v6, s18
	v_cvt_f32_u32_e32 v7, s19
	s_sub_u32 s2, 0, s18
	s_subb_u32 s17, 0, s19
	v_fmamk_f32 v6, v7, 0x4f800000, v6
	s_delay_alu instid0(VALU_DEP_1) | instskip(SKIP_2) | instid1(VALU_DEP_1)
	v_rcp_f32_e32 v6, v6
	s_waitcnt_depctr 0xfff
	v_mul_f32_e32 v6, 0x5f7ffffc, v6
	v_mul_f32_e32 v7, 0x2f800000, v6
	s_delay_alu instid0(VALU_DEP_1) | instskip(NEXT) | instid1(VALU_DEP_1)
	v_trunc_f32_e32 v7, v7
	v_fmamk_f32 v6, v7, 0xcf800000, v6
	v_cvt_u32_f32_e32 v7, v7
	s_delay_alu instid0(VALU_DEP_2) | instskip(NEXT) | instid1(VALU_DEP_2)
	v_cvt_u32_f32_e32 v6, v6
	v_mul_lo_u32 v8, s2, v7
	s_delay_alu instid0(VALU_DEP_2) | instskip(SKIP_1) | instid1(VALU_DEP_2)
	v_mul_hi_u32 v9, s2, v6
	v_mul_lo_u32 v10, s17, v6
	v_add_nc_u32_e32 v8, v9, v8
	v_mul_lo_u32 v9, s2, v6
	s_delay_alu instid0(VALU_DEP_2) | instskip(NEXT) | instid1(VALU_DEP_2)
	v_add_nc_u32_e32 v8, v8, v10
	v_mul_hi_u32 v10, v6, v9
	s_delay_alu instid0(VALU_DEP_2)
	v_mul_lo_u32 v11, v6, v8
	v_mul_hi_u32 v12, v6, v8
	v_mul_hi_u32 v13, v7, v9
	v_mul_lo_u32 v9, v7, v9
	v_mul_hi_u32 v14, v7, v8
	v_mul_lo_u32 v8, v7, v8
	v_add_co_u32 v10, vcc_lo, v10, v11
	v_add_co_ci_u32_e32 v11, vcc_lo, 0, v12, vcc_lo
	s_delay_alu instid0(VALU_DEP_2) | instskip(NEXT) | instid1(VALU_DEP_2)
	v_add_co_u32 v9, vcc_lo, v10, v9
	v_add_co_ci_u32_e32 v9, vcc_lo, v11, v13, vcc_lo
	v_add_co_ci_u32_e32 v10, vcc_lo, 0, v14, vcc_lo
	v_ashrrev_i32_e32 v13, 31, v3
	s_delay_alu instid0(VALU_DEP_3) | instskip(NEXT) | instid1(VALU_DEP_3)
	v_add_co_u32 v8, vcc_lo, v9, v8
	v_add_co_ci_u32_e32 v9, vcc_lo, 0, v10, vcc_lo
	s_delay_alu instid0(VALU_DEP_2) | instskip(NEXT) | instid1(VALU_DEP_2)
	v_add_co_u32 v6, vcc_lo, v6, v8
	v_add_co_ci_u32_e32 v7, vcc_lo, v7, v9, vcc_lo
	s_delay_alu instid0(VALU_DEP_2) | instskip(SKIP_1) | instid1(VALU_DEP_3)
	v_mul_hi_u32 v8, s2, v6
	v_mul_lo_u32 v10, s17, v6
	v_mul_lo_u32 v9, s2, v7
	s_delay_alu instid0(VALU_DEP_1) | instskip(SKIP_1) | instid1(VALU_DEP_2)
	v_add_nc_u32_e32 v8, v8, v9
	v_mul_lo_u32 v9, s2, v6
	v_add_nc_u32_e32 v8, v8, v10
	s_delay_alu instid0(VALU_DEP_2) | instskip(NEXT) | instid1(VALU_DEP_2)
	v_mul_hi_u32 v10, v6, v9
	v_mul_lo_u32 v11, v6, v8
	v_mul_hi_u32 v12, v6, v8
	v_mul_hi_u32 v14, v7, v9
	v_mul_lo_u32 v9, v7, v9
	v_mul_hi_u32 v15, v7, v8
	v_mul_lo_u32 v8, v7, v8
	v_add_co_u32 v10, vcc_lo, v10, v11
	v_add_co_ci_u32_e32 v11, vcc_lo, 0, v12, vcc_lo
	s_delay_alu instid0(VALU_DEP_2) | instskip(NEXT) | instid1(VALU_DEP_2)
	v_add_co_u32 v9, vcc_lo, v10, v9
	v_add_co_ci_u32_e32 v9, vcc_lo, v11, v14, vcc_lo
	v_add_co_ci_u32_e32 v10, vcc_lo, 0, v15, vcc_lo
	v_add_co_u32 v11, vcc_lo, v2, v13
	v_add_co_ci_u32_e32 v12, vcc_lo, v3, v13, vcc_lo
	s_delay_alu instid0(VALU_DEP_4) | instskip(NEXT) | instid1(VALU_DEP_4)
	v_add_co_u32 v8, vcc_lo, v9, v8
	v_add_co_ci_u32_e32 v9, vcc_lo, 0, v10, vcc_lo
	s_delay_alu instid0(VALU_DEP_4) | instskip(NEXT) | instid1(VALU_DEP_3)
	v_xor_b32_e32 v14, v11, v13
	v_add_co_u32 v10, vcc_lo, v6, v8
	s_delay_alu instid0(VALU_DEP_3) | instskip(SKIP_1) | instid1(VALU_DEP_3)
	v_add_co_ci_u32_e32 v15, vcc_lo, v7, v9, vcc_lo
	v_xor_b32_e32 v12, v12, v13
	v_mul_hi_u32 v16, v14, v10
	s_delay_alu instid0(VALU_DEP_3) | instskip(NEXT) | instid1(VALU_DEP_3)
	v_mad_u64_u32 v[6:7], null, v14, v15, 0
	v_mad_u64_u32 v[8:9], null, v12, v10, 0
	;; [unrolled: 1-line block ×3, first 2 shown]
	s_delay_alu instid0(VALU_DEP_3) | instskip(NEXT) | instid1(VALU_DEP_4)
	v_add_co_u32 v6, vcc_lo, v16, v6
	v_add_co_ci_u32_e32 v7, vcc_lo, 0, v7, vcc_lo
	s_delay_alu instid0(VALU_DEP_2) | instskip(NEXT) | instid1(VALU_DEP_2)
	v_add_co_u32 v6, vcc_lo, v6, v8
	v_add_co_ci_u32_e32 v6, vcc_lo, v7, v9, vcc_lo
	v_add_co_ci_u32_e32 v7, vcc_lo, 0, v11, vcc_lo
	s_delay_alu instid0(VALU_DEP_2) | instskip(NEXT) | instid1(VALU_DEP_2)
	v_add_co_u32 v8, vcc_lo, v6, v10
	v_add_co_ci_u32_e32 v9, vcc_lo, 0, v7, vcc_lo
	s_delay_alu instid0(VALU_DEP_2) | instskip(SKIP_1) | instid1(VALU_DEP_3)
	v_mul_lo_u32 v10, s19, v8
	v_mad_u64_u32 v[6:7], null, s18, v8, 0
	v_mul_lo_u32 v11, s18, v9
	s_delay_alu instid0(VALU_DEP_2) | instskip(NEXT) | instid1(VALU_DEP_2)
	v_sub_co_u32 v6, vcc_lo, v14, v6
	v_add3_u32 v7, v7, v11, v10
	s_delay_alu instid0(VALU_DEP_1) | instskip(NEXT) | instid1(VALU_DEP_1)
	v_sub_nc_u32_e32 v10, v12, v7
	v_subrev_co_ci_u32_e64 v10, s2, s19, v10, vcc_lo
	v_add_co_u32 v11, s2, v8, 2
	s_delay_alu instid0(VALU_DEP_1) | instskip(SKIP_3) | instid1(VALU_DEP_3)
	v_add_co_ci_u32_e64 v14, s2, 0, v9, s2
	v_sub_co_u32 v15, s2, v6, s18
	v_sub_co_ci_u32_e32 v7, vcc_lo, v12, v7, vcc_lo
	v_subrev_co_ci_u32_e64 v10, s2, 0, v10, s2
	v_cmp_le_u32_e32 vcc_lo, s18, v15
	s_delay_alu instid0(VALU_DEP_3) | instskip(SKIP_1) | instid1(VALU_DEP_4)
	v_cmp_eq_u32_e64 s2, s19, v7
	v_cndmask_b32_e64 v12, 0, -1, vcc_lo
	v_cmp_le_u32_e32 vcc_lo, s19, v10
	v_cndmask_b32_e64 v15, 0, -1, vcc_lo
	v_cmp_le_u32_e32 vcc_lo, s18, v6
	v_cndmask_b32_e64 v6, 0, -1, vcc_lo
	v_cmp_le_u32_e32 vcc_lo, s19, v7
	v_cndmask_b32_e64 v16, 0, -1, vcc_lo
	v_cmp_eq_u32_e32 vcc_lo, s19, v10
	s_delay_alu instid0(VALU_DEP_2) | instskip(SKIP_3) | instid1(VALU_DEP_3)
	v_cndmask_b32_e64 v6, v16, v6, s2
	v_cndmask_b32_e32 v10, v15, v12, vcc_lo
	v_add_co_u32 v12, vcc_lo, v8, 1
	v_add_co_ci_u32_e32 v15, vcc_lo, 0, v9, vcc_lo
	v_cmp_ne_u32_e32 vcc_lo, 0, v10
	s_delay_alu instid0(VALU_DEP_2) | instskip(SKIP_2) | instid1(VALU_DEP_3)
	v_dual_cndmask_b32 v7, v15, v14 :: v_dual_cndmask_b32 v10, v12, v11
	v_cmp_ne_u32_e32 vcc_lo, 0, v6
	v_xor_b32_e32 v11, s16, v13
	v_dual_cndmask_b32 v6, v9, v7 :: v_dual_cndmask_b32 v7, v8, v10
	s_delay_alu instid0(VALU_DEP_1) | instskip(NEXT) | instid1(VALU_DEP_2)
	v_xor_b32_e32 v8, v6, v11
	v_xor_b32_e32 v7, v7, v11
	s_delay_alu instid0(VALU_DEP_1) | instskip(NEXT) | instid1(VALU_DEP_3)
	v_sub_co_u32 v6, vcc_lo, v7, v11
	v_sub_co_ci_u32_e32 v7, vcc_lo, v8, v11, vcc_lo
.LBB71_11:
	s_or_saveexec_b32 s2, s21
	s_load_b512 s[16:31], s[0:1], 0x18
	s_xor_b32 exec_lo, exec_lo, s2
	s_cbranch_execz .LBB71_13
; %bb.12:
	v_cvt_f32_u32_e32 v6, s3
	s_sub_i32 s33, 0, s3
	s_delay_alu instid0(VALU_DEP_1) | instskip(SKIP_2) | instid1(VALU_DEP_1)
	v_rcp_iflag_f32_e32 v6, v6
	s_waitcnt_depctr 0xfff
	v_mul_f32_e32 v6, 0x4f7ffffe, v6
	v_cvt_u32_f32_e32 v6, v6
	s_delay_alu instid0(VALU_DEP_1) | instskip(NEXT) | instid1(VALU_DEP_1)
	v_mul_lo_u32 v7, s33, v6
	v_mul_hi_u32 v7, v6, v7
	s_delay_alu instid0(VALU_DEP_1) | instskip(NEXT) | instid1(VALU_DEP_1)
	v_add_nc_u32_e32 v6, v6, v7
	v_mul_hi_u32 v6, v2, v6
	s_delay_alu instid0(VALU_DEP_1) | instskip(SKIP_1) | instid1(VALU_DEP_2)
	v_mul_lo_u32 v7, v6, s3
	v_add_nc_u32_e32 v8, 1, v6
	v_sub_nc_u32_e32 v7, v2, v7
	s_delay_alu instid0(VALU_DEP_1) | instskip(SKIP_1) | instid1(VALU_DEP_2)
	v_subrev_nc_u32_e32 v9, s3, v7
	v_cmp_le_u32_e32 vcc_lo, s3, v7
	v_dual_cndmask_b32 v7, v7, v9 :: v_dual_cndmask_b32 v6, v6, v8
	s_delay_alu instid0(VALU_DEP_1) | instskip(NEXT) | instid1(VALU_DEP_2)
	v_cmp_le_u32_e32 vcc_lo, s3, v7
	v_dual_mov_b32 v7, 0 :: v_dual_add_nc_u32 v8, 1, v6
	s_delay_alu instid0(VALU_DEP_1)
	v_cndmask_b32_e32 v6, v6, v8, vcc_lo
.LBB71_13:
	s_or_b32 exec_lo, exec_lo, s2
	s_load_b256 s[36:43], s[0:1], 0xb0
	v_mul_lo_u32 v5, v5, s34
	v_mul_lo_u32 v10, v4, s35
	v_mad_u64_u32 v[8:9], null, v4, s34, 0
	s_load_b64 s[0:1], s[0:1], 0xd0
	s_delay_alu instid0(VALU_DEP_1) | instskip(NEXT) | instid1(VALU_DEP_2)
	v_add3_u32 v4, v9, v10, v5
	v_sub_co_u32 v8, vcc_lo, v2, v8
	s_delay_alu instid0(VALU_DEP_2)
	v_sub_co_ci_u32_e32 v9, vcc_lo, v3, v4, vcc_lo
	s_waitcnt lgkmcnt(0)
	s_sub_u32 s2, 0, s36
	s_subb_u32 s3, 0, s37
	s_sub_u32 s34, 0, s38
	v_cmp_gt_i64_e64 s50, s[2:3], 0
	s_subb_u32 s35, 0, s39
	v_cmp_gt_i64_e64 s33, s[36:37], 0
	s_sub_u32 s48, 0, s40
	s_subb_u32 s49, 0, s41
	v_cmp_gt_i64_e64 s54, s[34:35], 0
	v_cmp_gt_i64_e64 s52, s[38:39], 0
	;; [unrolled: 1-line block ×4, first 2 shown]
	s_and_b32 s50, s50, exec_lo
	s_cselect_b32 s56, s3, 0
	s_cselect_b32 s57, s2, 0
	s_and_b32 s2, s33, exec_lo
	s_cselect_b32 s51, s37, 0
	s_cselect_b32 s50, s36, 0
	;; [unrolled: 3-line block ×5, first 2 shown]
	s_and_b32 s2, s53, exec_lo
	v_sub_co_u32 v2, vcc_lo, v8, s36
	s_cselect_b32 s3, s41, 0
	s_cselect_b32 s2, s40, 0
	s_add_u32 s48, s20, s36
	v_subrev_co_ci_u32_e32 v3, vcc_lo, s37, v9, vcc_lo
	s_addc_u32 s49, s21, s37
	v_sub_co_u32 v4, vcc_lo, v8, s48
	v_subrev_co_ci_u32_e32 v5, vcc_lo, s49, v9, vcc_lo
	s_delay_alu instid0(VALU_DEP_3) | instskip(NEXT) | instid1(VALU_DEP_3)
	v_ashrrev_i32_e32 v10, 31, v3
	v_add_co_u32 v4, vcc_lo, v4, 1
	s_delay_alu instid0(VALU_DEP_3) | instskip(NEXT) | instid1(VALU_DEP_3)
	v_add_co_ci_u32_e32 v5, vcc_lo, 0, v5, vcc_lo
	v_xor_b32_e32 v2, v2, v10
	v_xor_b32_e32 v3, v3, v10
	s_lshl_b64 s[36:37], s[36:37], 1
	s_delay_alu instid0(VALU_DEP_3) | instskip(SKIP_3) | instid1(VALU_DEP_3)
	v_ashrrev_i32_e32 v11, 31, v5
	s_not_b64 s[48:49], s[50:51]
	v_sub_co_u32 v2, vcc_lo, v2, v10
	v_sub_co_ci_u32_e32 v3, vcc_lo, v3, v10, vcc_lo
	v_xor_b32_e32 v4, v4, v11
	v_xor_b32_e32 v5, v5, v11
	s_add_u32 s36, s36, s48
	s_addc_u32 s37, s37, s49
	s_add_u32 s36, s36, s57
	v_sub_co_u32 v4, vcc_lo, v4, v11
	v_sub_co_ci_u32_e32 v5, vcc_lo, v5, v11, vcc_lo
	v_sub_co_u32 v10, vcc_lo, v0, s38
	s_addc_u32 s37, s37, s56
	s_add_u32 s20, s36, s20
	v_subrev_co_ci_u32_e32 v11, vcc_lo, s39, v1, vcc_lo
	s_addc_u32 s21, s37, s21
	v_add_co_u32 v4, vcc_lo, v8, v4
	s_add_u32 s36, s18, s38
	v_add_co_ci_u32_e32 v5, vcc_lo, v9, v5, vcc_lo
	s_addc_u32 s37, s19, s39
	v_sub_co_u32 v13, vcc_lo, v0, s36
	v_subrev_co_ci_u32_e32 v14, vcc_lo, s37, v1, vcc_lo
	v_ashrrev_i32_e32 v12, 31, v11
	s_delay_alu instid0(VALU_DEP_3) | instskip(NEXT) | instid1(VALU_DEP_3)
	v_add_co_u32 v13, vcc_lo, v13, 1
	v_add_co_ci_u32_e32 v14, vcc_lo, 0, v14, vcc_lo
	s_delay_alu instid0(VALU_DEP_3) | instskip(SKIP_2) | instid1(VALU_DEP_4)
	v_xor_b32_e32 v10, v10, v12
	v_sub_co_u32 v4, vcc_lo, s20, v4
	v_xor_b32_e32 v11, v11, v12
	v_ashrrev_i32_e32 v15, 31, v14
	v_sub_co_ci_u32_e32 v5, vcc_lo, s21, v5, vcc_lo
	v_sub_co_u32 v10, vcc_lo, v10, v12
	s_delay_alu instid0(VALU_DEP_4) | instskip(NEXT) | instid1(VALU_DEP_4)
	v_sub_co_ci_u32_e32 v11, vcc_lo, v11, v12, vcc_lo
	v_xor_b32_e32 v12, v13, v15
	v_xor_b32_e32 v13, v14, v15
	s_lshl_b64 s[20:21], s[38:39], 1
	s_not_b64 s[34:35], s[34:35]
	s_delay_alu instid0(VALU_DEP_2) | instskip(NEXT) | instid1(VALU_DEP_2)
	v_sub_co_u32 v12, vcc_lo, v12, v15
	v_sub_co_ci_u32_e32 v13, vcc_lo, v13, v15, vcc_lo
	s_add_u32 s20, s20, s34
	s_addc_u32 s21, s21, s35
	s_delay_alu instid0(VALU_DEP_2)
	v_add_co_u32 v12, vcc_lo, v0, v12
	s_add_u32 s20, s20, s54
	s_addc_u32 s21, s21, s33
	v_add_co_ci_u32_e32 v13, vcc_lo, v1, v13, vcc_lo
	s_add_u32 s18, s20, s18
	s_addc_u32 s19, s21, s19
	v_sub_co_u32 v12, vcc_lo, s18, v12
	s_delay_alu instid0(VALU_DEP_2) | instskip(SKIP_2) | instid1(VALU_DEP_4)
	v_sub_co_ci_u32_e32 v13, vcc_lo, s19, v13, vcc_lo
	v_add_co_u32 v14, vcc_lo, v4, v2
	v_add_co_ci_u32_e32 v15, vcc_lo, v5, v3, vcc_lo
	v_add_co_u32 v10, vcc_lo, v12, v10
	s_delay_alu instid0(VALU_DEP_4)
	v_add_co_ci_u32_e32 v11, vcc_lo, v13, v11, vcc_lo
	v_sub_co_u32 v2, vcc_lo, v6, s40
	s_add_u32 s18, s16, s40
	v_subrev_co_ci_u32_e32 v3, vcc_lo, s41, v7, vcc_lo
	s_addc_u32 s19, s17, s41
	v_sub_co_u32 v4, vcc_lo, v6, s18
	v_subrev_co_ci_u32_e32 v5, vcc_lo, s19, v7, vcc_lo
	s_delay_alu instid0(VALU_DEP_3) | instskip(NEXT) | instid1(VALU_DEP_3)
	v_ashrrev_i32_e32 v12, 31, v3
	v_add_co_u32 v4, vcc_lo, v4, 1
	s_delay_alu instid0(VALU_DEP_3) | instskip(NEXT) | instid1(VALU_DEP_3)
	v_add_co_ci_u32_e32 v5, vcc_lo, 0, v5, vcc_lo
	v_xor_b32_e32 v2, v2, v12
	v_xor_b32_e32 v3, v3, v12
	s_lshl_b64 s[18:19], s[40:41], 1
	s_delay_alu instid0(VALU_DEP_3) | instskip(SKIP_3) | instid1(VALU_DEP_2)
	v_ashrrev_i32_e32 v13, 31, v5
	s_not_b64 s[2:3], s[2:3]
	v_sub_co_u32 v16, vcc_lo, v2, v12
	s_add_u32 s2, s18, s2
	v_xor_b32_e32 v2, v4, v13
	v_sub_co_ci_u32_e32 v12, vcc_lo, v3, v12, vcc_lo
	v_xor_b32_e32 v3, v5, v13
	s_addc_u32 s3, s19, s3
	s_add_u32 s2, s2, s55
	s_addc_u32 s3, s3, s52
	v_sub_co_u32 v2, vcc_lo, v2, v13
	s_add_u32 s2, s2, s16
	s_addc_u32 s3, s3, s17
	v_sub_co_ci_u32_e32 v3, vcc_lo, v3, v13, vcc_lo
	s_add_u32 s14, s14, s42
	s_addc_u32 s16, 0, s43
	s_add_u32 s15, s15, s0
	v_add_co_u32 v4, vcc_lo, v6, v2
	s_addc_u32 s17, 0, s1
	v_add_co_ci_u32_e32 v5, vcc_lo, v7, v3, vcc_lo
	v_mul_lo_u32 v7, v7, s8
	v_mul_lo_u32 v13, v6, s9
	v_mad_u64_u32 v[2:3], null, v6, s8, 0
	s_mul_i32 s0, s4, s17
	s_mul_hi_u32 s1, s4, s15
	v_sub_co_u32 v6, vcc_lo, s2, v4
	s_add_i32 s0, s1, s0
	s_mul_i32 s1, s5, s15
	v_sub_co_ci_u32_e32 v17, vcc_lo, s3, v5, vcc_lo
	s_add_i32 s1, s0, s1
	s_mul_i32 s0, s4, s15
	v_add3_u32 v3, v3, v13, v7
	s_lshl_b64 s[0:1], s[0:1], 3
	v_mul_lo_u32 v7, v1, s10
	v_mul_lo_u32 v13, v0, s11
	v_mad_u64_u32 v[4:5], null, v0, s10, 0
	s_add_u32 s4, s46, s0
	s_mul_i32 s0, s6, s16
	s_mul_hi_u32 s5, s6, s14
	s_addc_u32 s18, s47, s1
	s_add_i32 s0, s5, s0
	s_mul_i32 s1, s7, s14
	v_lshlrev_b64 v[0:1], 3, v[2:3]
	s_add_i32 s1, s0, s1
	s_mul_i32 s0, s6, s14
	v_add_co_u32 v6, vcc_lo, v6, v16
	s_lshl_b64 s[0:1], s[0:1], 3
	v_add3_u32 v5, v5, v13, v7
	s_add_u32 s0, s4, s0
	v_add_co_ci_u32_e32 v12, vcc_lo, v17, v12, vcc_lo
	s_addc_u32 s1, s18, s1
	v_add_co_u32 v7, vcc_lo, s0, v0
	v_add_co_ci_u32_e32 v13, vcc_lo, s1, v1, vcc_lo
	v_lshlrev_b64 v[0:1], 3, v[4:5]
	v_mul_lo_u32 v4, v9, s12
	v_mul_lo_u32 v5, v8, s13
	v_mad_u64_u32 v[2:3], null, v8, s12, 0
	s_mul_i32 s0, s22, s17
	s_delay_alu instid0(VALU_DEP_4)
	v_add_co_u32 v8, vcc_lo, v7, v0
	v_add_co_ci_u32_e32 v9, vcc_lo, v13, v1, vcc_lo
	v_mul_lo_u32 v7, v12, s26
	v_mul_lo_u32 v12, v6, s27
	v_mad_u64_u32 v[0:1], null, v6, s26, 0
	s_mul_hi_u32 s1, s22, s15
	v_add3_u32 v3, v3, v5, v4
	s_add_i32 s0, s1, s0
	s_mul_i32 s1, s23, s15
	v_mul_lo_u32 v6, v11, s28
	s_add_i32 s1, s0, s1
	s_mul_i32 s0, s22, s15
	v_mul_lo_u32 v11, v10, s29
	v_mad_u64_u32 v[4:5], null, v10, s28, 0
	s_lshl_b64 s[0:1], s[0:1], 3
	v_add3_u32 v1, v1, v12, v7
	s_add_u32 s2, s44, s0
	s_mul_i32 s0, s24, s16
	s_mul_hi_u32 s3, s24, s14
	s_addc_u32 s4, s45, s1
	s_add_i32 s0, s3, s0
	s_mul_i32 s1, s25, s14
	v_lshlrev_b64 v[0:1], 3, v[0:1]
	s_add_i32 s1, s0, s1
	s_mul_i32 s0, s24, s14
	v_add3_u32 v5, v5, v11, v6
	v_mul_lo_u32 v10, v15, s30
	v_mul_lo_u32 v11, v14, s31
	v_mad_u64_u32 v[6:7], null, v14, s30, 0
	s_lshl_b64 s[0:1], s[0:1], 3
	v_lshlrev_b64 v[4:5], 3, v[4:5]
	s_add_u32 s0, s2, s0
	s_addc_u32 s1, s4, s1
	v_add_co_u32 v0, vcc_lo, s0, v0
	v_add_co_ci_u32_e32 v1, vcc_lo, s1, v1, vcc_lo
	s_delay_alu instid0(VALU_DEP_4) | instskip(SKIP_1) | instid1(VALU_DEP_4)
	v_add3_u32 v7, v7, v11, v10
	v_lshlrev_b64 v[2:3], 3, v[2:3]
	v_add_co_u32 v4, vcc_lo, v0, v4
	s_delay_alu instid0(VALU_DEP_4) | instskip(NEXT) | instid1(VALU_DEP_4)
	v_add_co_ci_u32_e32 v5, vcc_lo, v1, v5, vcc_lo
	v_lshlrev_b64 v[0:1], 3, v[6:7]
	s_delay_alu instid0(VALU_DEP_4) | instskip(SKIP_2) | instid1(VALU_DEP_3)
	v_add_co_u32 v2, vcc_lo, v8, v2
	v_add_co_ci_u32_e32 v3, vcc_lo, v9, v3, vcc_lo
	s_mov_b32 s0, 0
	v_add_co_u32 v0, vcc_lo, v4, v0
	s_delay_alu instid0(VALU_DEP_4)
	v_add_co_ci_u32_e32 v1, vcc_lo, v5, v1, vcc_lo
	global_load_b64 v[2:3], v[2:3], off
	global_load_b32 v5, v[0:1], off
.LBB71_14:                              ; =>This Inner Loop Header: Depth=1
	s_waitcnt vmcnt(0)
	v_add_f32_e32 v4, v5, v2
	global_atomic_cmpswap_b32 v4, v[0:1], v[4:5], off glc
	s_waitcnt vmcnt(0)
	v_cmp_eq_u32_e32 vcc_lo, v4, v5
	v_mov_b32_e32 v5, v4
	s_or_b32 s0, vcc_lo, s0
	s_delay_alu instid0(SALU_CYCLE_1)
	s_and_not1_b32 exec_lo, exec_lo, s0
	s_cbranch_execnz .LBB71_14
; %bb.15:
	s_or_b32 exec_lo, exec_lo, s0
	global_load_b32 v5, v[0:1], off offset:4
	s_mov_b32 s0, 0
.LBB71_16:                              ; =>This Inner Loop Header: Depth=1
	s_waitcnt vmcnt(0)
	v_add_f32_e32 v4, v5, v3
	global_atomic_cmpswap_b32 v2, v[0:1], v[4:5], off offset:4 glc
	s_waitcnt vmcnt(0)
	v_cmp_eq_u32_e32 vcc_lo, v2, v5
	v_mov_b32_e32 v5, v2
	s_or_b32 s0, vcc_lo, s0
	s_delay_alu instid0(SALU_CYCLE_1)
	s_and_not1_b32 exec_lo, exec_lo, s0
	s_cbranch_execnz .LBB71_16
.LBB71_17:
	s_endpgm
	.section	.rodata,"a",@progbits
	.p2align	6, 0x0
	.amdhsa_kernel _ZN2at6native12_GLOBAL__N_136reflection_pad3d_backward_out_kernelIN3c107complexIfEEEEvN5torch10headeronly6detail27GenericPackedTensorAccessorINS8_14TensorAccessorINS3_8ArrayRefIlEET_Lm4ENS7_16DefaultPtrTraitsElEENS_6detail16IndexBoundsCheckILm5ElEESD_Lm5ESE_lEENS9_INSA_ISC_KSD_Lm4ESE_lEESI_SK_Lm5ESE_lEElllll
		.amdhsa_group_segment_fixed_size 0
		.amdhsa_private_segment_fixed_size 0
		.amdhsa_kernarg_size 472
		.amdhsa_user_sgpr_count 13
		.amdhsa_user_sgpr_dispatch_ptr 0
		.amdhsa_user_sgpr_queue_ptr 0
		.amdhsa_user_sgpr_kernarg_segment_ptr 1
		.amdhsa_user_sgpr_dispatch_id 0
		.amdhsa_user_sgpr_private_segment_size 0
		.amdhsa_wavefront_size32 1
		.amdhsa_uses_dynamic_stack 0
		.amdhsa_enable_private_segment 0
		.amdhsa_system_sgpr_workgroup_id_x 1
		.amdhsa_system_sgpr_workgroup_id_y 1
		.amdhsa_system_sgpr_workgroup_id_z 1
		.amdhsa_system_sgpr_workgroup_info 0
		.amdhsa_system_vgpr_workitem_id 0
		.amdhsa_next_free_vgpr 18
		.amdhsa_next_free_sgpr 58
		.amdhsa_reserve_vcc 1
		.amdhsa_float_round_mode_32 0
		.amdhsa_float_round_mode_16_64 0
		.amdhsa_float_denorm_mode_32 3
		.amdhsa_float_denorm_mode_16_64 3
		.amdhsa_dx10_clamp 1
		.amdhsa_ieee_mode 1
		.amdhsa_fp16_overflow 0
		.amdhsa_workgroup_processor_mode 1
		.amdhsa_memory_ordered 1
		.amdhsa_forward_progress 0
		.amdhsa_shared_vgpr_count 0
		.amdhsa_exception_fp_ieee_invalid_op 0
		.amdhsa_exception_fp_denorm_src 0
		.amdhsa_exception_fp_ieee_div_zero 0
		.amdhsa_exception_fp_ieee_overflow 0
		.amdhsa_exception_fp_ieee_underflow 0
		.amdhsa_exception_fp_ieee_inexact 0
		.amdhsa_exception_int_div_zero 0
	.end_amdhsa_kernel
	.section	.text._ZN2at6native12_GLOBAL__N_136reflection_pad3d_backward_out_kernelIN3c107complexIfEEEEvN5torch10headeronly6detail27GenericPackedTensorAccessorINS8_14TensorAccessorINS3_8ArrayRefIlEET_Lm4ENS7_16DefaultPtrTraitsElEENS_6detail16IndexBoundsCheckILm5ElEESD_Lm5ESE_lEENS9_INSA_ISC_KSD_Lm4ESE_lEESI_SK_Lm5ESE_lEElllll,"axG",@progbits,_ZN2at6native12_GLOBAL__N_136reflection_pad3d_backward_out_kernelIN3c107complexIfEEEEvN5torch10headeronly6detail27GenericPackedTensorAccessorINS8_14TensorAccessorINS3_8ArrayRefIlEET_Lm4ENS7_16DefaultPtrTraitsElEENS_6detail16IndexBoundsCheckILm5ElEESD_Lm5ESE_lEENS9_INSA_ISC_KSD_Lm4ESE_lEESI_SK_Lm5ESE_lEElllll,comdat
.Lfunc_end71:
	.size	_ZN2at6native12_GLOBAL__N_136reflection_pad3d_backward_out_kernelIN3c107complexIfEEEEvN5torch10headeronly6detail27GenericPackedTensorAccessorINS8_14TensorAccessorINS3_8ArrayRefIlEET_Lm4ENS7_16DefaultPtrTraitsElEENS_6detail16IndexBoundsCheckILm5ElEESD_Lm5ESE_lEENS9_INSA_ISC_KSD_Lm4ESE_lEESI_SK_Lm5ESE_lEElllll, .Lfunc_end71-_ZN2at6native12_GLOBAL__N_136reflection_pad3d_backward_out_kernelIN3c107complexIfEEEEvN5torch10headeronly6detail27GenericPackedTensorAccessorINS8_14TensorAccessorINS3_8ArrayRefIlEET_Lm4ENS7_16DefaultPtrTraitsElEENS_6detail16IndexBoundsCheckILm5ElEESD_Lm5ESE_lEENS9_INSA_ISC_KSD_Lm4ESE_lEESI_SK_Lm5ESE_lEElllll
                                        ; -- End function
	.section	.AMDGPU.csdata,"",@progbits
; Kernel info:
; codeLenInByte = 4528
; NumSgprs: 60
; NumVgprs: 18
; ScratchSize: 0
; MemoryBound: 0
; FloatMode: 240
; IeeeMode: 1
; LDSByteSize: 0 bytes/workgroup (compile time only)
; SGPRBlocks: 7
; VGPRBlocks: 2
; NumSGPRsForWavesPerEU: 60
; NumVGPRsForWavesPerEU: 18
; Occupancy: 16
; WaveLimiterHint : 0
; COMPUTE_PGM_RSRC2:SCRATCH_EN: 0
; COMPUTE_PGM_RSRC2:USER_SGPR: 13
; COMPUTE_PGM_RSRC2:TRAP_HANDLER: 0
; COMPUTE_PGM_RSRC2:TGID_X_EN: 1
; COMPUTE_PGM_RSRC2:TGID_Y_EN: 1
; COMPUTE_PGM_RSRC2:TGID_Z_EN: 1
; COMPUTE_PGM_RSRC2:TIDIG_COMP_CNT: 0
	.section	.text._ZN2at6native12_GLOBAL__N_136reflection_pad3d_backward_out_kernelIN3c104HalfEEEvN5torch10headeronly6detail27GenericPackedTensorAccessorINS7_14TensorAccessorINS3_8ArrayRefIlEET_Lm4ENS6_16DefaultPtrTraitsElEENS_6detail16IndexBoundsCheckILm5ElEESC_Lm5ESD_lEENS8_INS9_ISB_KSC_Lm4ESD_lEESH_SJ_Lm5ESD_lEElllll,"axG",@progbits,_ZN2at6native12_GLOBAL__N_136reflection_pad3d_backward_out_kernelIN3c104HalfEEEvN5torch10headeronly6detail27GenericPackedTensorAccessorINS7_14TensorAccessorINS3_8ArrayRefIlEET_Lm4ENS6_16DefaultPtrTraitsElEENS_6detail16IndexBoundsCheckILm5ElEESC_Lm5ESD_lEENS8_INS9_ISB_KSC_Lm4ESD_lEESH_SJ_Lm5ESD_lEElllll,comdat
	.globl	_ZN2at6native12_GLOBAL__N_136reflection_pad3d_backward_out_kernelIN3c104HalfEEEvN5torch10headeronly6detail27GenericPackedTensorAccessorINS7_14TensorAccessorINS3_8ArrayRefIlEET_Lm4ENS6_16DefaultPtrTraitsElEENS_6detail16IndexBoundsCheckILm5ElEESC_Lm5ESD_lEENS8_INS9_ISB_KSC_Lm4ESD_lEESH_SJ_Lm5ESD_lEElllll ; -- Begin function _ZN2at6native12_GLOBAL__N_136reflection_pad3d_backward_out_kernelIN3c104HalfEEEvN5torch10headeronly6detail27GenericPackedTensorAccessorINS7_14TensorAccessorINS3_8ArrayRefIlEET_Lm4ENS6_16DefaultPtrTraitsElEENS_6detail16IndexBoundsCheckILm5ElEESC_Lm5ESD_lEENS8_INS9_ISB_KSC_Lm4ESD_lEESH_SJ_Lm5ESD_lEElllll
	.p2align	8
	.type	_ZN2at6native12_GLOBAL__N_136reflection_pad3d_backward_out_kernelIN3c104HalfEEEvN5torch10headeronly6detail27GenericPackedTensorAccessorINS7_14TensorAccessorINS3_8ArrayRefIlEET_Lm4ENS6_16DefaultPtrTraitsElEENS_6detail16IndexBoundsCheckILm5ElEESC_Lm5ESD_lEENS8_INS9_ISB_KSC_Lm4ESD_lEESH_SJ_Lm5ESD_lEElllll,@function
_ZN2at6native12_GLOBAL__N_136reflection_pad3d_backward_out_kernelIN3c104HalfEEEvN5torch10headeronly6detail27GenericPackedTensorAccessorINS7_14TensorAccessorINS3_8ArrayRefIlEET_Lm4ENS6_16DefaultPtrTraitsElEENS_6detail16IndexBoundsCheckILm5ElEESC_Lm5ESD_lEENS8_INS9_ISB_KSC_Lm4ESD_lEESH_SJ_Lm5ESD_lEElllll: ; @_ZN2at6native12_GLOBAL__N_136reflection_pad3d_backward_out_kernelIN3c104HalfEEEvN5torch10headeronly6detail27GenericPackedTensorAccessorINS7_14TensorAccessorINS3_8ArrayRefIlEET_Lm4ENS6_16DefaultPtrTraitsElEENS_6detail16IndexBoundsCheckILm5ElEESC_Lm5ESD_lEENS8_INS9_ISB_KSC_Lm4ESD_lEESH_SJ_Lm5ESD_lEElllll
; %bb.0:
	s_clause 0x2
	s_load_b32 s2, s[0:1], 0xe4
	s_load_b128 s[16:19], s[0:1], 0x70
	s_load_b64 s[34:35], s[0:1], 0x80
	v_mov_b32_e32 v4, 0
	s_delay_alu instid0(VALU_DEP_1)
	v_mov_b32_e32 v1, v4
	s_waitcnt lgkmcnt(0)
	s_and_b32 s2, s2, 0xffff
	s_mul_i32 s4, s34, s19
	s_mul_hi_u32 s5, s34, s18
	s_mul_i32 s6, s35, s18
	s_mul_i32 s3, s34, s18
	v_mad_u64_u32 v[2:3], null, s2, s13, v[0:1]
	s_add_i32 s20, s5, s4
	s_mul_i32 s2, s3, s17
	s_mul_hi_u32 s4, s3, s16
	s_add_i32 s20, s20, s6
	s_add_i32 s2, s4, s2
	s_mul_i32 s4, s20, s16
	s_delay_alu instid0(SALU_CYCLE_1)
	s_add_i32 s5, s2, s4
	s_mul_i32 s4, s3, s16
	s_mov_b32 s2, exec_lo
	v_cmpx_gt_i64_e64 s[4:5], v[2:3]
	s_cbranch_execz .LBB72_19
; %bb.1:
	v_or_b32_e32 v5, s35, v3
	s_delay_alu instid0(VALU_DEP_1) | instskip(SKIP_1) | instid1(SALU_CYCLE_1)
	v_cmp_ne_u64_e32 vcc_lo, 0, v[4:5]
                                        ; implicit-def: $vgpr4_vgpr5
	s_and_saveexec_b32 s2, vcc_lo
	s_xor_b32 s8, exec_lo, s2
	s_cbranch_execz .LBB72_3
; %bb.2:
	s_ashr_i32 s4, s35, 31
	s_delay_alu instid0(SALU_CYCLE_1) | instskip(SKIP_2) | instid1(SALU_CYCLE_1)
	s_add_u32 s6, s34, s4
	s_mov_b32 s5, s4
	s_addc_u32 s7, s35, s4
	s_xor_b64 s[6:7], s[6:7], s[4:5]
	s_delay_alu instid0(SALU_CYCLE_1) | instskip(SKIP_3) | instid1(VALU_DEP_1)
	v_cvt_f32_u32_e32 v0, s6
	v_cvt_f32_u32_e32 v1, s7
	s_sub_u32 s2, 0, s6
	s_subb_u32 s5, 0, s7
	v_fmamk_f32 v0, v1, 0x4f800000, v0
	s_delay_alu instid0(VALU_DEP_1) | instskip(SKIP_2) | instid1(VALU_DEP_1)
	v_rcp_f32_e32 v0, v0
	s_waitcnt_depctr 0xfff
	v_mul_f32_e32 v0, 0x5f7ffffc, v0
	v_mul_f32_e32 v1, 0x2f800000, v0
	s_delay_alu instid0(VALU_DEP_1) | instskip(NEXT) | instid1(VALU_DEP_1)
	v_trunc_f32_e32 v1, v1
	v_fmamk_f32 v0, v1, 0xcf800000, v0
	v_cvt_u32_f32_e32 v1, v1
	s_delay_alu instid0(VALU_DEP_2) | instskip(NEXT) | instid1(VALU_DEP_2)
	v_cvt_u32_f32_e32 v0, v0
	v_mul_lo_u32 v4, s2, v1
	s_delay_alu instid0(VALU_DEP_2) | instskip(SKIP_1) | instid1(VALU_DEP_2)
	v_mul_hi_u32 v5, s2, v0
	v_mul_lo_u32 v6, s5, v0
	v_add_nc_u32_e32 v4, v5, v4
	v_mul_lo_u32 v5, s2, v0
	s_delay_alu instid0(VALU_DEP_2) | instskip(NEXT) | instid1(VALU_DEP_2)
	v_add_nc_u32_e32 v4, v4, v6
	v_mul_hi_u32 v6, v0, v5
	s_delay_alu instid0(VALU_DEP_2)
	v_mul_lo_u32 v7, v0, v4
	v_mul_hi_u32 v8, v0, v4
	v_mul_hi_u32 v9, v1, v5
	v_mul_lo_u32 v5, v1, v5
	v_mul_hi_u32 v10, v1, v4
	v_mul_lo_u32 v4, v1, v4
	v_add_co_u32 v6, vcc_lo, v6, v7
	v_add_co_ci_u32_e32 v7, vcc_lo, 0, v8, vcc_lo
	s_delay_alu instid0(VALU_DEP_2) | instskip(NEXT) | instid1(VALU_DEP_2)
	v_add_co_u32 v5, vcc_lo, v6, v5
	v_add_co_ci_u32_e32 v5, vcc_lo, v7, v9, vcc_lo
	v_add_co_ci_u32_e32 v6, vcc_lo, 0, v10, vcc_lo
	v_ashrrev_i32_e32 v9, 31, v3
	s_delay_alu instid0(VALU_DEP_3) | instskip(NEXT) | instid1(VALU_DEP_3)
	v_add_co_u32 v4, vcc_lo, v5, v4
	v_add_co_ci_u32_e32 v5, vcc_lo, 0, v6, vcc_lo
	s_delay_alu instid0(VALU_DEP_2) | instskip(NEXT) | instid1(VALU_DEP_2)
	v_add_co_u32 v0, vcc_lo, v0, v4
	v_add_co_ci_u32_e32 v1, vcc_lo, v1, v5, vcc_lo
	s_delay_alu instid0(VALU_DEP_2) | instskip(SKIP_1) | instid1(VALU_DEP_3)
	v_mul_hi_u32 v4, s2, v0
	v_mul_lo_u32 v6, s5, v0
	v_mul_lo_u32 v5, s2, v1
	s_delay_alu instid0(VALU_DEP_1) | instskip(SKIP_1) | instid1(VALU_DEP_2)
	v_add_nc_u32_e32 v4, v4, v5
	v_mul_lo_u32 v5, s2, v0
	v_add_nc_u32_e32 v4, v4, v6
	s_delay_alu instid0(VALU_DEP_2) | instskip(NEXT) | instid1(VALU_DEP_2)
	v_mul_hi_u32 v6, v0, v5
	v_mul_lo_u32 v7, v0, v4
	v_mul_hi_u32 v8, v0, v4
	v_mul_hi_u32 v10, v1, v5
	v_mul_lo_u32 v5, v1, v5
	v_mul_hi_u32 v11, v1, v4
	v_mul_lo_u32 v4, v1, v4
	v_add_co_u32 v6, vcc_lo, v6, v7
	v_add_co_ci_u32_e32 v7, vcc_lo, 0, v8, vcc_lo
	s_delay_alu instid0(VALU_DEP_2) | instskip(NEXT) | instid1(VALU_DEP_2)
	v_add_co_u32 v5, vcc_lo, v6, v5
	v_add_co_ci_u32_e32 v5, vcc_lo, v7, v10, vcc_lo
	v_add_co_ci_u32_e32 v6, vcc_lo, 0, v11, vcc_lo
	v_add_co_u32 v7, vcc_lo, v2, v9
	v_add_co_ci_u32_e32 v8, vcc_lo, v3, v9, vcc_lo
	s_delay_alu instid0(VALU_DEP_4) | instskip(NEXT) | instid1(VALU_DEP_4)
	v_add_co_u32 v4, vcc_lo, v5, v4
	v_add_co_ci_u32_e32 v5, vcc_lo, 0, v6, vcc_lo
	s_delay_alu instid0(VALU_DEP_4) | instskip(NEXT) | instid1(VALU_DEP_3)
	v_xor_b32_e32 v10, v7, v9
	v_add_co_u32 v6, vcc_lo, v0, v4
	s_delay_alu instid0(VALU_DEP_3) | instskip(SKIP_1) | instid1(VALU_DEP_3)
	v_add_co_ci_u32_e32 v11, vcc_lo, v1, v5, vcc_lo
	v_xor_b32_e32 v8, v8, v9
	v_mul_hi_u32 v12, v10, v6
	s_delay_alu instid0(VALU_DEP_3) | instskip(NEXT) | instid1(VALU_DEP_3)
	v_mad_u64_u32 v[0:1], null, v10, v11, 0
	v_mad_u64_u32 v[4:5], null, v8, v6, 0
	;; [unrolled: 1-line block ×3, first 2 shown]
	s_delay_alu instid0(VALU_DEP_3) | instskip(NEXT) | instid1(VALU_DEP_4)
	v_add_co_u32 v0, vcc_lo, v12, v0
	v_add_co_ci_u32_e32 v1, vcc_lo, 0, v1, vcc_lo
	s_delay_alu instid0(VALU_DEP_2) | instskip(NEXT) | instid1(VALU_DEP_2)
	v_add_co_u32 v0, vcc_lo, v0, v4
	v_add_co_ci_u32_e32 v0, vcc_lo, v1, v5, vcc_lo
	v_add_co_ci_u32_e32 v1, vcc_lo, 0, v7, vcc_lo
	s_delay_alu instid0(VALU_DEP_2) | instskip(NEXT) | instid1(VALU_DEP_2)
	v_add_co_u32 v4, vcc_lo, v0, v6
	v_add_co_ci_u32_e32 v5, vcc_lo, 0, v1, vcc_lo
	s_delay_alu instid0(VALU_DEP_2) | instskip(SKIP_1) | instid1(VALU_DEP_3)
	v_mul_lo_u32 v6, s7, v4
	v_mad_u64_u32 v[0:1], null, s6, v4, 0
	v_mul_lo_u32 v7, s6, v5
	s_delay_alu instid0(VALU_DEP_2) | instskip(NEXT) | instid1(VALU_DEP_2)
	v_sub_co_u32 v0, vcc_lo, v10, v0
	v_add3_u32 v1, v1, v7, v6
	s_delay_alu instid0(VALU_DEP_1) | instskip(NEXT) | instid1(VALU_DEP_1)
	v_sub_nc_u32_e32 v6, v8, v1
	v_subrev_co_ci_u32_e64 v6, s2, s7, v6, vcc_lo
	v_add_co_u32 v7, s2, v4, 2
	s_delay_alu instid0(VALU_DEP_1) | instskip(SKIP_3) | instid1(VALU_DEP_3)
	v_add_co_ci_u32_e64 v10, s2, 0, v5, s2
	v_sub_co_u32 v11, s2, v0, s6
	v_sub_co_ci_u32_e32 v1, vcc_lo, v8, v1, vcc_lo
	v_subrev_co_ci_u32_e64 v6, s2, 0, v6, s2
	v_cmp_le_u32_e32 vcc_lo, s6, v11
	s_delay_alu instid0(VALU_DEP_3) | instskip(SKIP_1) | instid1(VALU_DEP_4)
	v_cmp_eq_u32_e64 s2, s7, v1
	v_cndmask_b32_e64 v8, 0, -1, vcc_lo
	v_cmp_le_u32_e32 vcc_lo, s7, v6
	v_cndmask_b32_e64 v11, 0, -1, vcc_lo
	v_cmp_le_u32_e32 vcc_lo, s6, v0
	;; [unrolled: 2-line block ×3, first 2 shown]
	v_cndmask_b32_e64 v12, 0, -1, vcc_lo
	v_cmp_eq_u32_e32 vcc_lo, s7, v6
	s_delay_alu instid0(VALU_DEP_2) | instskip(SKIP_3) | instid1(VALU_DEP_3)
	v_cndmask_b32_e64 v0, v12, v0, s2
	v_cndmask_b32_e32 v6, v11, v8, vcc_lo
	v_add_co_u32 v8, vcc_lo, v4, 1
	v_add_co_ci_u32_e32 v11, vcc_lo, 0, v5, vcc_lo
	v_cmp_ne_u32_e32 vcc_lo, 0, v6
	s_delay_alu instid0(VALU_DEP_2) | instskip(SKIP_2) | instid1(VALU_DEP_3)
	v_dual_cndmask_b32 v1, v11, v10 :: v_dual_cndmask_b32 v6, v8, v7
	v_cmp_ne_u32_e32 vcc_lo, 0, v0
	v_xor_b32_e32 v0, s4, v9
	v_dual_cndmask_b32 v4, v4, v6 :: v_dual_cndmask_b32 v1, v5, v1
	s_delay_alu instid0(VALU_DEP_1) | instskip(NEXT) | instid1(VALU_DEP_2)
	v_xor_b32_e32 v4, v4, v0
	v_xor_b32_e32 v1, v1, v0
	s_delay_alu instid0(VALU_DEP_2) | instskip(NEXT) | instid1(VALU_DEP_2)
	v_sub_co_u32 v4, vcc_lo, v4, v0
	v_sub_co_ci_u32_e32 v5, vcc_lo, v1, v0, vcc_lo
.LBB72_3:
	s_and_not1_saveexec_b32 s2, s8
	s_cbranch_execz .LBB72_5
; %bb.4:
	v_cvt_f32_u32_e32 v0, s34
	s_sub_i32 s4, 0, s34
	s_delay_alu instid0(VALU_DEP_1) | instskip(SKIP_2) | instid1(VALU_DEP_1)
	v_rcp_iflag_f32_e32 v0, v0
	s_waitcnt_depctr 0xfff
	v_mul_f32_e32 v0, 0x4f7ffffe, v0
	v_cvt_u32_f32_e32 v0, v0
	s_delay_alu instid0(VALU_DEP_1) | instskip(NEXT) | instid1(VALU_DEP_1)
	v_mul_lo_u32 v1, s4, v0
	v_mul_hi_u32 v1, v0, v1
	s_delay_alu instid0(VALU_DEP_1) | instskip(NEXT) | instid1(VALU_DEP_1)
	v_add_nc_u32_e32 v0, v0, v1
	v_mul_hi_u32 v0, v2, v0
	s_delay_alu instid0(VALU_DEP_1) | instskip(SKIP_1) | instid1(VALU_DEP_2)
	v_mul_lo_u32 v1, v0, s34
	v_add_nc_u32_e32 v4, 1, v0
	v_sub_nc_u32_e32 v1, v2, v1
	s_delay_alu instid0(VALU_DEP_1) | instskip(SKIP_1) | instid1(VALU_DEP_2)
	v_subrev_nc_u32_e32 v5, s34, v1
	v_cmp_le_u32_e32 vcc_lo, s34, v1
	v_cndmask_b32_e32 v1, v1, v5, vcc_lo
	v_dual_mov_b32 v5, 0 :: v_dual_cndmask_b32 v0, v0, v4
	s_delay_alu instid0(VALU_DEP_2) | instskip(NEXT) | instid1(VALU_DEP_2)
	v_cmp_le_u32_e32 vcc_lo, s34, v1
	v_add_nc_u32_e32 v4, 1, v0
	s_delay_alu instid0(VALU_DEP_1)
	v_cndmask_b32_e32 v4, v0, v4, vcc_lo
.LBB72_5:
	s_or_b32 exec_lo, exec_lo, s2
	s_delay_alu instid0(VALU_DEP_1) | instskip(SKIP_1) | instid1(VALU_DEP_1)
	v_or_b32_e32 v1, s19, v5
	v_mov_b32_e32 v0, 0
	v_cmp_ne_u64_e32 vcc_lo, 0, v[0:1]
                                        ; implicit-def: $vgpr0_vgpr1
	s_and_saveexec_b32 s2, vcc_lo
	s_delay_alu instid0(SALU_CYCLE_1)
	s_xor_b32 s6, exec_lo, s2
	s_cbranch_execz .LBB72_7
; %bb.6:
	s_ashr_i32 s4, s19, 31
	s_delay_alu instid0(SALU_CYCLE_1) | instskip(SKIP_2) | instid1(SALU_CYCLE_1)
	s_add_u32 s8, s18, s4
	s_mov_b32 s5, s4
	s_addc_u32 s9, s19, s4
	s_xor_b64 s[4:5], s[8:9], s[4:5]
	s_delay_alu instid0(SALU_CYCLE_1) | instskip(SKIP_3) | instid1(VALU_DEP_1)
	v_cvt_f32_u32_e32 v0, s4
	v_cvt_f32_u32_e32 v1, s5
	s_sub_u32 s2, 0, s4
	s_subb_u32 s7, 0, s5
	v_fmamk_f32 v0, v1, 0x4f800000, v0
	s_delay_alu instid0(VALU_DEP_1) | instskip(SKIP_2) | instid1(VALU_DEP_1)
	v_rcp_f32_e32 v0, v0
	s_waitcnt_depctr 0xfff
	v_mul_f32_e32 v0, 0x5f7ffffc, v0
	v_mul_f32_e32 v1, 0x2f800000, v0
	s_delay_alu instid0(VALU_DEP_1) | instskip(NEXT) | instid1(VALU_DEP_1)
	v_trunc_f32_e32 v1, v1
	v_fmamk_f32 v0, v1, 0xcf800000, v0
	v_cvt_u32_f32_e32 v1, v1
	s_delay_alu instid0(VALU_DEP_2) | instskip(NEXT) | instid1(VALU_DEP_2)
	v_cvt_u32_f32_e32 v0, v0
	v_mul_lo_u32 v6, s2, v1
	s_delay_alu instid0(VALU_DEP_2) | instskip(SKIP_1) | instid1(VALU_DEP_2)
	v_mul_hi_u32 v7, s2, v0
	v_mul_lo_u32 v8, s7, v0
	v_add_nc_u32_e32 v6, v7, v6
	v_mul_lo_u32 v7, s2, v0
	s_delay_alu instid0(VALU_DEP_2) | instskip(NEXT) | instid1(VALU_DEP_2)
	v_add_nc_u32_e32 v6, v6, v8
	v_mul_hi_u32 v8, v0, v7
	s_delay_alu instid0(VALU_DEP_2)
	v_mul_lo_u32 v9, v0, v6
	v_mul_hi_u32 v10, v0, v6
	v_mul_hi_u32 v11, v1, v7
	v_mul_lo_u32 v7, v1, v7
	v_mul_hi_u32 v12, v1, v6
	v_mul_lo_u32 v6, v1, v6
	v_add_co_u32 v8, vcc_lo, v8, v9
	v_add_co_ci_u32_e32 v9, vcc_lo, 0, v10, vcc_lo
	s_delay_alu instid0(VALU_DEP_2) | instskip(NEXT) | instid1(VALU_DEP_2)
	v_add_co_u32 v7, vcc_lo, v8, v7
	v_add_co_ci_u32_e32 v7, vcc_lo, v9, v11, vcc_lo
	v_add_co_ci_u32_e32 v8, vcc_lo, 0, v12, vcc_lo
	v_ashrrev_i32_e32 v11, 31, v5
	s_delay_alu instid0(VALU_DEP_3) | instskip(NEXT) | instid1(VALU_DEP_3)
	v_add_co_u32 v6, vcc_lo, v7, v6
	v_add_co_ci_u32_e32 v7, vcc_lo, 0, v8, vcc_lo
	s_delay_alu instid0(VALU_DEP_2) | instskip(NEXT) | instid1(VALU_DEP_2)
	v_add_co_u32 v0, vcc_lo, v0, v6
	v_add_co_ci_u32_e32 v1, vcc_lo, v1, v7, vcc_lo
	s_delay_alu instid0(VALU_DEP_2) | instskip(SKIP_1) | instid1(VALU_DEP_3)
	v_mul_hi_u32 v6, s2, v0
	v_mul_lo_u32 v8, s7, v0
	v_mul_lo_u32 v7, s2, v1
	s_delay_alu instid0(VALU_DEP_1) | instskip(SKIP_1) | instid1(VALU_DEP_2)
	v_add_nc_u32_e32 v6, v6, v7
	v_mul_lo_u32 v7, s2, v0
	v_add_nc_u32_e32 v6, v6, v8
	s_delay_alu instid0(VALU_DEP_2) | instskip(NEXT) | instid1(VALU_DEP_2)
	v_mul_hi_u32 v8, v0, v7
	v_mul_lo_u32 v9, v0, v6
	v_mul_hi_u32 v10, v0, v6
	v_mul_hi_u32 v12, v1, v7
	v_mul_lo_u32 v7, v1, v7
	v_mul_hi_u32 v13, v1, v6
	v_mul_lo_u32 v6, v1, v6
	v_add_co_u32 v8, vcc_lo, v8, v9
	v_add_co_ci_u32_e32 v9, vcc_lo, 0, v10, vcc_lo
	s_delay_alu instid0(VALU_DEP_2) | instskip(NEXT) | instid1(VALU_DEP_2)
	v_add_co_u32 v7, vcc_lo, v8, v7
	v_add_co_ci_u32_e32 v7, vcc_lo, v9, v12, vcc_lo
	v_add_co_ci_u32_e32 v8, vcc_lo, 0, v13, vcc_lo
	v_add_co_u32 v9, vcc_lo, v4, v11
	v_add_co_ci_u32_e32 v10, vcc_lo, v5, v11, vcc_lo
	s_delay_alu instid0(VALU_DEP_4) | instskip(NEXT) | instid1(VALU_DEP_4)
	v_add_co_u32 v6, vcc_lo, v7, v6
	v_add_co_ci_u32_e32 v7, vcc_lo, 0, v8, vcc_lo
	s_delay_alu instid0(VALU_DEP_4) | instskip(NEXT) | instid1(VALU_DEP_3)
	v_xor_b32_e32 v12, v9, v11
	v_add_co_u32 v8, vcc_lo, v0, v6
	s_delay_alu instid0(VALU_DEP_3) | instskip(SKIP_1) | instid1(VALU_DEP_3)
	v_add_co_ci_u32_e32 v13, vcc_lo, v1, v7, vcc_lo
	v_xor_b32_e32 v10, v10, v11
	v_mul_hi_u32 v14, v12, v8
	s_delay_alu instid0(VALU_DEP_3) | instskip(NEXT) | instid1(VALU_DEP_3)
	v_mad_u64_u32 v[0:1], null, v12, v13, 0
	v_mad_u64_u32 v[6:7], null, v10, v8, 0
	;; [unrolled: 1-line block ×3, first 2 shown]
	s_delay_alu instid0(VALU_DEP_3) | instskip(NEXT) | instid1(VALU_DEP_4)
	v_add_co_u32 v0, vcc_lo, v14, v0
	v_add_co_ci_u32_e32 v1, vcc_lo, 0, v1, vcc_lo
	s_delay_alu instid0(VALU_DEP_2) | instskip(NEXT) | instid1(VALU_DEP_2)
	v_add_co_u32 v0, vcc_lo, v0, v6
	v_add_co_ci_u32_e32 v0, vcc_lo, v1, v7, vcc_lo
	v_add_co_ci_u32_e32 v1, vcc_lo, 0, v9, vcc_lo
	s_delay_alu instid0(VALU_DEP_2) | instskip(NEXT) | instid1(VALU_DEP_2)
	v_add_co_u32 v6, vcc_lo, v0, v8
	v_add_co_ci_u32_e32 v7, vcc_lo, 0, v1, vcc_lo
	s_delay_alu instid0(VALU_DEP_2) | instskip(SKIP_1) | instid1(VALU_DEP_3)
	v_mul_lo_u32 v8, s5, v6
	v_mad_u64_u32 v[0:1], null, s4, v6, 0
	v_mul_lo_u32 v6, s4, v7
	s_delay_alu instid0(VALU_DEP_2) | instskip(NEXT) | instid1(VALU_DEP_2)
	v_sub_co_u32 v0, vcc_lo, v12, v0
	v_add3_u32 v1, v1, v6, v8
	s_delay_alu instid0(VALU_DEP_1) | instskip(NEXT) | instid1(VALU_DEP_1)
	v_sub_nc_u32_e32 v6, v10, v1
	v_subrev_co_ci_u32_e64 v6, s2, s5, v6, vcc_lo
	v_sub_co_ci_u32_e32 v1, vcc_lo, v10, v1, vcc_lo
	v_sub_co_u32 v7, vcc_lo, v0, s4
	s_delay_alu instid0(VALU_DEP_1) | instskip(SKIP_3) | instid1(VALU_DEP_3)
	v_subrev_co_ci_u32_e64 v8, s2, 0, v6, vcc_lo
	v_cmp_le_u32_e64 s2, s4, v0
	v_subrev_co_ci_u32_e32 v6, vcc_lo, s5, v6, vcc_lo
	v_cmp_le_u32_e32 vcc_lo, s5, v1
	v_cndmask_b32_e64 v9, 0, -1, s2
	v_cmp_le_u32_e64 s2, s4, v7
	v_cndmask_b32_e64 v13, 0, -1, vcc_lo
	v_cmp_eq_u32_e32 vcc_lo, s5, v8
	s_delay_alu instid0(VALU_DEP_3) | instskip(SKIP_1) | instid1(VALU_DEP_1)
	v_cndmask_b32_e64 v10, 0, -1, s2
	v_cmp_le_u32_e64 s2, s5, v8
	v_cndmask_b32_e64 v12, 0, -1, s2
	v_cmp_eq_u32_e64 s2, s5, v1
	s_delay_alu instid0(VALU_DEP_2) | instskip(SKIP_2) | instid1(VALU_DEP_3)
	v_cndmask_b32_e32 v10, v12, v10, vcc_lo
	v_sub_co_u32 v12, vcc_lo, v7, s4
	v_subrev_co_ci_u32_e32 v6, vcc_lo, 0, v6, vcc_lo
	v_cmp_ne_u32_e32 vcc_lo, 0, v10
	v_cndmask_b32_e64 v9, v13, v9, s2
	s_delay_alu instid0(VALU_DEP_3) | instskip(NEXT) | instid1(VALU_DEP_2)
	v_dual_cndmask_b32 v6, v8, v6 :: v_dual_cndmask_b32 v7, v7, v12
	v_cmp_ne_u32_e32 vcc_lo, 0, v9
	s_delay_alu instid0(VALU_DEP_2) | instskip(NEXT) | instid1(VALU_DEP_1)
	v_dual_cndmask_b32 v0, v0, v7 :: v_dual_cndmask_b32 v1, v1, v6
	v_xor_b32_e32 v0, v0, v11
	s_delay_alu instid0(VALU_DEP_2) | instskip(NEXT) | instid1(VALU_DEP_2)
	v_xor_b32_e32 v1, v1, v11
	v_sub_co_u32 v0, vcc_lo, v0, v11
	s_delay_alu instid0(VALU_DEP_2)
	v_sub_co_ci_u32_e32 v1, vcc_lo, v1, v11, vcc_lo
.LBB72_7:
	s_or_saveexec_b32 s2, s6
	s_clause 0x1
	s_load_b64 s[12:13], s[0:1], 0xa8
	s_load_b256 s[4:11], s[0:1], 0x88
	s_xor_b32 exec_lo, exec_lo, s2
	s_cbranch_execz .LBB72_9
; %bb.8:
	v_cvt_f32_u32_e32 v0, s18
	s_sub_i32 s16, 0, s18
	s_delay_alu instid0(VALU_DEP_1) | instskip(SKIP_2) | instid1(VALU_DEP_1)
	v_rcp_iflag_f32_e32 v0, v0
	s_waitcnt_depctr 0xfff
	v_mul_f32_e32 v0, 0x4f7ffffe, v0
	v_cvt_u32_f32_e32 v0, v0
	s_delay_alu instid0(VALU_DEP_1) | instskip(NEXT) | instid1(VALU_DEP_1)
	v_mul_lo_u32 v1, s16, v0
	v_mul_hi_u32 v1, v0, v1
	s_delay_alu instid0(VALU_DEP_1) | instskip(NEXT) | instid1(VALU_DEP_1)
	v_add_nc_u32_e32 v0, v0, v1
	v_mul_hi_u32 v0, v4, v0
	s_delay_alu instid0(VALU_DEP_1) | instskip(NEXT) | instid1(VALU_DEP_1)
	v_mul_lo_u32 v0, v0, s18
	v_sub_nc_u32_e32 v0, v4, v0
	s_delay_alu instid0(VALU_DEP_1) | instskip(SKIP_1) | instid1(VALU_DEP_2)
	v_subrev_nc_u32_e32 v1, s18, v0
	v_cmp_le_u32_e32 vcc_lo, s18, v0
	v_cndmask_b32_e32 v0, v0, v1, vcc_lo
	s_delay_alu instid0(VALU_DEP_1) | instskip(SKIP_1) | instid1(VALU_DEP_2)
	v_subrev_nc_u32_e32 v1, s18, v0
	v_cmp_le_u32_e32 vcc_lo, s18, v0
	v_dual_cndmask_b32 v0, v0, v1 :: v_dual_mov_b32 v1, 0
.LBB72_9:
	s_or_b32 exec_lo, exec_lo, s2
	s_clause 0x1
	s_load_b64 s[46:47], s[0:1], 0x58
	s_load_b64 s[44:45], s[0:1], 0x0
	v_or_b32_e32 v7, s20, v3
	v_mov_b32_e32 v6, 0
	s_delay_alu instid0(VALU_DEP_1) | instskip(SKIP_1) | instid1(SALU_CYCLE_1)
	v_cmp_ne_u64_e32 vcc_lo, 0, v[6:7]
                                        ; implicit-def: $vgpr6_vgpr7
	s_and_saveexec_b32 s2, vcc_lo
	s_xor_b32 s21, exec_lo, s2
	s_cbranch_execz .LBB72_11
; %bb.10:
	s_ashr_i32 s16, s20, 31
	s_delay_alu instid0(SALU_CYCLE_1) | instskip(SKIP_2) | instid1(SALU_CYCLE_1)
	s_add_u32 s18, s3, s16
	s_mov_b32 s17, s16
	s_addc_u32 s19, s20, s16
	s_xor_b64 s[18:19], s[18:19], s[16:17]
	s_delay_alu instid0(SALU_CYCLE_1) | instskip(SKIP_3) | instid1(VALU_DEP_1)
	v_cvt_f32_u32_e32 v6, s18
	v_cvt_f32_u32_e32 v7, s19
	s_sub_u32 s2, 0, s18
	s_subb_u32 s17, 0, s19
	v_fmamk_f32 v6, v7, 0x4f800000, v6
	s_delay_alu instid0(VALU_DEP_1) | instskip(SKIP_2) | instid1(VALU_DEP_1)
	v_rcp_f32_e32 v6, v6
	s_waitcnt_depctr 0xfff
	v_mul_f32_e32 v6, 0x5f7ffffc, v6
	v_mul_f32_e32 v7, 0x2f800000, v6
	s_delay_alu instid0(VALU_DEP_1) | instskip(NEXT) | instid1(VALU_DEP_1)
	v_trunc_f32_e32 v7, v7
	v_fmamk_f32 v6, v7, 0xcf800000, v6
	v_cvt_u32_f32_e32 v7, v7
	s_delay_alu instid0(VALU_DEP_2) | instskip(NEXT) | instid1(VALU_DEP_2)
	v_cvt_u32_f32_e32 v6, v6
	v_mul_lo_u32 v8, s2, v7
	s_delay_alu instid0(VALU_DEP_2) | instskip(SKIP_1) | instid1(VALU_DEP_2)
	v_mul_hi_u32 v9, s2, v6
	v_mul_lo_u32 v10, s17, v6
	v_add_nc_u32_e32 v8, v9, v8
	v_mul_lo_u32 v9, s2, v6
	s_delay_alu instid0(VALU_DEP_2) | instskip(NEXT) | instid1(VALU_DEP_2)
	v_add_nc_u32_e32 v8, v8, v10
	v_mul_hi_u32 v10, v6, v9
	s_delay_alu instid0(VALU_DEP_2)
	v_mul_lo_u32 v11, v6, v8
	v_mul_hi_u32 v12, v6, v8
	v_mul_hi_u32 v13, v7, v9
	v_mul_lo_u32 v9, v7, v9
	v_mul_hi_u32 v14, v7, v8
	v_mul_lo_u32 v8, v7, v8
	v_add_co_u32 v10, vcc_lo, v10, v11
	v_add_co_ci_u32_e32 v11, vcc_lo, 0, v12, vcc_lo
	s_delay_alu instid0(VALU_DEP_2) | instskip(NEXT) | instid1(VALU_DEP_2)
	v_add_co_u32 v9, vcc_lo, v10, v9
	v_add_co_ci_u32_e32 v9, vcc_lo, v11, v13, vcc_lo
	v_add_co_ci_u32_e32 v10, vcc_lo, 0, v14, vcc_lo
	v_ashrrev_i32_e32 v13, 31, v3
	s_delay_alu instid0(VALU_DEP_3) | instskip(NEXT) | instid1(VALU_DEP_3)
	v_add_co_u32 v8, vcc_lo, v9, v8
	v_add_co_ci_u32_e32 v9, vcc_lo, 0, v10, vcc_lo
	s_delay_alu instid0(VALU_DEP_2) | instskip(NEXT) | instid1(VALU_DEP_2)
	v_add_co_u32 v6, vcc_lo, v6, v8
	v_add_co_ci_u32_e32 v7, vcc_lo, v7, v9, vcc_lo
	s_delay_alu instid0(VALU_DEP_2) | instskip(SKIP_1) | instid1(VALU_DEP_3)
	v_mul_hi_u32 v8, s2, v6
	v_mul_lo_u32 v10, s17, v6
	v_mul_lo_u32 v9, s2, v7
	s_delay_alu instid0(VALU_DEP_1) | instskip(SKIP_1) | instid1(VALU_DEP_2)
	v_add_nc_u32_e32 v8, v8, v9
	v_mul_lo_u32 v9, s2, v6
	v_add_nc_u32_e32 v8, v8, v10
	s_delay_alu instid0(VALU_DEP_2) | instskip(NEXT) | instid1(VALU_DEP_2)
	v_mul_hi_u32 v10, v6, v9
	v_mul_lo_u32 v11, v6, v8
	v_mul_hi_u32 v12, v6, v8
	v_mul_hi_u32 v14, v7, v9
	v_mul_lo_u32 v9, v7, v9
	v_mul_hi_u32 v15, v7, v8
	v_mul_lo_u32 v8, v7, v8
	v_add_co_u32 v10, vcc_lo, v10, v11
	v_add_co_ci_u32_e32 v11, vcc_lo, 0, v12, vcc_lo
	s_delay_alu instid0(VALU_DEP_2) | instskip(NEXT) | instid1(VALU_DEP_2)
	v_add_co_u32 v9, vcc_lo, v10, v9
	v_add_co_ci_u32_e32 v9, vcc_lo, v11, v14, vcc_lo
	v_add_co_ci_u32_e32 v10, vcc_lo, 0, v15, vcc_lo
	v_add_co_u32 v11, vcc_lo, v2, v13
	v_add_co_ci_u32_e32 v12, vcc_lo, v3, v13, vcc_lo
	s_delay_alu instid0(VALU_DEP_4) | instskip(NEXT) | instid1(VALU_DEP_4)
	v_add_co_u32 v8, vcc_lo, v9, v8
	v_add_co_ci_u32_e32 v9, vcc_lo, 0, v10, vcc_lo
	s_delay_alu instid0(VALU_DEP_4) | instskip(NEXT) | instid1(VALU_DEP_3)
	v_xor_b32_e32 v14, v11, v13
	v_add_co_u32 v10, vcc_lo, v6, v8
	s_delay_alu instid0(VALU_DEP_3) | instskip(SKIP_1) | instid1(VALU_DEP_3)
	v_add_co_ci_u32_e32 v15, vcc_lo, v7, v9, vcc_lo
	v_xor_b32_e32 v12, v12, v13
	v_mul_hi_u32 v16, v14, v10
	s_delay_alu instid0(VALU_DEP_3) | instskip(NEXT) | instid1(VALU_DEP_3)
	v_mad_u64_u32 v[6:7], null, v14, v15, 0
	v_mad_u64_u32 v[8:9], null, v12, v10, 0
	;; [unrolled: 1-line block ×3, first 2 shown]
	s_delay_alu instid0(VALU_DEP_3) | instskip(NEXT) | instid1(VALU_DEP_4)
	v_add_co_u32 v6, vcc_lo, v16, v6
	v_add_co_ci_u32_e32 v7, vcc_lo, 0, v7, vcc_lo
	s_delay_alu instid0(VALU_DEP_2) | instskip(NEXT) | instid1(VALU_DEP_2)
	v_add_co_u32 v6, vcc_lo, v6, v8
	v_add_co_ci_u32_e32 v6, vcc_lo, v7, v9, vcc_lo
	v_add_co_ci_u32_e32 v7, vcc_lo, 0, v11, vcc_lo
	s_delay_alu instid0(VALU_DEP_2) | instskip(NEXT) | instid1(VALU_DEP_2)
	v_add_co_u32 v8, vcc_lo, v6, v10
	v_add_co_ci_u32_e32 v9, vcc_lo, 0, v7, vcc_lo
	s_delay_alu instid0(VALU_DEP_2) | instskip(SKIP_1) | instid1(VALU_DEP_3)
	v_mul_lo_u32 v10, s19, v8
	v_mad_u64_u32 v[6:7], null, s18, v8, 0
	v_mul_lo_u32 v11, s18, v9
	s_delay_alu instid0(VALU_DEP_2) | instskip(NEXT) | instid1(VALU_DEP_2)
	v_sub_co_u32 v6, vcc_lo, v14, v6
	v_add3_u32 v7, v7, v11, v10
	s_delay_alu instid0(VALU_DEP_1) | instskip(NEXT) | instid1(VALU_DEP_1)
	v_sub_nc_u32_e32 v10, v12, v7
	v_subrev_co_ci_u32_e64 v10, s2, s19, v10, vcc_lo
	v_add_co_u32 v11, s2, v8, 2
	s_delay_alu instid0(VALU_DEP_1) | instskip(SKIP_3) | instid1(VALU_DEP_3)
	v_add_co_ci_u32_e64 v14, s2, 0, v9, s2
	v_sub_co_u32 v15, s2, v6, s18
	v_sub_co_ci_u32_e32 v7, vcc_lo, v12, v7, vcc_lo
	v_subrev_co_ci_u32_e64 v10, s2, 0, v10, s2
	v_cmp_le_u32_e32 vcc_lo, s18, v15
	s_delay_alu instid0(VALU_DEP_3) | instskip(SKIP_1) | instid1(VALU_DEP_4)
	v_cmp_eq_u32_e64 s2, s19, v7
	v_cndmask_b32_e64 v12, 0, -1, vcc_lo
	v_cmp_le_u32_e32 vcc_lo, s19, v10
	v_cndmask_b32_e64 v15, 0, -1, vcc_lo
	v_cmp_le_u32_e32 vcc_lo, s18, v6
	;; [unrolled: 2-line block ×3, first 2 shown]
	v_cndmask_b32_e64 v16, 0, -1, vcc_lo
	v_cmp_eq_u32_e32 vcc_lo, s19, v10
	s_delay_alu instid0(VALU_DEP_2) | instskip(SKIP_3) | instid1(VALU_DEP_3)
	v_cndmask_b32_e64 v6, v16, v6, s2
	v_cndmask_b32_e32 v10, v15, v12, vcc_lo
	v_add_co_u32 v12, vcc_lo, v8, 1
	v_add_co_ci_u32_e32 v15, vcc_lo, 0, v9, vcc_lo
	v_cmp_ne_u32_e32 vcc_lo, 0, v10
	s_delay_alu instid0(VALU_DEP_2) | instskip(SKIP_2) | instid1(VALU_DEP_3)
	v_dual_cndmask_b32 v7, v15, v14 :: v_dual_cndmask_b32 v10, v12, v11
	v_cmp_ne_u32_e32 vcc_lo, 0, v6
	v_xor_b32_e32 v11, s16, v13
	v_dual_cndmask_b32 v6, v9, v7 :: v_dual_cndmask_b32 v7, v8, v10
	s_delay_alu instid0(VALU_DEP_1) | instskip(NEXT) | instid1(VALU_DEP_2)
	v_xor_b32_e32 v8, v6, v11
	v_xor_b32_e32 v7, v7, v11
	s_delay_alu instid0(VALU_DEP_1) | instskip(NEXT) | instid1(VALU_DEP_3)
	v_sub_co_u32 v6, vcc_lo, v7, v11
	v_sub_co_ci_u32_e32 v7, vcc_lo, v8, v11, vcc_lo
.LBB72_11:
	s_or_saveexec_b32 s2, s21
	s_load_b512 s[16:31], s[0:1], 0x18
	s_xor_b32 exec_lo, exec_lo, s2
	s_cbranch_execz .LBB72_13
; %bb.12:
	v_cvt_f32_u32_e32 v6, s3
	s_sub_i32 s33, 0, s3
	s_delay_alu instid0(VALU_DEP_1) | instskip(SKIP_2) | instid1(VALU_DEP_1)
	v_rcp_iflag_f32_e32 v6, v6
	s_waitcnt_depctr 0xfff
	v_mul_f32_e32 v6, 0x4f7ffffe, v6
	v_cvt_u32_f32_e32 v6, v6
	s_delay_alu instid0(VALU_DEP_1) | instskip(NEXT) | instid1(VALU_DEP_1)
	v_mul_lo_u32 v7, s33, v6
	v_mul_hi_u32 v7, v6, v7
	s_delay_alu instid0(VALU_DEP_1) | instskip(NEXT) | instid1(VALU_DEP_1)
	v_add_nc_u32_e32 v6, v6, v7
	v_mul_hi_u32 v6, v2, v6
	s_delay_alu instid0(VALU_DEP_1) | instskip(SKIP_1) | instid1(VALU_DEP_2)
	v_mul_lo_u32 v7, v6, s3
	v_add_nc_u32_e32 v8, 1, v6
	v_sub_nc_u32_e32 v7, v2, v7
	s_delay_alu instid0(VALU_DEP_1) | instskip(SKIP_1) | instid1(VALU_DEP_2)
	v_subrev_nc_u32_e32 v9, s3, v7
	v_cmp_le_u32_e32 vcc_lo, s3, v7
	v_dual_cndmask_b32 v7, v7, v9 :: v_dual_cndmask_b32 v6, v6, v8
	s_delay_alu instid0(VALU_DEP_1) | instskip(NEXT) | instid1(VALU_DEP_2)
	v_cmp_le_u32_e32 vcc_lo, s3, v7
	v_dual_mov_b32 v7, 0 :: v_dual_add_nc_u32 v8, 1, v6
	s_delay_alu instid0(VALU_DEP_1)
	v_cndmask_b32_e32 v6, v6, v8, vcc_lo
.LBB72_13:
	s_or_b32 exec_lo, exec_lo, s2
	s_load_b256 s[36:43], s[0:1], 0xb0
	v_mul_lo_u32 v5, v5, s34
	v_mul_lo_u32 v10, v4, s35
	v_mad_u64_u32 v[8:9], null, v4, s34, 0
	s_load_b64 s[0:1], s[0:1], 0xd0
	s_delay_alu instid0(VALU_DEP_1) | instskip(NEXT) | instid1(VALU_DEP_2)
	v_add3_u32 v4, v9, v10, v5
	v_sub_co_u32 v8, vcc_lo, v2, v8
	s_delay_alu instid0(VALU_DEP_2)
	v_sub_co_ci_u32_e32 v9, vcc_lo, v3, v4, vcc_lo
	s_waitcnt lgkmcnt(0)
	s_sub_u32 s2, 0, s36
	s_subb_u32 s3, 0, s37
	s_sub_u32 s34, 0, s38
	v_cmp_gt_i64_e64 s50, s[2:3], 0
	s_subb_u32 s35, 0, s39
	v_cmp_gt_i64_e64 s33, s[36:37], 0
	s_sub_u32 s48, 0, s40
	s_subb_u32 s49, 0, s41
	v_cmp_gt_i64_e64 s54, s[34:35], 0
	v_cmp_gt_i64_e64 s52, s[38:39], 0
	;; [unrolled: 1-line block ×4, first 2 shown]
	s_and_b32 s50, s50, exec_lo
	s_cselect_b32 s56, s3, 0
	s_cselect_b32 s57, s2, 0
	s_and_b32 s2, s33, exec_lo
	s_cselect_b32 s51, s37, 0
	s_cselect_b32 s50, s36, 0
	;; [unrolled: 3-line block ×5, first 2 shown]
	s_and_b32 s2, s53, exec_lo
	v_sub_co_u32 v2, vcc_lo, v8, s36
	s_cselect_b32 s3, s41, 0
	s_cselect_b32 s2, s40, 0
	s_add_u32 s48, s20, s36
	v_subrev_co_ci_u32_e32 v3, vcc_lo, s37, v9, vcc_lo
	s_addc_u32 s49, s21, s37
	v_sub_co_u32 v4, vcc_lo, v8, s48
	v_subrev_co_ci_u32_e32 v5, vcc_lo, s49, v9, vcc_lo
	s_delay_alu instid0(VALU_DEP_3) | instskip(NEXT) | instid1(VALU_DEP_3)
	v_ashrrev_i32_e32 v10, 31, v3
	v_add_co_u32 v4, vcc_lo, v4, 1
	s_delay_alu instid0(VALU_DEP_3) | instskip(NEXT) | instid1(VALU_DEP_3)
	v_add_co_ci_u32_e32 v5, vcc_lo, 0, v5, vcc_lo
	v_xor_b32_e32 v2, v2, v10
	v_xor_b32_e32 v3, v3, v10
	s_lshl_b64 s[36:37], s[36:37], 1
	s_delay_alu instid0(VALU_DEP_3) | instskip(SKIP_3) | instid1(VALU_DEP_3)
	v_ashrrev_i32_e32 v11, 31, v5
	s_not_b64 s[48:49], s[50:51]
	v_sub_co_u32 v2, vcc_lo, v2, v10
	v_sub_co_ci_u32_e32 v3, vcc_lo, v3, v10, vcc_lo
	v_xor_b32_e32 v4, v4, v11
	v_xor_b32_e32 v5, v5, v11
	s_add_u32 s36, s36, s48
	s_addc_u32 s37, s37, s49
	s_add_u32 s36, s36, s57
	v_sub_co_u32 v4, vcc_lo, v4, v11
	v_sub_co_ci_u32_e32 v5, vcc_lo, v5, v11, vcc_lo
	v_sub_co_u32 v10, vcc_lo, v0, s38
	s_addc_u32 s37, s37, s56
	s_add_u32 s20, s36, s20
	v_subrev_co_ci_u32_e32 v11, vcc_lo, s39, v1, vcc_lo
	s_addc_u32 s21, s37, s21
	v_add_co_u32 v4, vcc_lo, v8, v4
	s_add_u32 s36, s18, s38
	v_add_co_ci_u32_e32 v5, vcc_lo, v9, v5, vcc_lo
	s_addc_u32 s37, s19, s39
	v_sub_co_u32 v13, vcc_lo, v0, s36
	v_subrev_co_ci_u32_e32 v14, vcc_lo, s37, v1, vcc_lo
	v_ashrrev_i32_e32 v12, 31, v11
	s_delay_alu instid0(VALU_DEP_3) | instskip(NEXT) | instid1(VALU_DEP_3)
	v_add_co_u32 v13, vcc_lo, v13, 1
	v_add_co_ci_u32_e32 v14, vcc_lo, 0, v14, vcc_lo
	s_delay_alu instid0(VALU_DEP_3) | instskip(SKIP_2) | instid1(VALU_DEP_4)
	v_xor_b32_e32 v10, v10, v12
	v_sub_co_u32 v4, vcc_lo, s20, v4
	v_xor_b32_e32 v11, v11, v12
	v_ashrrev_i32_e32 v15, 31, v14
	v_sub_co_ci_u32_e32 v5, vcc_lo, s21, v5, vcc_lo
	v_sub_co_u32 v10, vcc_lo, v10, v12
	s_delay_alu instid0(VALU_DEP_4) | instskip(NEXT) | instid1(VALU_DEP_4)
	v_sub_co_ci_u32_e32 v11, vcc_lo, v11, v12, vcc_lo
	v_xor_b32_e32 v12, v13, v15
	v_xor_b32_e32 v13, v14, v15
	s_lshl_b64 s[20:21], s[38:39], 1
	s_not_b64 s[34:35], s[34:35]
	s_delay_alu instid0(VALU_DEP_2) | instskip(NEXT) | instid1(VALU_DEP_2)
	v_sub_co_u32 v12, vcc_lo, v12, v15
	v_sub_co_ci_u32_e32 v13, vcc_lo, v13, v15, vcc_lo
	s_add_u32 s20, s20, s34
	s_addc_u32 s21, s21, s35
	s_delay_alu instid0(VALU_DEP_2)
	v_add_co_u32 v12, vcc_lo, v0, v12
	s_add_u32 s20, s20, s54
	s_addc_u32 s21, s21, s33
	v_add_co_ci_u32_e32 v13, vcc_lo, v1, v13, vcc_lo
	s_add_u32 s18, s20, s18
	s_addc_u32 s19, s21, s19
	v_sub_co_u32 v12, vcc_lo, s18, v12
	s_delay_alu instid0(VALU_DEP_2) | instskip(SKIP_2) | instid1(VALU_DEP_4)
	v_sub_co_ci_u32_e32 v13, vcc_lo, s19, v13, vcc_lo
	v_add_co_u32 v14, vcc_lo, v4, v2
	v_add_co_ci_u32_e32 v15, vcc_lo, v5, v3, vcc_lo
	v_add_co_u32 v10, vcc_lo, v12, v10
	s_delay_alu instid0(VALU_DEP_4)
	v_add_co_ci_u32_e32 v11, vcc_lo, v13, v11, vcc_lo
	v_sub_co_u32 v2, vcc_lo, v6, s40
	s_add_u32 s18, s16, s40
	v_subrev_co_ci_u32_e32 v3, vcc_lo, s41, v7, vcc_lo
	s_addc_u32 s19, s17, s41
	v_sub_co_u32 v4, vcc_lo, v6, s18
	v_subrev_co_ci_u32_e32 v5, vcc_lo, s19, v7, vcc_lo
	s_delay_alu instid0(VALU_DEP_3) | instskip(NEXT) | instid1(VALU_DEP_3)
	v_ashrrev_i32_e32 v12, 31, v3
	v_add_co_u32 v4, vcc_lo, v4, 1
	s_delay_alu instid0(VALU_DEP_3) | instskip(NEXT) | instid1(VALU_DEP_3)
	v_add_co_ci_u32_e32 v5, vcc_lo, 0, v5, vcc_lo
	v_xor_b32_e32 v2, v2, v12
	v_xor_b32_e32 v3, v3, v12
	s_lshl_b64 s[18:19], s[40:41], 1
	s_delay_alu instid0(VALU_DEP_3) | instskip(SKIP_3) | instid1(VALU_DEP_2)
	v_ashrrev_i32_e32 v13, 31, v5
	s_not_b64 s[2:3], s[2:3]
	v_sub_co_u32 v16, vcc_lo, v2, v12
	s_add_u32 s2, s18, s2
	v_xor_b32_e32 v2, v4, v13
	v_sub_co_ci_u32_e32 v12, vcc_lo, v3, v12, vcc_lo
	v_xor_b32_e32 v3, v5, v13
	s_addc_u32 s3, s19, s3
	s_add_u32 s2, s2, s55
	s_addc_u32 s3, s3, s52
	v_sub_co_u32 v2, vcc_lo, v2, v13
	s_add_u32 s2, s2, s16
	s_addc_u32 s3, s3, s17
	v_sub_co_ci_u32_e32 v3, vcc_lo, v3, v13, vcc_lo
	s_add_u32 s14, s14, s42
	s_addc_u32 s16, 0, s43
	s_add_u32 s15, s15, s0
	v_add_co_u32 v4, vcc_lo, v6, v2
	s_addc_u32 s17, 0, s1
	v_add_co_ci_u32_e32 v5, vcc_lo, v7, v3, vcc_lo
	v_mul_lo_u32 v7, v7, s8
	v_mul_lo_u32 v13, v6, s9
	v_mad_u64_u32 v[2:3], null, v6, s8, 0
	s_mul_i32 s0, s4, s17
	s_mul_hi_u32 s1, s4, s15
	v_sub_co_u32 v6, vcc_lo, s2, v4
	s_add_i32 s0, s1, s0
	s_mul_i32 s1, s5, s15
	v_sub_co_ci_u32_e32 v17, vcc_lo, s3, v5, vcc_lo
	s_add_i32 s1, s0, s1
	s_mul_i32 s0, s4, s15
	v_add3_u32 v3, v3, v13, v7
	s_lshl_b64 s[0:1], s[0:1], 1
	v_mul_lo_u32 v7, v1, s10
	v_mul_lo_u32 v13, v0, s11
	v_mad_u64_u32 v[4:5], null, v0, s10, 0
	s_add_u32 s4, s46, s0
	s_mul_i32 s0, s6, s16
	s_mul_hi_u32 s5, s6, s14
	s_addc_u32 s18, s47, s1
	s_add_i32 s0, s5, s0
	s_mul_i32 s1, s7, s14
	v_lshlrev_b64 v[0:1], 1, v[2:3]
	s_add_i32 s1, s0, s1
	s_mul_i32 s0, s6, s14
	v_add_co_u32 v6, vcc_lo, v6, v16
	s_lshl_b64 s[0:1], s[0:1], 1
	v_add3_u32 v5, v5, v13, v7
	s_add_u32 s0, s4, s0
	v_add_co_ci_u32_e32 v12, vcc_lo, v17, v12, vcc_lo
	s_addc_u32 s1, s18, s1
	v_add_co_u32 v7, vcc_lo, s0, v0
	v_add_co_ci_u32_e32 v13, vcc_lo, s1, v1, vcc_lo
	v_lshlrev_b64 v[0:1], 1, v[4:5]
	v_mul_lo_u32 v4, v9, s12
	v_mul_lo_u32 v5, v8, s13
	v_mad_u64_u32 v[2:3], null, v8, s12, 0
	s_mul_i32 s0, s22, s17
	s_delay_alu instid0(VALU_DEP_4)
	v_add_co_u32 v8, vcc_lo, v7, v0
	s_mul_hi_u32 s1, s22, s15
	v_add_co_ci_u32_e32 v9, vcc_lo, v13, v1, vcc_lo
	v_mul_lo_u32 v7, v12, s26
	v_mul_lo_u32 v12, v6, s27
	v_mad_u64_u32 v[0:1], null, v6, s26, 0
	s_add_i32 s0, s1, s0
	s_mul_i32 s1, s23, s15
	v_add3_u32 v3, v3, v5, v4
	s_add_i32 s1, s0, s1
	s_mul_i32 s0, s22, s15
	v_mul_lo_u32 v11, v11, s28
	v_mul_lo_u32 v13, v10, s29
	v_mad_u64_u32 v[4:5], null, v10, s28, 0
	s_lshl_b64 s[0:1], s[0:1], 1
	v_add3_u32 v1, v1, v12, v7
	s_add_u32 s2, s44, s0
	s_addc_u32 s3, s45, s1
	s_mul_i32 s0, s24, s16
	s_mul_hi_u32 s1, s24, s14
	v_mul_lo_u32 v10, v15, s30
	v_mul_lo_u32 v12, v14, s31
	v_mad_u64_u32 v[6:7], null, v14, s30, 0
	s_add_i32 s0, s1, s0
	s_mul_i32 s1, s25, s14
	v_add3_u32 v5, v5, v13, v11
	s_add_i32 s1, s0, s1
	s_mul_i32 s0, s24, s14
	v_lshlrev_b64 v[0:1], 1, v[0:1]
	s_lshl_b64 s[0:1], s[0:1], 1
	v_lshlrev_b64 v[4:5], 1, v[4:5]
	s_add_u32 s0, s2, s0
	v_add3_u32 v7, v7, v12, v10
	s_addc_u32 s1, s3, s1
	v_add_co_u32 v10, vcc_lo, s0, v0
	v_add_co_ci_u32_e32 v11, vcc_lo, s1, v1, vcc_lo
	s_delay_alu instid0(VALU_DEP_3) | instskip(NEXT) | instid1(VALU_DEP_3)
	v_lshlrev_b64 v[0:1], 1, v[6:7]
	v_add_co_u32 v4, vcc_lo, v10, v4
	v_lshlrev_b64 v[2:3], 1, v[2:3]
	s_delay_alu instid0(VALU_DEP_4) | instskip(NEXT) | instid1(VALU_DEP_3)
	v_add_co_ci_u32_e32 v5, vcc_lo, v11, v5, vcc_lo
	v_add_co_u32 v6, vcc_lo, v4, v0
	s_mov_b32 s2, 0
	s_delay_alu instid0(VALU_DEP_3) | instskip(NEXT) | instid1(VALU_DEP_1)
	v_add_co_u32 v2, s0, v8, v2
	v_add_co_ci_u32_e64 v3, s0, v9, v3, s0
	v_add_co_ci_u32_e32 v1, vcc_lo, v5, v1, vcc_lo
	v_and_b32_e32 v0, -3, v6
	global_load_u16 v4, v[2:3], off
	global_load_b32 v3, v[0:1], off
	v_dual_mov_b32 v6, 0 :: v_dual_and_b32 v5, 2, v6
	s_delay_alu instid0(VALU_DEP_1) | instskip(NEXT) | instid1(VALU_DEP_2)
	v_cmp_ne_u32_e64 s0, 0, v5
	v_cmp_eq_u64_e32 vcc_lo, 0, v[5:6]
	s_set_inst_prefetch_distance 0x1
	s_branch .LBB72_15
	.p2align	6
.LBB72_14:                              ;   in Loop: Header=BB72_15 Depth=1
	s_or_b32 exec_lo, exec_lo, s1
	global_atomic_cmpswap_b32 v2, v[0:1], v[2:3], off glc
	s_waitcnt vmcnt(0)
	v_cmp_eq_u32_e64 s1, v3, v2
	v_mov_b32_e32 v3, v2
	s_delay_alu instid0(VALU_DEP_2) | instskip(NEXT) | instid1(SALU_CYCLE_1)
	s_or_b32 s2, s1, s2
	s_and_not1_b32 exec_lo, exec_lo, s2
	s_cbranch_execz .LBB72_19
.LBB72_15:                              ; =>This Inner Loop Header: Depth=1
	s_waitcnt vmcnt(0)
	v_lshrrev_b32_e32 v2, 16, v3
	s_delay_alu instid0(VALU_DEP_1) | instskip(NEXT) | instid1(VALU_DEP_1)
	v_cndmask_b32_e32 v2, v2, v3, vcc_lo
	v_add_f16_e32 v2, v4, v2
	s_delay_alu instid0(VALU_DEP_1) | instskip(SKIP_1) | instid1(SALU_CYCLE_1)
	v_and_b32_e32 v5, 0xffff, v2
	s_and_saveexec_b32 s1, s0
	s_xor_b32 s1, exec_lo, s1
; %bb.16:                               ;   in Loop: Header=BB72_15 Depth=1
	v_and_b32_e32 v2, 0xffff, v3
	s_delay_alu instid0(VALU_DEP_1)
	v_lshl_or_b32 v2, v5, 16, v2
                                        ; implicit-def: $vgpr5
; %bb.17:                               ;   in Loop: Header=BB72_15 Depth=1
	s_and_not1_saveexec_b32 s1, s1
	s_cbranch_execz .LBB72_14
; %bb.18:                               ;   in Loop: Header=BB72_15 Depth=1
	v_and_or_b32 v2, 0xffff0000, v3, v5
	s_branch .LBB72_14
.LBB72_19:
	s_set_inst_prefetch_distance 0x2
	s_endpgm
	.section	.rodata,"a",@progbits
	.p2align	6, 0x0
	.amdhsa_kernel _ZN2at6native12_GLOBAL__N_136reflection_pad3d_backward_out_kernelIN3c104HalfEEEvN5torch10headeronly6detail27GenericPackedTensorAccessorINS7_14TensorAccessorINS3_8ArrayRefIlEET_Lm4ENS6_16DefaultPtrTraitsElEENS_6detail16IndexBoundsCheckILm5ElEESC_Lm5ESD_lEENS8_INS9_ISB_KSC_Lm4ESD_lEESH_SJ_Lm5ESD_lEElllll
		.amdhsa_group_segment_fixed_size 0
		.amdhsa_private_segment_fixed_size 0
		.amdhsa_kernarg_size 472
		.amdhsa_user_sgpr_count 13
		.amdhsa_user_sgpr_dispatch_ptr 0
		.amdhsa_user_sgpr_queue_ptr 0
		.amdhsa_user_sgpr_kernarg_segment_ptr 1
		.amdhsa_user_sgpr_dispatch_id 0
		.amdhsa_user_sgpr_private_segment_size 0
		.amdhsa_wavefront_size32 1
		.amdhsa_uses_dynamic_stack 0
		.amdhsa_enable_private_segment 0
		.amdhsa_system_sgpr_workgroup_id_x 1
		.amdhsa_system_sgpr_workgroup_id_y 1
		.amdhsa_system_sgpr_workgroup_id_z 1
		.amdhsa_system_sgpr_workgroup_info 0
		.amdhsa_system_vgpr_workitem_id 0
		.amdhsa_next_free_vgpr 18
		.amdhsa_next_free_sgpr 58
		.amdhsa_reserve_vcc 1
		.amdhsa_float_round_mode_32 0
		.amdhsa_float_round_mode_16_64 0
		.amdhsa_float_denorm_mode_32 3
		.amdhsa_float_denorm_mode_16_64 3
		.amdhsa_dx10_clamp 1
		.amdhsa_ieee_mode 1
		.amdhsa_fp16_overflow 0
		.amdhsa_workgroup_processor_mode 1
		.amdhsa_memory_ordered 1
		.amdhsa_forward_progress 0
		.amdhsa_shared_vgpr_count 0
		.amdhsa_exception_fp_ieee_invalid_op 0
		.amdhsa_exception_fp_denorm_src 0
		.amdhsa_exception_fp_ieee_div_zero 0
		.amdhsa_exception_fp_ieee_overflow 0
		.amdhsa_exception_fp_ieee_underflow 0
		.amdhsa_exception_fp_ieee_inexact 0
		.amdhsa_exception_int_div_zero 0
	.end_amdhsa_kernel
	.section	.text._ZN2at6native12_GLOBAL__N_136reflection_pad3d_backward_out_kernelIN3c104HalfEEEvN5torch10headeronly6detail27GenericPackedTensorAccessorINS7_14TensorAccessorINS3_8ArrayRefIlEET_Lm4ENS6_16DefaultPtrTraitsElEENS_6detail16IndexBoundsCheckILm5ElEESC_Lm5ESD_lEENS8_INS9_ISB_KSC_Lm4ESD_lEESH_SJ_Lm5ESD_lEElllll,"axG",@progbits,_ZN2at6native12_GLOBAL__N_136reflection_pad3d_backward_out_kernelIN3c104HalfEEEvN5torch10headeronly6detail27GenericPackedTensorAccessorINS7_14TensorAccessorINS3_8ArrayRefIlEET_Lm4ENS6_16DefaultPtrTraitsElEENS_6detail16IndexBoundsCheckILm5ElEESC_Lm5ESD_lEENS8_INS9_ISB_KSC_Lm4ESD_lEESH_SJ_Lm5ESD_lEElllll,comdat
.Lfunc_end72:
	.size	_ZN2at6native12_GLOBAL__N_136reflection_pad3d_backward_out_kernelIN3c104HalfEEEvN5torch10headeronly6detail27GenericPackedTensorAccessorINS7_14TensorAccessorINS3_8ArrayRefIlEET_Lm4ENS6_16DefaultPtrTraitsElEENS_6detail16IndexBoundsCheckILm5ElEESC_Lm5ESD_lEENS8_INS9_ISB_KSC_Lm4ESD_lEESH_SJ_Lm5ESD_lEElllll, .Lfunc_end72-_ZN2at6native12_GLOBAL__N_136reflection_pad3d_backward_out_kernelIN3c104HalfEEEvN5torch10headeronly6detail27GenericPackedTensorAccessorINS7_14TensorAccessorINS3_8ArrayRefIlEET_Lm4ENS6_16DefaultPtrTraitsElEENS_6detail16IndexBoundsCheckILm5ElEESC_Lm5ESD_lEENS8_INS9_ISB_KSC_Lm4ESD_lEESH_SJ_Lm5ESD_lEElllll
                                        ; -- End function
	.section	.AMDGPU.csdata,"",@progbits
; Kernel info:
; codeLenInByte = 4592
; NumSgprs: 60
; NumVgprs: 18
; ScratchSize: 0
; MemoryBound: 0
; FloatMode: 240
; IeeeMode: 1
; LDSByteSize: 0 bytes/workgroup (compile time only)
; SGPRBlocks: 7
; VGPRBlocks: 2
; NumSGPRsForWavesPerEU: 60
; NumVGPRsForWavesPerEU: 18
; Occupancy: 16
; WaveLimiterHint : 0
; COMPUTE_PGM_RSRC2:SCRATCH_EN: 0
; COMPUTE_PGM_RSRC2:USER_SGPR: 13
; COMPUTE_PGM_RSRC2:TRAP_HANDLER: 0
; COMPUTE_PGM_RSRC2:TGID_X_EN: 1
; COMPUTE_PGM_RSRC2:TGID_Y_EN: 1
; COMPUTE_PGM_RSRC2:TGID_Z_EN: 1
; COMPUTE_PGM_RSRC2:TIDIG_COMP_CNT: 0
	.section	.text._ZN2at6native12_GLOBAL__N_136reflection_pad3d_backward_out_kernelIN3c108BFloat16EEEvN5torch10headeronly6detail27GenericPackedTensorAccessorINS7_14TensorAccessorINS3_8ArrayRefIlEET_Lm4ENS6_16DefaultPtrTraitsElEENS_6detail16IndexBoundsCheckILm5ElEESC_Lm5ESD_lEENS8_INS9_ISB_KSC_Lm4ESD_lEESH_SJ_Lm5ESD_lEElllll,"axG",@progbits,_ZN2at6native12_GLOBAL__N_136reflection_pad3d_backward_out_kernelIN3c108BFloat16EEEvN5torch10headeronly6detail27GenericPackedTensorAccessorINS7_14TensorAccessorINS3_8ArrayRefIlEET_Lm4ENS6_16DefaultPtrTraitsElEENS_6detail16IndexBoundsCheckILm5ElEESC_Lm5ESD_lEENS8_INS9_ISB_KSC_Lm4ESD_lEESH_SJ_Lm5ESD_lEElllll,comdat
	.globl	_ZN2at6native12_GLOBAL__N_136reflection_pad3d_backward_out_kernelIN3c108BFloat16EEEvN5torch10headeronly6detail27GenericPackedTensorAccessorINS7_14TensorAccessorINS3_8ArrayRefIlEET_Lm4ENS6_16DefaultPtrTraitsElEENS_6detail16IndexBoundsCheckILm5ElEESC_Lm5ESD_lEENS8_INS9_ISB_KSC_Lm4ESD_lEESH_SJ_Lm5ESD_lEElllll ; -- Begin function _ZN2at6native12_GLOBAL__N_136reflection_pad3d_backward_out_kernelIN3c108BFloat16EEEvN5torch10headeronly6detail27GenericPackedTensorAccessorINS7_14TensorAccessorINS3_8ArrayRefIlEET_Lm4ENS6_16DefaultPtrTraitsElEENS_6detail16IndexBoundsCheckILm5ElEESC_Lm5ESD_lEENS8_INS9_ISB_KSC_Lm4ESD_lEESH_SJ_Lm5ESD_lEElllll
	.p2align	8
	.type	_ZN2at6native12_GLOBAL__N_136reflection_pad3d_backward_out_kernelIN3c108BFloat16EEEvN5torch10headeronly6detail27GenericPackedTensorAccessorINS7_14TensorAccessorINS3_8ArrayRefIlEET_Lm4ENS6_16DefaultPtrTraitsElEENS_6detail16IndexBoundsCheckILm5ElEESC_Lm5ESD_lEENS8_INS9_ISB_KSC_Lm4ESD_lEESH_SJ_Lm5ESD_lEElllll,@function
_ZN2at6native12_GLOBAL__N_136reflection_pad3d_backward_out_kernelIN3c108BFloat16EEEvN5torch10headeronly6detail27GenericPackedTensorAccessorINS7_14TensorAccessorINS3_8ArrayRefIlEET_Lm4ENS6_16DefaultPtrTraitsElEENS_6detail16IndexBoundsCheckILm5ElEESC_Lm5ESD_lEENS8_INS9_ISB_KSC_Lm4ESD_lEESH_SJ_Lm5ESD_lEElllll: ; @_ZN2at6native12_GLOBAL__N_136reflection_pad3d_backward_out_kernelIN3c108BFloat16EEEvN5torch10headeronly6detail27GenericPackedTensorAccessorINS7_14TensorAccessorINS3_8ArrayRefIlEET_Lm4ENS6_16DefaultPtrTraitsElEENS_6detail16IndexBoundsCheckILm5ElEESC_Lm5ESD_lEENS8_INS9_ISB_KSC_Lm4ESD_lEESH_SJ_Lm5ESD_lEElllll
; %bb.0:
	s_clause 0x2
	s_load_b32 s2, s[0:1], 0xe4
	s_load_b128 s[16:19], s[0:1], 0x70
	s_load_b64 s[34:35], s[0:1], 0x80
	v_mov_b32_e32 v4, 0
	s_delay_alu instid0(VALU_DEP_1)
	v_mov_b32_e32 v1, v4
	s_waitcnt lgkmcnt(0)
	s_and_b32 s2, s2, 0xffff
	s_mul_i32 s4, s34, s19
	s_mul_hi_u32 s5, s34, s18
	s_mul_i32 s6, s35, s18
	s_mul_i32 s3, s34, s18
	v_mad_u64_u32 v[2:3], null, s2, s13, v[0:1]
	s_add_i32 s20, s5, s4
	s_mul_i32 s2, s3, s17
	s_mul_hi_u32 s4, s3, s16
	s_add_i32 s20, s20, s6
	s_add_i32 s2, s4, s2
	s_mul_i32 s4, s20, s16
	s_delay_alu instid0(SALU_CYCLE_1)
	s_add_i32 s5, s2, s4
	s_mul_i32 s4, s3, s16
	s_mov_b32 s2, exec_lo
	v_cmpx_gt_i64_e64 s[4:5], v[2:3]
	s_cbranch_execz .LBB73_19
; %bb.1:
	v_or_b32_e32 v5, s35, v3
	s_delay_alu instid0(VALU_DEP_1) | instskip(SKIP_1) | instid1(SALU_CYCLE_1)
	v_cmp_ne_u64_e32 vcc_lo, 0, v[4:5]
                                        ; implicit-def: $vgpr4_vgpr5
	s_and_saveexec_b32 s2, vcc_lo
	s_xor_b32 s8, exec_lo, s2
	s_cbranch_execz .LBB73_3
; %bb.2:
	s_ashr_i32 s4, s35, 31
	s_delay_alu instid0(SALU_CYCLE_1) | instskip(SKIP_2) | instid1(SALU_CYCLE_1)
	s_add_u32 s6, s34, s4
	s_mov_b32 s5, s4
	s_addc_u32 s7, s35, s4
	s_xor_b64 s[6:7], s[6:7], s[4:5]
	s_delay_alu instid0(SALU_CYCLE_1) | instskip(SKIP_3) | instid1(VALU_DEP_1)
	v_cvt_f32_u32_e32 v0, s6
	v_cvt_f32_u32_e32 v1, s7
	s_sub_u32 s2, 0, s6
	s_subb_u32 s5, 0, s7
	v_fmamk_f32 v0, v1, 0x4f800000, v0
	s_delay_alu instid0(VALU_DEP_1) | instskip(SKIP_2) | instid1(VALU_DEP_1)
	v_rcp_f32_e32 v0, v0
	s_waitcnt_depctr 0xfff
	v_mul_f32_e32 v0, 0x5f7ffffc, v0
	v_mul_f32_e32 v1, 0x2f800000, v0
	s_delay_alu instid0(VALU_DEP_1) | instskip(NEXT) | instid1(VALU_DEP_1)
	v_trunc_f32_e32 v1, v1
	v_fmamk_f32 v0, v1, 0xcf800000, v0
	v_cvt_u32_f32_e32 v1, v1
	s_delay_alu instid0(VALU_DEP_2) | instskip(NEXT) | instid1(VALU_DEP_2)
	v_cvt_u32_f32_e32 v0, v0
	v_mul_lo_u32 v4, s2, v1
	s_delay_alu instid0(VALU_DEP_2) | instskip(SKIP_1) | instid1(VALU_DEP_2)
	v_mul_hi_u32 v5, s2, v0
	v_mul_lo_u32 v6, s5, v0
	v_add_nc_u32_e32 v4, v5, v4
	v_mul_lo_u32 v5, s2, v0
	s_delay_alu instid0(VALU_DEP_2) | instskip(NEXT) | instid1(VALU_DEP_2)
	v_add_nc_u32_e32 v4, v4, v6
	v_mul_hi_u32 v6, v0, v5
	s_delay_alu instid0(VALU_DEP_2)
	v_mul_lo_u32 v7, v0, v4
	v_mul_hi_u32 v8, v0, v4
	v_mul_hi_u32 v9, v1, v5
	v_mul_lo_u32 v5, v1, v5
	v_mul_hi_u32 v10, v1, v4
	v_mul_lo_u32 v4, v1, v4
	v_add_co_u32 v6, vcc_lo, v6, v7
	v_add_co_ci_u32_e32 v7, vcc_lo, 0, v8, vcc_lo
	s_delay_alu instid0(VALU_DEP_2) | instskip(NEXT) | instid1(VALU_DEP_2)
	v_add_co_u32 v5, vcc_lo, v6, v5
	v_add_co_ci_u32_e32 v5, vcc_lo, v7, v9, vcc_lo
	v_add_co_ci_u32_e32 v6, vcc_lo, 0, v10, vcc_lo
	v_ashrrev_i32_e32 v9, 31, v3
	s_delay_alu instid0(VALU_DEP_3) | instskip(NEXT) | instid1(VALU_DEP_3)
	v_add_co_u32 v4, vcc_lo, v5, v4
	v_add_co_ci_u32_e32 v5, vcc_lo, 0, v6, vcc_lo
	s_delay_alu instid0(VALU_DEP_2) | instskip(NEXT) | instid1(VALU_DEP_2)
	v_add_co_u32 v0, vcc_lo, v0, v4
	v_add_co_ci_u32_e32 v1, vcc_lo, v1, v5, vcc_lo
	s_delay_alu instid0(VALU_DEP_2) | instskip(SKIP_1) | instid1(VALU_DEP_3)
	v_mul_hi_u32 v4, s2, v0
	v_mul_lo_u32 v6, s5, v0
	v_mul_lo_u32 v5, s2, v1
	s_delay_alu instid0(VALU_DEP_1) | instskip(SKIP_1) | instid1(VALU_DEP_2)
	v_add_nc_u32_e32 v4, v4, v5
	v_mul_lo_u32 v5, s2, v0
	v_add_nc_u32_e32 v4, v4, v6
	s_delay_alu instid0(VALU_DEP_2) | instskip(NEXT) | instid1(VALU_DEP_2)
	v_mul_hi_u32 v6, v0, v5
	v_mul_lo_u32 v7, v0, v4
	v_mul_hi_u32 v8, v0, v4
	v_mul_hi_u32 v10, v1, v5
	v_mul_lo_u32 v5, v1, v5
	v_mul_hi_u32 v11, v1, v4
	v_mul_lo_u32 v4, v1, v4
	v_add_co_u32 v6, vcc_lo, v6, v7
	v_add_co_ci_u32_e32 v7, vcc_lo, 0, v8, vcc_lo
	s_delay_alu instid0(VALU_DEP_2) | instskip(NEXT) | instid1(VALU_DEP_2)
	v_add_co_u32 v5, vcc_lo, v6, v5
	v_add_co_ci_u32_e32 v5, vcc_lo, v7, v10, vcc_lo
	v_add_co_ci_u32_e32 v6, vcc_lo, 0, v11, vcc_lo
	v_add_co_u32 v7, vcc_lo, v2, v9
	v_add_co_ci_u32_e32 v8, vcc_lo, v3, v9, vcc_lo
	s_delay_alu instid0(VALU_DEP_4) | instskip(NEXT) | instid1(VALU_DEP_4)
	v_add_co_u32 v4, vcc_lo, v5, v4
	v_add_co_ci_u32_e32 v5, vcc_lo, 0, v6, vcc_lo
	s_delay_alu instid0(VALU_DEP_4) | instskip(NEXT) | instid1(VALU_DEP_3)
	v_xor_b32_e32 v10, v7, v9
	v_add_co_u32 v6, vcc_lo, v0, v4
	s_delay_alu instid0(VALU_DEP_3) | instskip(SKIP_1) | instid1(VALU_DEP_3)
	v_add_co_ci_u32_e32 v11, vcc_lo, v1, v5, vcc_lo
	v_xor_b32_e32 v8, v8, v9
	v_mul_hi_u32 v12, v10, v6
	s_delay_alu instid0(VALU_DEP_3) | instskip(NEXT) | instid1(VALU_DEP_3)
	v_mad_u64_u32 v[0:1], null, v10, v11, 0
	v_mad_u64_u32 v[4:5], null, v8, v6, 0
	;; [unrolled: 1-line block ×3, first 2 shown]
	s_delay_alu instid0(VALU_DEP_3) | instskip(NEXT) | instid1(VALU_DEP_4)
	v_add_co_u32 v0, vcc_lo, v12, v0
	v_add_co_ci_u32_e32 v1, vcc_lo, 0, v1, vcc_lo
	s_delay_alu instid0(VALU_DEP_2) | instskip(NEXT) | instid1(VALU_DEP_2)
	v_add_co_u32 v0, vcc_lo, v0, v4
	v_add_co_ci_u32_e32 v0, vcc_lo, v1, v5, vcc_lo
	v_add_co_ci_u32_e32 v1, vcc_lo, 0, v7, vcc_lo
	s_delay_alu instid0(VALU_DEP_2) | instskip(NEXT) | instid1(VALU_DEP_2)
	v_add_co_u32 v4, vcc_lo, v0, v6
	v_add_co_ci_u32_e32 v5, vcc_lo, 0, v1, vcc_lo
	s_delay_alu instid0(VALU_DEP_2) | instskip(SKIP_1) | instid1(VALU_DEP_3)
	v_mul_lo_u32 v6, s7, v4
	v_mad_u64_u32 v[0:1], null, s6, v4, 0
	v_mul_lo_u32 v7, s6, v5
	s_delay_alu instid0(VALU_DEP_2) | instskip(NEXT) | instid1(VALU_DEP_2)
	v_sub_co_u32 v0, vcc_lo, v10, v0
	v_add3_u32 v1, v1, v7, v6
	s_delay_alu instid0(VALU_DEP_1) | instskip(NEXT) | instid1(VALU_DEP_1)
	v_sub_nc_u32_e32 v6, v8, v1
	v_subrev_co_ci_u32_e64 v6, s2, s7, v6, vcc_lo
	v_add_co_u32 v7, s2, v4, 2
	s_delay_alu instid0(VALU_DEP_1) | instskip(SKIP_3) | instid1(VALU_DEP_3)
	v_add_co_ci_u32_e64 v10, s2, 0, v5, s2
	v_sub_co_u32 v11, s2, v0, s6
	v_sub_co_ci_u32_e32 v1, vcc_lo, v8, v1, vcc_lo
	v_subrev_co_ci_u32_e64 v6, s2, 0, v6, s2
	v_cmp_le_u32_e32 vcc_lo, s6, v11
	s_delay_alu instid0(VALU_DEP_3) | instskip(SKIP_1) | instid1(VALU_DEP_4)
	v_cmp_eq_u32_e64 s2, s7, v1
	v_cndmask_b32_e64 v8, 0, -1, vcc_lo
	v_cmp_le_u32_e32 vcc_lo, s7, v6
	v_cndmask_b32_e64 v11, 0, -1, vcc_lo
	v_cmp_le_u32_e32 vcc_lo, s6, v0
	;; [unrolled: 2-line block ×3, first 2 shown]
	v_cndmask_b32_e64 v12, 0, -1, vcc_lo
	v_cmp_eq_u32_e32 vcc_lo, s7, v6
	s_delay_alu instid0(VALU_DEP_2) | instskip(SKIP_3) | instid1(VALU_DEP_3)
	v_cndmask_b32_e64 v0, v12, v0, s2
	v_cndmask_b32_e32 v6, v11, v8, vcc_lo
	v_add_co_u32 v8, vcc_lo, v4, 1
	v_add_co_ci_u32_e32 v11, vcc_lo, 0, v5, vcc_lo
	v_cmp_ne_u32_e32 vcc_lo, 0, v6
	s_delay_alu instid0(VALU_DEP_2) | instskip(SKIP_2) | instid1(VALU_DEP_3)
	v_dual_cndmask_b32 v1, v11, v10 :: v_dual_cndmask_b32 v6, v8, v7
	v_cmp_ne_u32_e32 vcc_lo, 0, v0
	v_xor_b32_e32 v0, s4, v9
	v_dual_cndmask_b32 v4, v4, v6 :: v_dual_cndmask_b32 v1, v5, v1
	s_delay_alu instid0(VALU_DEP_1) | instskip(NEXT) | instid1(VALU_DEP_2)
	v_xor_b32_e32 v4, v4, v0
	v_xor_b32_e32 v1, v1, v0
	s_delay_alu instid0(VALU_DEP_2) | instskip(NEXT) | instid1(VALU_DEP_2)
	v_sub_co_u32 v4, vcc_lo, v4, v0
	v_sub_co_ci_u32_e32 v5, vcc_lo, v1, v0, vcc_lo
.LBB73_3:
	s_and_not1_saveexec_b32 s2, s8
	s_cbranch_execz .LBB73_5
; %bb.4:
	v_cvt_f32_u32_e32 v0, s34
	s_sub_i32 s4, 0, s34
	s_delay_alu instid0(VALU_DEP_1) | instskip(SKIP_2) | instid1(VALU_DEP_1)
	v_rcp_iflag_f32_e32 v0, v0
	s_waitcnt_depctr 0xfff
	v_mul_f32_e32 v0, 0x4f7ffffe, v0
	v_cvt_u32_f32_e32 v0, v0
	s_delay_alu instid0(VALU_DEP_1) | instskip(NEXT) | instid1(VALU_DEP_1)
	v_mul_lo_u32 v1, s4, v0
	v_mul_hi_u32 v1, v0, v1
	s_delay_alu instid0(VALU_DEP_1) | instskip(NEXT) | instid1(VALU_DEP_1)
	v_add_nc_u32_e32 v0, v0, v1
	v_mul_hi_u32 v0, v2, v0
	s_delay_alu instid0(VALU_DEP_1) | instskip(SKIP_1) | instid1(VALU_DEP_2)
	v_mul_lo_u32 v1, v0, s34
	v_add_nc_u32_e32 v4, 1, v0
	v_sub_nc_u32_e32 v1, v2, v1
	s_delay_alu instid0(VALU_DEP_1) | instskip(SKIP_1) | instid1(VALU_DEP_2)
	v_subrev_nc_u32_e32 v5, s34, v1
	v_cmp_le_u32_e32 vcc_lo, s34, v1
	v_cndmask_b32_e32 v1, v1, v5, vcc_lo
	v_dual_mov_b32 v5, 0 :: v_dual_cndmask_b32 v0, v0, v4
	s_delay_alu instid0(VALU_DEP_2) | instskip(NEXT) | instid1(VALU_DEP_2)
	v_cmp_le_u32_e32 vcc_lo, s34, v1
	v_add_nc_u32_e32 v4, 1, v0
	s_delay_alu instid0(VALU_DEP_1)
	v_cndmask_b32_e32 v4, v0, v4, vcc_lo
.LBB73_5:
	s_or_b32 exec_lo, exec_lo, s2
	s_delay_alu instid0(VALU_DEP_1) | instskip(SKIP_1) | instid1(VALU_DEP_1)
	v_or_b32_e32 v1, s19, v5
	v_mov_b32_e32 v0, 0
	v_cmp_ne_u64_e32 vcc_lo, 0, v[0:1]
                                        ; implicit-def: $vgpr0_vgpr1
	s_and_saveexec_b32 s2, vcc_lo
	s_delay_alu instid0(SALU_CYCLE_1)
	s_xor_b32 s6, exec_lo, s2
	s_cbranch_execz .LBB73_7
; %bb.6:
	s_ashr_i32 s4, s19, 31
	s_delay_alu instid0(SALU_CYCLE_1) | instskip(SKIP_2) | instid1(SALU_CYCLE_1)
	s_add_u32 s8, s18, s4
	s_mov_b32 s5, s4
	s_addc_u32 s9, s19, s4
	s_xor_b64 s[4:5], s[8:9], s[4:5]
	s_delay_alu instid0(SALU_CYCLE_1) | instskip(SKIP_3) | instid1(VALU_DEP_1)
	v_cvt_f32_u32_e32 v0, s4
	v_cvt_f32_u32_e32 v1, s5
	s_sub_u32 s2, 0, s4
	s_subb_u32 s7, 0, s5
	v_fmamk_f32 v0, v1, 0x4f800000, v0
	s_delay_alu instid0(VALU_DEP_1) | instskip(SKIP_2) | instid1(VALU_DEP_1)
	v_rcp_f32_e32 v0, v0
	s_waitcnt_depctr 0xfff
	v_mul_f32_e32 v0, 0x5f7ffffc, v0
	v_mul_f32_e32 v1, 0x2f800000, v0
	s_delay_alu instid0(VALU_DEP_1) | instskip(NEXT) | instid1(VALU_DEP_1)
	v_trunc_f32_e32 v1, v1
	v_fmamk_f32 v0, v1, 0xcf800000, v0
	v_cvt_u32_f32_e32 v1, v1
	s_delay_alu instid0(VALU_DEP_2) | instskip(NEXT) | instid1(VALU_DEP_2)
	v_cvt_u32_f32_e32 v0, v0
	v_mul_lo_u32 v6, s2, v1
	s_delay_alu instid0(VALU_DEP_2) | instskip(SKIP_1) | instid1(VALU_DEP_2)
	v_mul_hi_u32 v7, s2, v0
	v_mul_lo_u32 v8, s7, v0
	v_add_nc_u32_e32 v6, v7, v6
	v_mul_lo_u32 v7, s2, v0
	s_delay_alu instid0(VALU_DEP_2) | instskip(NEXT) | instid1(VALU_DEP_2)
	v_add_nc_u32_e32 v6, v6, v8
	v_mul_hi_u32 v8, v0, v7
	s_delay_alu instid0(VALU_DEP_2)
	v_mul_lo_u32 v9, v0, v6
	v_mul_hi_u32 v10, v0, v6
	v_mul_hi_u32 v11, v1, v7
	v_mul_lo_u32 v7, v1, v7
	v_mul_hi_u32 v12, v1, v6
	v_mul_lo_u32 v6, v1, v6
	v_add_co_u32 v8, vcc_lo, v8, v9
	v_add_co_ci_u32_e32 v9, vcc_lo, 0, v10, vcc_lo
	s_delay_alu instid0(VALU_DEP_2) | instskip(NEXT) | instid1(VALU_DEP_2)
	v_add_co_u32 v7, vcc_lo, v8, v7
	v_add_co_ci_u32_e32 v7, vcc_lo, v9, v11, vcc_lo
	v_add_co_ci_u32_e32 v8, vcc_lo, 0, v12, vcc_lo
	v_ashrrev_i32_e32 v11, 31, v5
	s_delay_alu instid0(VALU_DEP_3) | instskip(NEXT) | instid1(VALU_DEP_3)
	v_add_co_u32 v6, vcc_lo, v7, v6
	v_add_co_ci_u32_e32 v7, vcc_lo, 0, v8, vcc_lo
	s_delay_alu instid0(VALU_DEP_2) | instskip(NEXT) | instid1(VALU_DEP_2)
	v_add_co_u32 v0, vcc_lo, v0, v6
	v_add_co_ci_u32_e32 v1, vcc_lo, v1, v7, vcc_lo
	s_delay_alu instid0(VALU_DEP_2) | instskip(SKIP_1) | instid1(VALU_DEP_3)
	v_mul_hi_u32 v6, s2, v0
	v_mul_lo_u32 v8, s7, v0
	v_mul_lo_u32 v7, s2, v1
	s_delay_alu instid0(VALU_DEP_1) | instskip(SKIP_1) | instid1(VALU_DEP_2)
	v_add_nc_u32_e32 v6, v6, v7
	v_mul_lo_u32 v7, s2, v0
	v_add_nc_u32_e32 v6, v6, v8
	s_delay_alu instid0(VALU_DEP_2) | instskip(NEXT) | instid1(VALU_DEP_2)
	v_mul_hi_u32 v8, v0, v7
	v_mul_lo_u32 v9, v0, v6
	v_mul_hi_u32 v10, v0, v6
	v_mul_hi_u32 v12, v1, v7
	v_mul_lo_u32 v7, v1, v7
	v_mul_hi_u32 v13, v1, v6
	v_mul_lo_u32 v6, v1, v6
	v_add_co_u32 v8, vcc_lo, v8, v9
	v_add_co_ci_u32_e32 v9, vcc_lo, 0, v10, vcc_lo
	s_delay_alu instid0(VALU_DEP_2) | instskip(NEXT) | instid1(VALU_DEP_2)
	v_add_co_u32 v7, vcc_lo, v8, v7
	v_add_co_ci_u32_e32 v7, vcc_lo, v9, v12, vcc_lo
	v_add_co_ci_u32_e32 v8, vcc_lo, 0, v13, vcc_lo
	v_add_co_u32 v9, vcc_lo, v4, v11
	v_add_co_ci_u32_e32 v10, vcc_lo, v5, v11, vcc_lo
	s_delay_alu instid0(VALU_DEP_4) | instskip(NEXT) | instid1(VALU_DEP_4)
	v_add_co_u32 v6, vcc_lo, v7, v6
	v_add_co_ci_u32_e32 v7, vcc_lo, 0, v8, vcc_lo
	s_delay_alu instid0(VALU_DEP_4) | instskip(NEXT) | instid1(VALU_DEP_3)
	v_xor_b32_e32 v12, v9, v11
	v_add_co_u32 v8, vcc_lo, v0, v6
	s_delay_alu instid0(VALU_DEP_3) | instskip(SKIP_1) | instid1(VALU_DEP_3)
	v_add_co_ci_u32_e32 v13, vcc_lo, v1, v7, vcc_lo
	v_xor_b32_e32 v10, v10, v11
	v_mul_hi_u32 v14, v12, v8
	s_delay_alu instid0(VALU_DEP_3) | instskip(NEXT) | instid1(VALU_DEP_3)
	v_mad_u64_u32 v[0:1], null, v12, v13, 0
	v_mad_u64_u32 v[6:7], null, v10, v8, 0
	;; [unrolled: 1-line block ×3, first 2 shown]
	s_delay_alu instid0(VALU_DEP_3) | instskip(NEXT) | instid1(VALU_DEP_4)
	v_add_co_u32 v0, vcc_lo, v14, v0
	v_add_co_ci_u32_e32 v1, vcc_lo, 0, v1, vcc_lo
	s_delay_alu instid0(VALU_DEP_2) | instskip(NEXT) | instid1(VALU_DEP_2)
	v_add_co_u32 v0, vcc_lo, v0, v6
	v_add_co_ci_u32_e32 v0, vcc_lo, v1, v7, vcc_lo
	v_add_co_ci_u32_e32 v1, vcc_lo, 0, v9, vcc_lo
	s_delay_alu instid0(VALU_DEP_2) | instskip(NEXT) | instid1(VALU_DEP_2)
	v_add_co_u32 v6, vcc_lo, v0, v8
	v_add_co_ci_u32_e32 v7, vcc_lo, 0, v1, vcc_lo
	s_delay_alu instid0(VALU_DEP_2) | instskip(SKIP_1) | instid1(VALU_DEP_3)
	v_mul_lo_u32 v8, s5, v6
	v_mad_u64_u32 v[0:1], null, s4, v6, 0
	v_mul_lo_u32 v6, s4, v7
	s_delay_alu instid0(VALU_DEP_2) | instskip(NEXT) | instid1(VALU_DEP_2)
	v_sub_co_u32 v0, vcc_lo, v12, v0
	v_add3_u32 v1, v1, v6, v8
	s_delay_alu instid0(VALU_DEP_1) | instskip(NEXT) | instid1(VALU_DEP_1)
	v_sub_nc_u32_e32 v6, v10, v1
	v_subrev_co_ci_u32_e64 v6, s2, s5, v6, vcc_lo
	v_sub_co_ci_u32_e32 v1, vcc_lo, v10, v1, vcc_lo
	v_sub_co_u32 v7, vcc_lo, v0, s4
	s_delay_alu instid0(VALU_DEP_1) | instskip(SKIP_3) | instid1(VALU_DEP_3)
	v_subrev_co_ci_u32_e64 v8, s2, 0, v6, vcc_lo
	v_cmp_le_u32_e64 s2, s4, v0
	v_subrev_co_ci_u32_e32 v6, vcc_lo, s5, v6, vcc_lo
	v_cmp_le_u32_e32 vcc_lo, s5, v1
	v_cndmask_b32_e64 v9, 0, -1, s2
	v_cmp_le_u32_e64 s2, s4, v7
	v_cndmask_b32_e64 v13, 0, -1, vcc_lo
	v_cmp_eq_u32_e32 vcc_lo, s5, v8
	s_delay_alu instid0(VALU_DEP_3) | instskip(SKIP_1) | instid1(VALU_DEP_1)
	v_cndmask_b32_e64 v10, 0, -1, s2
	v_cmp_le_u32_e64 s2, s5, v8
	v_cndmask_b32_e64 v12, 0, -1, s2
	v_cmp_eq_u32_e64 s2, s5, v1
	s_delay_alu instid0(VALU_DEP_2) | instskip(SKIP_2) | instid1(VALU_DEP_3)
	v_cndmask_b32_e32 v10, v12, v10, vcc_lo
	v_sub_co_u32 v12, vcc_lo, v7, s4
	v_subrev_co_ci_u32_e32 v6, vcc_lo, 0, v6, vcc_lo
	v_cmp_ne_u32_e32 vcc_lo, 0, v10
	v_cndmask_b32_e64 v9, v13, v9, s2
	s_delay_alu instid0(VALU_DEP_3) | instskip(NEXT) | instid1(VALU_DEP_2)
	v_dual_cndmask_b32 v6, v8, v6 :: v_dual_cndmask_b32 v7, v7, v12
	v_cmp_ne_u32_e32 vcc_lo, 0, v9
	s_delay_alu instid0(VALU_DEP_2) | instskip(NEXT) | instid1(VALU_DEP_1)
	v_dual_cndmask_b32 v0, v0, v7 :: v_dual_cndmask_b32 v1, v1, v6
	v_xor_b32_e32 v0, v0, v11
	s_delay_alu instid0(VALU_DEP_2) | instskip(NEXT) | instid1(VALU_DEP_2)
	v_xor_b32_e32 v1, v1, v11
	v_sub_co_u32 v0, vcc_lo, v0, v11
	s_delay_alu instid0(VALU_DEP_2)
	v_sub_co_ci_u32_e32 v1, vcc_lo, v1, v11, vcc_lo
.LBB73_7:
	s_or_saveexec_b32 s2, s6
	s_clause 0x1
	s_load_b64 s[12:13], s[0:1], 0xa8
	s_load_b256 s[4:11], s[0:1], 0x88
	s_xor_b32 exec_lo, exec_lo, s2
	s_cbranch_execz .LBB73_9
; %bb.8:
	v_cvt_f32_u32_e32 v0, s18
	s_sub_i32 s16, 0, s18
	s_delay_alu instid0(VALU_DEP_1) | instskip(SKIP_2) | instid1(VALU_DEP_1)
	v_rcp_iflag_f32_e32 v0, v0
	s_waitcnt_depctr 0xfff
	v_mul_f32_e32 v0, 0x4f7ffffe, v0
	v_cvt_u32_f32_e32 v0, v0
	s_delay_alu instid0(VALU_DEP_1) | instskip(NEXT) | instid1(VALU_DEP_1)
	v_mul_lo_u32 v1, s16, v0
	v_mul_hi_u32 v1, v0, v1
	s_delay_alu instid0(VALU_DEP_1) | instskip(NEXT) | instid1(VALU_DEP_1)
	v_add_nc_u32_e32 v0, v0, v1
	v_mul_hi_u32 v0, v4, v0
	s_delay_alu instid0(VALU_DEP_1) | instskip(NEXT) | instid1(VALU_DEP_1)
	v_mul_lo_u32 v0, v0, s18
	v_sub_nc_u32_e32 v0, v4, v0
	s_delay_alu instid0(VALU_DEP_1) | instskip(SKIP_1) | instid1(VALU_DEP_2)
	v_subrev_nc_u32_e32 v1, s18, v0
	v_cmp_le_u32_e32 vcc_lo, s18, v0
	v_cndmask_b32_e32 v0, v0, v1, vcc_lo
	s_delay_alu instid0(VALU_DEP_1) | instskip(SKIP_1) | instid1(VALU_DEP_2)
	v_subrev_nc_u32_e32 v1, s18, v0
	v_cmp_le_u32_e32 vcc_lo, s18, v0
	v_dual_cndmask_b32 v0, v0, v1 :: v_dual_mov_b32 v1, 0
.LBB73_9:
	s_or_b32 exec_lo, exec_lo, s2
	s_clause 0x1
	s_load_b64 s[46:47], s[0:1], 0x58
	s_load_b64 s[44:45], s[0:1], 0x0
	v_or_b32_e32 v7, s20, v3
	v_mov_b32_e32 v6, 0
	s_delay_alu instid0(VALU_DEP_1) | instskip(SKIP_1) | instid1(SALU_CYCLE_1)
	v_cmp_ne_u64_e32 vcc_lo, 0, v[6:7]
                                        ; implicit-def: $vgpr6_vgpr7
	s_and_saveexec_b32 s2, vcc_lo
	s_xor_b32 s21, exec_lo, s2
	s_cbranch_execz .LBB73_11
; %bb.10:
	s_ashr_i32 s16, s20, 31
	s_delay_alu instid0(SALU_CYCLE_1) | instskip(SKIP_2) | instid1(SALU_CYCLE_1)
	s_add_u32 s18, s3, s16
	s_mov_b32 s17, s16
	s_addc_u32 s19, s20, s16
	s_xor_b64 s[18:19], s[18:19], s[16:17]
	s_delay_alu instid0(SALU_CYCLE_1) | instskip(SKIP_3) | instid1(VALU_DEP_1)
	v_cvt_f32_u32_e32 v6, s18
	v_cvt_f32_u32_e32 v7, s19
	s_sub_u32 s2, 0, s18
	s_subb_u32 s17, 0, s19
	v_fmamk_f32 v6, v7, 0x4f800000, v6
	s_delay_alu instid0(VALU_DEP_1) | instskip(SKIP_2) | instid1(VALU_DEP_1)
	v_rcp_f32_e32 v6, v6
	s_waitcnt_depctr 0xfff
	v_mul_f32_e32 v6, 0x5f7ffffc, v6
	v_mul_f32_e32 v7, 0x2f800000, v6
	s_delay_alu instid0(VALU_DEP_1) | instskip(NEXT) | instid1(VALU_DEP_1)
	v_trunc_f32_e32 v7, v7
	v_fmamk_f32 v6, v7, 0xcf800000, v6
	v_cvt_u32_f32_e32 v7, v7
	s_delay_alu instid0(VALU_DEP_2) | instskip(NEXT) | instid1(VALU_DEP_2)
	v_cvt_u32_f32_e32 v6, v6
	v_mul_lo_u32 v8, s2, v7
	s_delay_alu instid0(VALU_DEP_2) | instskip(SKIP_1) | instid1(VALU_DEP_2)
	v_mul_hi_u32 v9, s2, v6
	v_mul_lo_u32 v10, s17, v6
	v_add_nc_u32_e32 v8, v9, v8
	v_mul_lo_u32 v9, s2, v6
	s_delay_alu instid0(VALU_DEP_2) | instskip(NEXT) | instid1(VALU_DEP_2)
	v_add_nc_u32_e32 v8, v8, v10
	v_mul_hi_u32 v10, v6, v9
	s_delay_alu instid0(VALU_DEP_2)
	v_mul_lo_u32 v11, v6, v8
	v_mul_hi_u32 v12, v6, v8
	v_mul_hi_u32 v13, v7, v9
	v_mul_lo_u32 v9, v7, v9
	v_mul_hi_u32 v14, v7, v8
	v_mul_lo_u32 v8, v7, v8
	v_add_co_u32 v10, vcc_lo, v10, v11
	v_add_co_ci_u32_e32 v11, vcc_lo, 0, v12, vcc_lo
	s_delay_alu instid0(VALU_DEP_2) | instskip(NEXT) | instid1(VALU_DEP_2)
	v_add_co_u32 v9, vcc_lo, v10, v9
	v_add_co_ci_u32_e32 v9, vcc_lo, v11, v13, vcc_lo
	v_add_co_ci_u32_e32 v10, vcc_lo, 0, v14, vcc_lo
	v_ashrrev_i32_e32 v13, 31, v3
	s_delay_alu instid0(VALU_DEP_3) | instskip(NEXT) | instid1(VALU_DEP_3)
	v_add_co_u32 v8, vcc_lo, v9, v8
	v_add_co_ci_u32_e32 v9, vcc_lo, 0, v10, vcc_lo
	s_delay_alu instid0(VALU_DEP_2) | instskip(NEXT) | instid1(VALU_DEP_2)
	v_add_co_u32 v6, vcc_lo, v6, v8
	v_add_co_ci_u32_e32 v7, vcc_lo, v7, v9, vcc_lo
	s_delay_alu instid0(VALU_DEP_2) | instskip(SKIP_1) | instid1(VALU_DEP_3)
	v_mul_hi_u32 v8, s2, v6
	v_mul_lo_u32 v10, s17, v6
	v_mul_lo_u32 v9, s2, v7
	s_delay_alu instid0(VALU_DEP_1) | instskip(SKIP_1) | instid1(VALU_DEP_2)
	v_add_nc_u32_e32 v8, v8, v9
	v_mul_lo_u32 v9, s2, v6
	v_add_nc_u32_e32 v8, v8, v10
	s_delay_alu instid0(VALU_DEP_2) | instskip(NEXT) | instid1(VALU_DEP_2)
	v_mul_hi_u32 v10, v6, v9
	v_mul_lo_u32 v11, v6, v8
	v_mul_hi_u32 v12, v6, v8
	v_mul_hi_u32 v14, v7, v9
	v_mul_lo_u32 v9, v7, v9
	v_mul_hi_u32 v15, v7, v8
	v_mul_lo_u32 v8, v7, v8
	v_add_co_u32 v10, vcc_lo, v10, v11
	v_add_co_ci_u32_e32 v11, vcc_lo, 0, v12, vcc_lo
	s_delay_alu instid0(VALU_DEP_2) | instskip(NEXT) | instid1(VALU_DEP_2)
	v_add_co_u32 v9, vcc_lo, v10, v9
	v_add_co_ci_u32_e32 v9, vcc_lo, v11, v14, vcc_lo
	v_add_co_ci_u32_e32 v10, vcc_lo, 0, v15, vcc_lo
	v_add_co_u32 v11, vcc_lo, v2, v13
	v_add_co_ci_u32_e32 v12, vcc_lo, v3, v13, vcc_lo
	s_delay_alu instid0(VALU_DEP_4) | instskip(NEXT) | instid1(VALU_DEP_4)
	v_add_co_u32 v8, vcc_lo, v9, v8
	v_add_co_ci_u32_e32 v9, vcc_lo, 0, v10, vcc_lo
	s_delay_alu instid0(VALU_DEP_4) | instskip(NEXT) | instid1(VALU_DEP_3)
	v_xor_b32_e32 v14, v11, v13
	v_add_co_u32 v10, vcc_lo, v6, v8
	s_delay_alu instid0(VALU_DEP_3) | instskip(SKIP_1) | instid1(VALU_DEP_3)
	v_add_co_ci_u32_e32 v15, vcc_lo, v7, v9, vcc_lo
	v_xor_b32_e32 v12, v12, v13
	v_mul_hi_u32 v16, v14, v10
	s_delay_alu instid0(VALU_DEP_3) | instskip(NEXT) | instid1(VALU_DEP_3)
	v_mad_u64_u32 v[6:7], null, v14, v15, 0
	v_mad_u64_u32 v[8:9], null, v12, v10, 0
	;; [unrolled: 1-line block ×3, first 2 shown]
	s_delay_alu instid0(VALU_DEP_3) | instskip(NEXT) | instid1(VALU_DEP_4)
	v_add_co_u32 v6, vcc_lo, v16, v6
	v_add_co_ci_u32_e32 v7, vcc_lo, 0, v7, vcc_lo
	s_delay_alu instid0(VALU_DEP_2) | instskip(NEXT) | instid1(VALU_DEP_2)
	v_add_co_u32 v6, vcc_lo, v6, v8
	v_add_co_ci_u32_e32 v6, vcc_lo, v7, v9, vcc_lo
	v_add_co_ci_u32_e32 v7, vcc_lo, 0, v11, vcc_lo
	s_delay_alu instid0(VALU_DEP_2) | instskip(NEXT) | instid1(VALU_DEP_2)
	v_add_co_u32 v8, vcc_lo, v6, v10
	v_add_co_ci_u32_e32 v9, vcc_lo, 0, v7, vcc_lo
	s_delay_alu instid0(VALU_DEP_2) | instskip(SKIP_1) | instid1(VALU_DEP_3)
	v_mul_lo_u32 v10, s19, v8
	v_mad_u64_u32 v[6:7], null, s18, v8, 0
	v_mul_lo_u32 v11, s18, v9
	s_delay_alu instid0(VALU_DEP_2) | instskip(NEXT) | instid1(VALU_DEP_2)
	v_sub_co_u32 v6, vcc_lo, v14, v6
	v_add3_u32 v7, v7, v11, v10
	s_delay_alu instid0(VALU_DEP_1) | instskip(NEXT) | instid1(VALU_DEP_1)
	v_sub_nc_u32_e32 v10, v12, v7
	v_subrev_co_ci_u32_e64 v10, s2, s19, v10, vcc_lo
	v_add_co_u32 v11, s2, v8, 2
	s_delay_alu instid0(VALU_DEP_1) | instskip(SKIP_3) | instid1(VALU_DEP_3)
	v_add_co_ci_u32_e64 v14, s2, 0, v9, s2
	v_sub_co_u32 v15, s2, v6, s18
	v_sub_co_ci_u32_e32 v7, vcc_lo, v12, v7, vcc_lo
	v_subrev_co_ci_u32_e64 v10, s2, 0, v10, s2
	v_cmp_le_u32_e32 vcc_lo, s18, v15
	s_delay_alu instid0(VALU_DEP_3) | instskip(SKIP_1) | instid1(VALU_DEP_4)
	v_cmp_eq_u32_e64 s2, s19, v7
	v_cndmask_b32_e64 v12, 0, -1, vcc_lo
	v_cmp_le_u32_e32 vcc_lo, s19, v10
	v_cndmask_b32_e64 v15, 0, -1, vcc_lo
	v_cmp_le_u32_e32 vcc_lo, s18, v6
	;; [unrolled: 2-line block ×3, first 2 shown]
	v_cndmask_b32_e64 v16, 0, -1, vcc_lo
	v_cmp_eq_u32_e32 vcc_lo, s19, v10
	s_delay_alu instid0(VALU_DEP_2) | instskip(SKIP_3) | instid1(VALU_DEP_3)
	v_cndmask_b32_e64 v6, v16, v6, s2
	v_cndmask_b32_e32 v10, v15, v12, vcc_lo
	v_add_co_u32 v12, vcc_lo, v8, 1
	v_add_co_ci_u32_e32 v15, vcc_lo, 0, v9, vcc_lo
	v_cmp_ne_u32_e32 vcc_lo, 0, v10
	s_delay_alu instid0(VALU_DEP_2) | instskip(SKIP_2) | instid1(VALU_DEP_3)
	v_dual_cndmask_b32 v7, v15, v14 :: v_dual_cndmask_b32 v10, v12, v11
	v_cmp_ne_u32_e32 vcc_lo, 0, v6
	v_xor_b32_e32 v11, s16, v13
	v_dual_cndmask_b32 v6, v9, v7 :: v_dual_cndmask_b32 v7, v8, v10
	s_delay_alu instid0(VALU_DEP_1) | instskip(NEXT) | instid1(VALU_DEP_2)
	v_xor_b32_e32 v8, v6, v11
	v_xor_b32_e32 v7, v7, v11
	s_delay_alu instid0(VALU_DEP_1) | instskip(NEXT) | instid1(VALU_DEP_3)
	v_sub_co_u32 v6, vcc_lo, v7, v11
	v_sub_co_ci_u32_e32 v7, vcc_lo, v8, v11, vcc_lo
.LBB73_11:
	s_or_saveexec_b32 s2, s21
	s_load_b512 s[16:31], s[0:1], 0x18
	s_xor_b32 exec_lo, exec_lo, s2
	s_cbranch_execz .LBB73_13
; %bb.12:
	v_cvt_f32_u32_e32 v6, s3
	s_sub_i32 s33, 0, s3
	s_delay_alu instid0(VALU_DEP_1) | instskip(SKIP_2) | instid1(VALU_DEP_1)
	v_rcp_iflag_f32_e32 v6, v6
	s_waitcnt_depctr 0xfff
	v_mul_f32_e32 v6, 0x4f7ffffe, v6
	v_cvt_u32_f32_e32 v6, v6
	s_delay_alu instid0(VALU_DEP_1) | instskip(NEXT) | instid1(VALU_DEP_1)
	v_mul_lo_u32 v7, s33, v6
	v_mul_hi_u32 v7, v6, v7
	s_delay_alu instid0(VALU_DEP_1) | instskip(NEXT) | instid1(VALU_DEP_1)
	v_add_nc_u32_e32 v6, v6, v7
	v_mul_hi_u32 v6, v2, v6
	s_delay_alu instid0(VALU_DEP_1) | instskip(SKIP_1) | instid1(VALU_DEP_2)
	v_mul_lo_u32 v7, v6, s3
	v_add_nc_u32_e32 v8, 1, v6
	v_sub_nc_u32_e32 v7, v2, v7
	s_delay_alu instid0(VALU_DEP_1) | instskip(SKIP_1) | instid1(VALU_DEP_2)
	v_subrev_nc_u32_e32 v9, s3, v7
	v_cmp_le_u32_e32 vcc_lo, s3, v7
	v_dual_cndmask_b32 v7, v7, v9 :: v_dual_cndmask_b32 v6, v6, v8
	s_delay_alu instid0(VALU_DEP_1) | instskip(NEXT) | instid1(VALU_DEP_2)
	v_cmp_le_u32_e32 vcc_lo, s3, v7
	v_dual_mov_b32 v7, 0 :: v_dual_add_nc_u32 v8, 1, v6
	s_delay_alu instid0(VALU_DEP_1)
	v_cndmask_b32_e32 v6, v6, v8, vcc_lo
.LBB73_13:
	s_or_b32 exec_lo, exec_lo, s2
	s_load_b256 s[36:43], s[0:1], 0xb0
	v_mul_lo_u32 v5, v5, s34
	v_mul_lo_u32 v10, v4, s35
	v_mad_u64_u32 v[8:9], null, v4, s34, 0
	s_load_b64 s[0:1], s[0:1], 0xd0
	s_delay_alu instid0(VALU_DEP_1) | instskip(NEXT) | instid1(VALU_DEP_2)
	v_add3_u32 v4, v9, v10, v5
	v_sub_co_u32 v8, vcc_lo, v2, v8
	s_delay_alu instid0(VALU_DEP_2)
	v_sub_co_ci_u32_e32 v9, vcc_lo, v3, v4, vcc_lo
	s_waitcnt lgkmcnt(0)
	s_sub_u32 s2, 0, s36
	s_subb_u32 s3, 0, s37
	s_sub_u32 s34, 0, s38
	v_cmp_gt_i64_e64 s50, s[2:3], 0
	s_subb_u32 s35, 0, s39
	v_cmp_gt_i64_e64 s33, s[36:37], 0
	s_sub_u32 s48, 0, s40
	s_subb_u32 s49, 0, s41
	v_cmp_gt_i64_e64 s54, s[34:35], 0
	v_cmp_gt_i64_e64 s52, s[38:39], 0
	;; [unrolled: 1-line block ×4, first 2 shown]
	s_and_b32 s50, s50, exec_lo
	s_cselect_b32 s56, s3, 0
	s_cselect_b32 s57, s2, 0
	s_and_b32 s2, s33, exec_lo
	s_cselect_b32 s51, s37, 0
	s_cselect_b32 s50, s36, 0
	;; [unrolled: 3-line block ×5, first 2 shown]
	s_and_b32 s2, s53, exec_lo
	v_sub_co_u32 v2, vcc_lo, v8, s36
	s_cselect_b32 s3, s41, 0
	s_cselect_b32 s2, s40, 0
	s_add_u32 s48, s20, s36
	v_subrev_co_ci_u32_e32 v3, vcc_lo, s37, v9, vcc_lo
	s_addc_u32 s49, s21, s37
	v_sub_co_u32 v4, vcc_lo, v8, s48
	v_subrev_co_ci_u32_e32 v5, vcc_lo, s49, v9, vcc_lo
	s_delay_alu instid0(VALU_DEP_3) | instskip(NEXT) | instid1(VALU_DEP_3)
	v_ashrrev_i32_e32 v10, 31, v3
	v_add_co_u32 v4, vcc_lo, v4, 1
	s_delay_alu instid0(VALU_DEP_3) | instskip(NEXT) | instid1(VALU_DEP_3)
	v_add_co_ci_u32_e32 v5, vcc_lo, 0, v5, vcc_lo
	v_xor_b32_e32 v2, v2, v10
	v_xor_b32_e32 v3, v3, v10
	s_lshl_b64 s[36:37], s[36:37], 1
	s_delay_alu instid0(VALU_DEP_3) | instskip(SKIP_3) | instid1(VALU_DEP_3)
	v_ashrrev_i32_e32 v11, 31, v5
	s_not_b64 s[48:49], s[50:51]
	v_sub_co_u32 v2, vcc_lo, v2, v10
	v_sub_co_ci_u32_e32 v3, vcc_lo, v3, v10, vcc_lo
	v_xor_b32_e32 v4, v4, v11
	v_xor_b32_e32 v5, v5, v11
	s_add_u32 s36, s36, s48
	s_addc_u32 s37, s37, s49
	s_add_u32 s36, s36, s57
	v_sub_co_u32 v4, vcc_lo, v4, v11
	v_sub_co_ci_u32_e32 v5, vcc_lo, v5, v11, vcc_lo
	v_sub_co_u32 v10, vcc_lo, v0, s38
	s_addc_u32 s37, s37, s56
	s_add_u32 s20, s36, s20
	v_subrev_co_ci_u32_e32 v11, vcc_lo, s39, v1, vcc_lo
	s_addc_u32 s21, s37, s21
	v_add_co_u32 v4, vcc_lo, v8, v4
	s_add_u32 s36, s18, s38
	v_add_co_ci_u32_e32 v5, vcc_lo, v9, v5, vcc_lo
	s_addc_u32 s37, s19, s39
	v_sub_co_u32 v13, vcc_lo, v0, s36
	v_subrev_co_ci_u32_e32 v14, vcc_lo, s37, v1, vcc_lo
	v_ashrrev_i32_e32 v12, 31, v11
	s_delay_alu instid0(VALU_DEP_3) | instskip(NEXT) | instid1(VALU_DEP_3)
	v_add_co_u32 v13, vcc_lo, v13, 1
	v_add_co_ci_u32_e32 v14, vcc_lo, 0, v14, vcc_lo
	s_delay_alu instid0(VALU_DEP_3) | instskip(SKIP_2) | instid1(VALU_DEP_4)
	v_xor_b32_e32 v10, v10, v12
	v_sub_co_u32 v4, vcc_lo, s20, v4
	v_xor_b32_e32 v11, v11, v12
	v_ashrrev_i32_e32 v15, 31, v14
	v_sub_co_ci_u32_e32 v5, vcc_lo, s21, v5, vcc_lo
	v_sub_co_u32 v10, vcc_lo, v10, v12
	s_delay_alu instid0(VALU_DEP_4) | instskip(NEXT) | instid1(VALU_DEP_4)
	v_sub_co_ci_u32_e32 v11, vcc_lo, v11, v12, vcc_lo
	v_xor_b32_e32 v12, v13, v15
	v_xor_b32_e32 v13, v14, v15
	s_lshl_b64 s[20:21], s[38:39], 1
	s_not_b64 s[34:35], s[34:35]
	s_delay_alu instid0(VALU_DEP_2) | instskip(NEXT) | instid1(VALU_DEP_2)
	v_sub_co_u32 v12, vcc_lo, v12, v15
	v_sub_co_ci_u32_e32 v13, vcc_lo, v13, v15, vcc_lo
	s_add_u32 s20, s20, s34
	s_addc_u32 s21, s21, s35
	s_delay_alu instid0(VALU_DEP_2)
	v_add_co_u32 v12, vcc_lo, v0, v12
	s_add_u32 s20, s20, s54
	s_addc_u32 s21, s21, s33
	v_add_co_ci_u32_e32 v13, vcc_lo, v1, v13, vcc_lo
	s_add_u32 s18, s20, s18
	s_addc_u32 s19, s21, s19
	v_sub_co_u32 v12, vcc_lo, s18, v12
	s_delay_alu instid0(VALU_DEP_2) | instskip(SKIP_2) | instid1(VALU_DEP_4)
	v_sub_co_ci_u32_e32 v13, vcc_lo, s19, v13, vcc_lo
	v_add_co_u32 v14, vcc_lo, v4, v2
	v_add_co_ci_u32_e32 v15, vcc_lo, v5, v3, vcc_lo
	v_add_co_u32 v10, vcc_lo, v12, v10
	s_delay_alu instid0(VALU_DEP_4)
	v_add_co_ci_u32_e32 v11, vcc_lo, v13, v11, vcc_lo
	v_sub_co_u32 v2, vcc_lo, v6, s40
	s_add_u32 s18, s16, s40
	v_subrev_co_ci_u32_e32 v3, vcc_lo, s41, v7, vcc_lo
	s_addc_u32 s19, s17, s41
	v_sub_co_u32 v4, vcc_lo, v6, s18
	v_subrev_co_ci_u32_e32 v5, vcc_lo, s19, v7, vcc_lo
	s_delay_alu instid0(VALU_DEP_3) | instskip(NEXT) | instid1(VALU_DEP_3)
	v_ashrrev_i32_e32 v12, 31, v3
	v_add_co_u32 v4, vcc_lo, v4, 1
	s_delay_alu instid0(VALU_DEP_3) | instskip(NEXT) | instid1(VALU_DEP_3)
	v_add_co_ci_u32_e32 v5, vcc_lo, 0, v5, vcc_lo
	v_xor_b32_e32 v2, v2, v12
	v_xor_b32_e32 v3, v3, v12
	s_lshl_b64 s[18:19], s[40:41], 1
	s_delay_alu instid0(VALU_DEP_3) | instskip(SKIP_3) | instid1(VALU_DEP_2)
	v_ashrrev_i32_e32 v13, 31, v5
	s_not_b64 s[2:3], s[2:3]
	v_sub_co_u32 v16, vcc_lo, v2, v12
	s_add_u32 s2, s18, s2
	v_xor_b32_e32 v2, v4, v13
	v_sub_co_ci_u32_e32 v12, vcc_lo, v3, v12, vcc_lo
	v_xor_b32_e32 v3, v5, v13
	s_addc_u32 s3, s19, s3
	s_add_u32 s2, s2, s55
	s_addc_u32 s3, s3, s52
	v_sub_co_u32 v2, vcc_lo, v2, v13
	s_add_u32 s2, s2, s16
	s_addc_u32 s3, s3, s17
	v_sub_co_ci_u32_e32 v3, vcc_lo, v3, v13, vcc_lo
	s_add_u32 s14, s14, s42
	s_addc_u32 s16, 0, s43
	s_add_u32 s15, s15, s0
	v_add_co_u32 v4, vcc_lo, v6, v2
	s_addc_u32 s17, 0, s1
	v_add_co_ci_u32_e32 v5, vcc_lo, v7, v3, vcc_lo
	v_mul_lo_u32 v7, v7, s8
	v_mul_lo_u32 v13, v6, s9
	v_mad_u64_u32 v[2:3], null, v6, s8, 0
	s_mul_i32 s0, s4, s17
	s_mul_hi_u32 s1, s4, s15
	v_sub_co_u32 v6, vcc_lo, s2, v4
	s_add_i32 s0, s1, s0
	s_mul_i32 s1, s5, s15
	v_sub_co_ci_u32_e32 v17, vcc_lo, s3, v5, vcc_lo
	s_add_i32 s1, s0, s1
	s_mul_i32 s0, s4, s15
	v_add3_u32 v3, v3, v13, v7
	s_lshl_b64 s[0:1], s[0:1], 1
	v_mul_lo_u32 v7, v1, s10
	v_mul_lo_u32 v13, v0, s11
	v_mad_u64_u32 v[4:5], null, v0, s10, 0
	s_add_u32 s4, s46, s0
	s_mul_i32 s0, s6, s16
	s_mul_hi_u32 s5, s6, s14
	s_addc_u32 s18, s47, s1
	s_add_i32 s0, s5, s0
	s_mul_i32 s1, s7, s14
	v_lshlrev_b64 v[0:1], 1, v[2:3]
	s_add_i32 s1, s0, s1
	s_mul_i32 s0, s6, s14
	v_add_co_u32 v6, vcc_lo, v6, v16
	s_lshl_b64 s[0:1], s[0:1], 1
	v_add3_u32 v5, v5, v13, v7
	s_add_u32 s0, s4, s0
	v_add_co_ci_u32_e32 v12, vcc_lo, v17, v12, vcc_lo
	s_addc_u32 s1, s18, s1
	v_add_co_u32 v7, vcc_lo, s0, v0
	v_add_co_ci_u32_e32 v13, vcc_lo, s1, v1, vcc_lo
	v_lshlrev_b64 v[0:1], 1, v[4:5]
	v_mul_lo_u32 v4, v9, s12
	v_mul_lo_u32 v5, v8, s13
	v_mad_u64_u32 v[2:3], null, v8, s12, 0
	s_mul_i32 s0, s22, s17
	s_delay_alu instid0(VALU_DEP_4)
	v_add_co_u32 v8, vcc_lo, v7, v0
	s_mul_hi_u32 s1, s22, s15
	v_add_co_ci_u32_e32 v9, vcc_lo, v13, v1, vcc_lo
	v_mul_lo_u32 v7, v12, s26
	v_mul_lo_u32 v12, v6, s27
	v_mad_u64_u32 v[0:1], null, v6, s26, 0
	s_add_i32 s0, s1, s0
	s_mul_i32 s1, s23, s15
	v_add3_u32 v3, v3, v5, v4
	s_add_i32 s1, s0, s1
	s_mul_i32 s0, s22, s15
	v_mul_lo_u32 v11, v11, s28
	v_mul_lo_u32 v13, v10, s29
	v_mad_u64_u32 v[4:5], null, v10, s28, 0
	s_lshl_b64 s[0:1], s[0:1], 1
	v_add3_u32 v1, v1, v12, v7
	s_add_u32 s2, s44, s0
	s_addc_u32 s3, s45, s1
	s_mul_i32 s0, s24, s16
	s_mul_hi_u32 s1, s24, s14
	v_mul_lo_u32 v10, v15, s30
	v_mul_lo_u32 v12, v14, s31
	v_mad_u64_u32 v[6:7], null, v14, s30, 0
	s_add_i32 s0, s1, s0
	s_mul_i32 s1, s25, s14
	v_add3_u32 v5, v5, v13, v11
	s_add_i32 s1, s0, s1
	s_mul_i32 s0, s24, s14
	v_lshlrev_b64 v[0:1], 1, v[0:1]
	s_lshl_b64 s[0:1], s[0:1], 1
	v_lshlrev_b64 v[4:5], 1, v[4:5]
	s_add_u32 s0, s2, s0
	v_add3_u32 v7, v7, v12, v10
	s_addc_u32 s1, s3, s1
	v_add_co_u32 v10, vcc_lo, s0, v0
	v_add_co_ci_u32_e32 v11, vcc_lo, s1, v1, vcc_lo
	s_delay_alu instid0(VALU_DEP_3) | instskip(NEXT) | instid1(VALU_DEP_3)
	v_lshlrev_b64 v[0:1], 1, v[6:7]
	v_add_co_u32 v4, vcc_lo, v10, v4
	v_lshlrev_b64 v[2:3], 1, v[2:3]
	s_delay_alu instid0(VALU_DEP_4) | instskip(NEXT) | instid1(VALU_DEP_3)
	v_add_co_ci_u32_e32 v5, vcc_lo, v11, v5, vcc_lo
	v_add_co_u32 v4, vcc_lo, v4, v0
	s_mov_b32 s2, 0
	s_delay_alu instid0(VALU_DEP_3) | instskip(NEXT) | instid1(VALU_DEP_1)
	v_add_co_u32 v2, s0, v8, v2
	v_add_co_ci_u32_e64 v3, s0, v9, v3, s0
	v_add_co_ci_u32_e32 v1, vcc_lo, v5, v1, vcc_lo
	v_dual_mov_b32 v5, 0 :: v_dual_and_b32 v0, -3, v4
	global_load_u16 v2, v[2:3], off
	global_load_b32 v3, v[0:1], off
	v_and_b32_e32 v4, 2, v4
	s_delay_alu instid0(VALU_DEP_1)
	v_cmp_eq_u64_e32 vcc_lo, 0, v[4:5]
	v_cmp_ne_u32_e64 s0, 0, v4
	s_waitcnt vmcnt(1)
	v_lshlrev_b32_e32 v4, 16, v2
	s_set_inst_prefetch_distance 0x1
	s_branch .LBB73_15
	.p2align	6
.LBB73_14:                              ;   in Loop: Header=BB73_15 Depth=1
	s_or_b32 exec_lo, exec_lo, s1
	global_atomic_cmpswap_b32 v2, v[0:1], v[2:3], off glc
	s_waitcnt vmcnt(0)
	v_cmp_eq_u32_e64 s1, v3, v2
	v_mov_b32_e32 v3, v2
	s_delay_alu instid0(VALU_DEP_2) | instskip(NEXT) | instid1(SALU_CYCLE_1)
	s_or_b32 s2, s1, s2
	s_and_not1_b32 exec_lo, exec_lo, s2
	s_cbranch_execz .LBB73_19
.LBB73_15:                              ; =>This Inner Loop Header: Depth=1
	s_waitcnt vmcnt(0)
	v_lshrrev_b32_e32 v2, 16, v3
	s_delay_alu instid0(VALU_DEP_1) | instskip(NEXT) | instid1(VALU_DEP_1)
	v_cndmask_b32_e32 v2, v2, v3, vcc_lo
	v_lshlrev_b32_e32 v2, 16, v2
	s_delay_alu instid0(VALU_DEP_1) | instskip(NEXT) | instid1(VALU_DEP_1)
	v_add_f32_e32 v2, v4, v2
	v_bfe_u32 v5, v2, 16, 1
	v_cmp_o_f32_e64 s1, v2, v2
	s_delay_alu instid0(VALU_DEP_2) | instskip(NEXT) | instid1(VALU_DEP_1)
	v_add3_u32 v5, v2, v5, 0x7fff
	v_lshrrev_b32_e32 v5, 16, v5
	s_delay_alu instid0(VALU_DEP_1) | instskip(SKIP_1) | instid1(SALU_CYCLE_1)
	v_cndmask_b32_e64 v5, 0x7fc0, v5, s1
	s_and_saveexec_b32 s1, s0
	s_xor_b32 s1, exec_lo, s1
; %bb.16:                               ;   in Loop: Header=BB73_15 Depth=1
	v_and_b32_e32 v2, 0xffff, v3
	s_delay_alu instid0(VALU_DEP_1)
	v_lshl_or_b32 v2, v5, 16, v2
                                        ; implicit-def: $vgpr5
; %bb.17:                               ;   in Loop: Header=BB73_15 Depth=1
	s_and_not1_saveexec_b32 s1, s1
	s_cbranch_execz .LBB73_14
; %bb.18:                               ;   in Loop: Header=BB73_15 Depth=1
	v_and_or_b32 v2, 0xffff0000, v3, v5
	s_branch .LBB73_14
.LBB73_19:
	s_set_inst_prefetch_distance 0x2
	s_endpgm
	.section	.rodata,"a",@progbits
	.p2align	6, 0x0
	.amdhsa_kernel _ZN2at6native12_GLOBAL__N_136reflection_pad3d_backward_out_kernelIN3c108BFloat16EEEvN5torch10headeronly6detail27GenericPackedTensorAccessorINS7_14TensorAccessorINS3_8ArrayRefIlEET_Lm4ENS6_16DefaultPtrTraitsElEENS_6detail16IndexBoundsCheckILm5ElEESC_Lm5ESD_lEENS8_INS9_ISB_KSC_Lm4ESD_lEESH_SJ_Lm5ESD_lEElllll
		.amdhsa_group_segment_fixed_size 0
		.amdhsa_private_segment_fixed_size 0
		.amdhsa_kernarg_size 472
		.amdhsa_user_sgpr_count 13
		.amdhsa_user_sgpr_dispatch_ptr 0
		.amdhsa_user_sgpr_queue_ptr 0
		.amdhsa_user_sgpr_kernarg_segment_ptr 1
		.amdhsa_user_sgpr_dispatch_id 0
		.amdhsa_user_sgpr_private_segment_size 0
		.amdhsa_wavefront_size32 1
		.amdhsa_uses_dynamic_stack 0
		.amdhsa_enable_private_segment 0
		.amdhsa_system_sgpr_workgroup_id_x 1
		.amdhsa_system_sgpr_workgroup_id_y 1
		.amdhsa_system_sgpr_workgroup_id_z 1
		.amdhsa_system_sgpr_workgroup_info 0
		.amdhsa_system_vgpr_workitem_id 0
		.amdhsa_next_free_vgpr 18
		.amdhsa_next_free_sgpr 58
		.amdhsa_reserve_vcc 1
		.amdhsa_float_round_mode_32 0
		.amdhsa_float_round_mode_16_64 0
		.amdhsa_float_denorm_mode_32 3
		.amdhsa_float_denorm_mode_16_64 3
		.amdhsa_dx10_clamp 1
		.amdhsa_ieee_mode 1
		.amdhsa_fp16_overflow 0
		.amdhsa_workgroup_processor_mode 1
		.amdhsa_memory_ordered 1
		.amdhsa_forward_progress 0
		.amdhsa_shared_vgpr_count 0
		.amdhsa_exception_fp_ieee_invalid_op 0
		.amdhsa_exception_fp_denorm_src 0
		.amdhsa_exception_fp_ieee_div_zero 0
		.amdhsa_exception_fp_ieee_overflow 0
		.amdhsa_exception_fp_ieee_underflow 0
		.amdhsa_exception_fp_ieee_inexact 0
		.amdhsa_exception_int_div_zero 0
	.end_amdhsa_kernel
	.section	.text._ZN2at6native12_GLOBAL__N_136reflection_pad3d_backward_out_kernelIN3c108BFloat16EEEvN5torch10headeronly6detail27GenericPackedTensorAccessorINS7_14TensorAccessorINS3_8ArrayRefIlEET_Lm4ENS6_16DefaultPtrTraitsElEENS_6detail16IndexBoundsCheckILm5ElEESC_Lm5ESD_lEENS8_INS9_ISB_KSC_Lm4ESD_lEESH_SJ_Lm5ESD_lEElllll,"axG",@progbits,_ZN2at6native12_GLOBAL__N_136reflection_pad3d_backward_out_kernelIN3c108BFloat16EEEvN5torch10headeronly6detail27GenericPackedTensorAccessorINS7_14TensorAccessorINS3_8ArrayRefIlEET_Lm4ENS6_16DefaultPtrTraitsElEENS_6detail16IndexBoundsCheckILm5ElEESC_Lm5ESD_lEENS8_INS9_ISB_KSC_Lm4ESD_lEESH_SJ_Lm5ESD_lEElllll,comdat
.Lfunc_end73:
	.size	_ZN2at6native12_GLOBAL__N_136reflection_pad3d_backward_out_kernelIN3c108BFloat16EEEvN5torch10headeronly6detail27GenericPackedTensorAccessorINS7_14TensorAccessorINS3_8ArrayRefIlEET_Lm4ENS6_16DefaultPtrTraitsElEENS_6detail16IndexBoundsCheckILm5ElEESC_Lm5ESD_lEENS8_INS9_ISB_KSC_Lm4ESD_lEESH_SJ_Lm5ESD_lEElllll, .Lfunc_end73-_ZN2at6native12_GLOBAL__N_136reflection_pad3d_backward_out_kernelIN3c108BFloat16EEEvN5torch10headeronly6detail27GenericPackedTensorAccessorINS7_14TensorAccessorINS3_8ArrayRefIlEET_Lm4ENS6_16DefaultPtrTraitsElEENS_6detail16IndexBoundsCheckILm5ElEESC_Lm5ESD_lEENS8_INS9_ISB_KSC_Lm4ESD_lEESH_SJ_Lm5ESD_lEElllll
                                        ; -- End function
	.section	.AMDGPU.csdata,"",@progbits
; Kernel info:
; codeLenInByte = 4648
; NumSgprs: 60
; NumVgprs: 18
; ScratchSize: 0
; MemoryBound: 0
; FloatMode: 240
; IeeeMode: 1
; LDSByteSize: 0 bytes/workgroup (compile time only)
; SGPRBlocks: 7
; VGPRBlocks: 2
; NumSGPRsForWavesPerEU: 60
; NumVGPRsForWavesPerEU: 18
; Occupancy: 16
; WaveLimiterHint : 0
; COMPUTE_PGM_RSRC2:SCRATCH_EN: 0
; COMPUTE_PGM_RSRC2:USER_SGPR: 13
; COMPUTE_PGM_RSRC2:TRAP_HANDLER: 0
; COMPUTE_PGM_RSRC2:TGID_X_EN: 1
; COMPUTE_PGM_RSRC2:TGID_Y_EN: 1
; COMPUTE_PGM_RSRC2:TGID_Z_EN: 1
; COMPUTE_PGM_RSRC2:TIDIG_COMP_CNT: 0
	.text
	.p2alignl 7, 3214868480
	.fill 96, 4, 3214868480
	.type	__hip_cuid_f5c975caa485ed55,@object ; @__hip_cuid_f5c975caa485ed55
	.section	.bss,"aw",@nobits
	.globl	__hip_cuid_f5c975caa485ed55
__hip_cuid_f5c975caa485ed55:
	.byte	0                               ; 0x0
	.size	__hip_cuid_f5c975caa485ed55, 1

	.ident	"AMD clang version 19.0.0git (https://github.com/RadeonOpenCompute/llvm-project roc-6.4.0 25133 c7fe45cf4b819c5991fe208aaa96edf142730f1d)"
	.section	".note.GNU-stack","",@progbits
	.addrsig
	.addrsig_sym __hip_cuid_f5c975caa485ed55
	.amdgpu_metadata
---
amdhsa.kernels:
  - .args:
      - .address_space:  global
        .offset:         0
        .size:           8
        .value_kind:     global_buffer
      - .address_space:  global
        .offset:         8
        .size:           8
        .value_kind:     global_buffer
      - .offset:         16
        .size:           8
        .value_kind:     by_value
      - .offset:         24
        .size:           8
        .value_kind:     by_value
      - .offset:         32
        .size:           4
        .value_kind:     by_value
      - .offset:         36
        .size:           4
        .value_kind:     by_value
      - .offset:         40
        .size:           4
        .value_kind:     by_value
      - .offset:         44
        .size:           4
        .value_kind:     by_value
      - .offset:         48
        .size:           4
        .value_kind:     by_value
      - .offset:         52
        .size:           4
        .value_kind:     by_value
      - .offset:         56
        .size:           4
        .value_kind:     by_value
      - .offset:         64
        .size:           4
        .value_kind:     hidden_block_count_x
      - .offset:         68
        .size:           4
        .value_kind:     hidden_block_count_y
      - .offset:         72
        .size:           4
        .value_kind:     hidden_block_count_z
      - .offset:         76
        .size:           2
        .value_kind:     hidden_group_size_x
      - .offset:         78
        .size:           2
        .value_kind:     hidden_group_size_y
      - .offset:         80
        .size:           2
        .value_kind:     hidden_group_size_z
      - .offset:         82
        .size:           2
        .value_kind:     hidden_remainder_x
      - .offset:         84
        .size:           2
        .value_kind:     hidden_remainder_y
      - .offset:         86
        .size:           2
        .value_kind:     hidden_remainder_z
      - .offset:         104
        .size:           8
        .value_kind:     hidden_global_offset_x
      - .offset:         112
        .size:           8
        .value_kind:     hidden_global_offset_y
      - .offset:         120
        .size:           8
        .value_kind:     hidden_global_offset_z
      - .offset:         128
        .size:           2
        .value_kind:     hidden_grid_dims
    .group_segment_fixed_size: 0
    .kernarg_segment_align: 8
    .kernarg_segment_size: 320
    .language:       OpenCL C
    .language_version:
      - 2
      - 0
    .max_flat_workgroup_size: 1024
    .name:           _ZN2at6native12_GLOBAL__N_127reflection_pad2d_out_kernelIhEEvPKT_PS3_lliiiiiii
    .private_segment_fixed_size: 0
    .sgpr_count:     36
    .sgpr_spill_count: 0
    .symbol:         _ZN2at6native12_GLOBAL__N_127reflection_pad2d_out_kernelIhEEvPKT_PS3_lliiiiiii.kd
    .uniform_work_group_size: 1
    .uses_dynamic_stack: false
    .vgpr_count:     15
    .vgpr_spill_count: 0
    .wavefront_size: 32
    .workgroup_processor_mode: 1
  - .args:
      - .address_space:  global
        .offset:         0
        .size:           8
        .value_kind:     global_buffer
      - .address_space:  global
        .offset:         8
        .size:           8
        .value_kind:     global_buffer
      - .offset:         16
        .size:           8
        .value_kind:     by_value
      - .offset:         24
        .size:           8
        .value_kind:     by_value
      - .offset:         32
        .size:           4
        .value_kind:     by_value
      - .offset:         36
        .size:           4
        .value_kind:     by_value
      - .offset:         40
        .size:           4
        .value_kind:     by_value
      - .offset:         44
        .size:           4
        .value_kind:     by_value
      - .offset:         48
        .size:           4
        .value_kind:     by_value
      - .offset:         52
        .size:           4
        .value_kind:     by_value
      - .offset:         56
        .size:           4
        .value_kind:     by_value
      - .offset:         64
        .size:           4
        .value_kind:     hidden_block_count_x
      - .offset:         68
        .size:           4
        .value_kind:     hidden_block_count_y
      - .offset:         72
        .size:           4
        .value_kind:     hidden_block_count_z
      - .offset:         76
        .size:           2
        .value_kind:     hidden_group_size_x
      - .offset:         78
        .size:           2
        .value_kind:     hidden_group_size_y
      - .offset:         80
        .size:           2
        .value_kind:     hidden_group_size_z
      - .offset:         82
        .size:           2
        .value_kind:     hidden_remainder_x
      - .offset:         84
        .size:           2
        .value_kind:     hidden_remainder_y
      - .offset:         86
        .size:           2
        .value_kind:     hidden_remainder_z
      - .offset:         104
        .size:           8
        .value_kind:     hidden_global_offset_x
      - .offset:         112
        .size:           8
        .value_kind:     hidden_global_offset_y
      - .offset:         120
        .size:           8
        .value_kind:     hidden_global_offset_z
      - .offset:         128
        .size:           2
        .value_kind:     hidden_grid_dims
    .group_segment_fixed_size: 0
    .kernarg_segment_align: 8
    .kernarg_segment_size: 320
    .language:       OpenCL C
    .language_version:
      - 2
      - 0
    .max_flat_workgroup_size: 1024
    .name:           _ZN2at6native12_GLOBAL__N_127reflection_pad2d_out_kernelIaEEvPKT_PS3_lliiiiiii
    .private_segment_fixed_size: 0
    .sgpr_count:     36
    .sgpr_spill_count: 0
    .symbol:         _ZN2at6native12_GLOBAL__N_127reflection_pad2d_out_kernelIaEEvPKT_PS3_lliiiiiii.kd
    .uniform_work_group_size: 1
    .uses_dynamic_stack: false
    .vgpr_count:     15
    .vgpr_spill_count: 0
    .wavefront_size: 32
    .workgroup_processor_mode: 1
  - .args:
      - .address_space:  global
        .offset:         0
        .size:           8
        .value_kind:     global_buffer
      - .address_space:  global
        .offset:         8
        .size:           8
        .value_kind:     global_buffer
      - .offset:         16
        .size:           8
        .value_kind:     by_value
      - .offset:         24
        .size:           8
        .value_kind:     by_value
      - .offset:         32
        .size:           4
        .value_kind:     by_value
      - .offset:         36
        .size:           4
        .value_kind:     by_value
      - .offset:         40
        .size:           4
        .value_kind:     by_value
      - .offset:         44
        .size:           4
        .value_kind:     by_value
      - .offset:         48
        .size:           4
        .value_kind:     by_value
      - .offset:         52
        .size:           4
        .value_kind:     by_value
      - .offset:         56
        .size:           4
        .value_kind:     by_value
      - .offset:         64
        .size:           4
        .value_kind:     hidden_block_count_x
      - .offset:         68
        .size:           4
        .value_kind:     hidden_block_count_y
      - .offset:         72
        .size:           4
        .value_kind:     hidden_block_count_z
      - .offset:         76
        .size:           2
        .value_kind:     hidden_group_size_x
      - .offset:         78
        .size:           2
        .value_kind:     hidden_group_size_y
      - .offset:         80
        .size:           2
        .value_kind:     hidden_group_size_z
      - .offset:         82
        .size:           2
        .value_kind:     hidden_remainder_x
      - .offset:         84
        .size:           2
        .value_kind:     hidden_remainder_y
      - .offset:         86
        .size:           2
        .value_kind:     hidden_remainder_z
      - .offset:         104
        .size:           8
        .value_kind:     hidden_global_offset_x
      - .offset:         112
        .size:           8
        .value_kind:     hidden_global_offset_y
      - .offset:         120
        .size:           8
        .value_kind:     hidden_global_offset_z
      - .offset:         128
        .size:           2
        .value_kind:     hidden_grid_dims
    .group_segment_fixed_size: 0
    .kernarg_segment_align: 8
    .kernarg_segment_size: 320
    .language:       OpenCL C
    .language_version:
      - 2
      - 0
    .max_flat_workgroup_size: 1024
    .name:           _ZN2at6native12_GLOBAL__N_127reflection_pad2d_out_kernelIiEEvPKT_PS3_lliiiiiii
    .private_segment_fixed_size: 0
    .sgpr_count:     36
    .sgpr_spill_count: 0
    .symbol:         _ZN2at6native12_GLOBAL__N_127reflection_pad2d_out_kernelIiEEvPKT_PS3_lliiiiiii.kd
    .uniform_work_group_size: 1
    .uses_dynamic_stack: false
    .vgpr_count:     16
    .vgpr_spill_count: 0
    .wavefront_size: 32
    .workgroup_processor_mode: 1
  - .args:
      - .address_space:  global
        .offset:         0
        .size:           8
        .value_kind:     global_buffer
      - .address_space:  global
        .offset:         8
        .size:           8
        .value_kind:     global_buffer
      - .offset:         16
        .size:           8
        .value_kind:     by_value
      - .offset:         24
        .size:           8
        .value_kind:     by_value
      - .offset:         32
        .size:           4
        .value_kind:     by_value
      - .offset:         36
        .size:           4
        .value_kind:     by_value
      - .offset:         40
        .size:           4
        .value_kind:     by_value
      - .offset:         44
        .size:           4
        .value_kind:     by_value
      - .offset:         48
        .size:           4
        .value_kind:     by_value
      - .offset:         52
        .size:           4
        .value_kind:     by_value
      - .offset:         56
        .size:           4
        .value_kind:     by_value
      - .offset:         64
        .size:           4
        .value_kind:     hidden_block_count_x
      - .offset:         68
        .size:           4
        .value_kind:     hidden_block_count_y
      - .offset:         72
        .size:           4
        .value_kind:     hidden_block_count_z
      - .offset:         76
        .size:           2
        .value_kind:     hidden_group_size_x
      - .offset:         78
        .size:           2
        .value_kind:     hidden_group_size_y
      - .offset:         80
        .size:           2
        .value_kind:     hidden_group_size_z
      - .offset:         82
        .size:           2
        .value_kind:     hidden_remainder_x
      - .offset:         84
        .size:           2
        .value_kind:     hidden_remainder_y
      - .offset:         86
        .size:           2
        .value_kind:     hidden_remainder_z
      - .offset:         104
        .size:           8
        .value_kind:     hidden_global_offset_x
      - .offset:         112
        .size:           8
        .value_kind:     hidden_global_offset_y
      - .offset:         120
        .size:           8
        .value_kind:     hidden_global_offset_z
      - .offset:         128
        .size:           2
        .value_kind:     hidden_grid_dims
    .group_segment_fixed_size: 0
    .kernarg_segment_align: 8
    .kernarg_segment_size: 320
    .language:       OpenCL C
    .language_version:
      - 2
      - 0
    .max_flat_workgroup_size: 1024
    .name:           _ZN2at6native12_GLOBAL__N_127reflection_pad2d_out_kernelIlEEvPKT_PS3_lliiiiiii
    .private_segment_fixed_size: 0
    .sgpr_count:     36
    .sgpr_spill_count: 0
    .symbol:         _ZN2at6native12_GLOBAL__N_127reflection_pad2d_out_kernelIlEEvPKT_PS3_lliiiiiii.kd
    .uniform_work_group_size: 1
    .uses_dynamic_stack: false
    .vgpr_count:     16
    .vgpr_spill_count: 0
    .wavefront_size: 32
    .workgroup_processor_mode: 1
  - .args:
      - .address_space:  global
        .offset:         0
        .size:           8
        .value_kind:     global_buffer
      - .address_space:  global
        .offset:         8
        .size:           8
        .value_kind:     global_buffer
      - .offset:         16
        .size:           8
        .value_kind:     by_value
      - .offset:         24
        .size:           8
        .value_kind:     by_value
      - .offset:         32
        .size:           4
        .value_kind:     by_value
      - .offset:         36
        .size:           4
        .value_kind:     by_value
      - .offset:         40
        .size:           4
        .value_kind:     by_value
      - .offset:         44
        .size:           4
        .value_kind:     by_value
      - .offset:         48
        .size:           4
        .value_kind:     by_value
      - .offset:         52
        .size:           4
        .value_kind:     by_value
      - .offset:         56
        .size:           4
        .value_kind:     by_value
      - .offset:         64
        .size:           4
        .value_kind:     hidden_block_count_x
      - .offset:         68
        .size:           4
        .value_kind:     hidden_block_count_y
      - .offset:         72
        .size:           4
        .value_kind:     hidden_block_count_z
      - .offset:         76
        .size:           2
        .value_kind:     hidden_group_size_x
      - .offset:         78
        .size:           2
        .value_kind:     hidden_group_size_y
      - .offset:         80
        .size:           2
        .value_kind:     hidden_group_size_z
      - .offset:         82
        .size:           2
        .value_kind:     hidden_remainder_x
      - .offset:         84
        .size:           2
        .value_kind:     hidden_remainder_y
      - .offset:         86
        .size:           2
        .value_kind:     hidden_remainder_z
      - .offset:         104
        .size:           8
        .value_kind:     hidden_global_offset_x
      - .offset:         112
        .size:           8
        .value_kind:     hidden_global_offset_y
      - .offset:         120
        .size:           8
        .value_kind:     hidden_global_offset_z
      - .offset:         128
        .size:           2
        .value_kind:     hidden_grid_dims
    .group_segment_fixed_size: 0
    .kernarg_segment_align: 8
    .kernarg_segment_size: 320
    .language:       OpenCL C
    .language_version:
      - 2
      - 0
    .max_flat_workgroup_size: 1024
    .name:           _ZN2at6native12_GLOBAL__N_127reflection_pad2d_out_kernelIsEEvPKT_PS3_lliiiiiii
    .private_segment_fixed_size: 0
    .sgpr_count:     36
    .sgpr_spill_count: 0
    .symbol:         _ZN2at6native12_GLOBAL__N_127reflection_pad2d_out_kernelIsEEvPKT_PS3_lliiiiiii.kd
    .uniform_work_group_size: 1
    .uses_dynamic_stack: false
    .vgpr_count:     16
    .vgpr_spill_count: 0
    .wavefront_size: 32
    .workgroup_processor_mode: 1
  - .args:
      - .address_space:  global
        .offset:         0
        .size:           8
        .value_kind:     global_buffer
      - .address_space:  global
        .offset:         8
        .size:           8
        .value_kind:     global_buffer
      - .offset:         16
        .size:           8
        .value_kind:     by_value
      - .offset:         24
        .size:           8
        .value_kind:     by_value
      - .offset:         32
        .size:           4
        .value_kind:     by_value
      - .offset:         36
        .size:           4
        .value_kind:     by_value
      - .offset:         40
        .size:           4
        .value_kind:     by_value
      - .offset:         44
        .size:           4
        .value_kind:     by_value
      - .offset:         48
        .size:           4
        .value_kind:     by_value
      - .offset:         52
        .size:           4
        .value_kind:     by_value
      - .offset:         56
        .size:           4
        .value_kind:     by_value
      - .offset:         64
        .size:           4
        .value_kind:     hidden_block_count_x
      - .offset:         68
        .size:           4
        .value_kind:     hidden_block_count_y
      - .offset:         72
        .size:           4
        .value_kind:     hidden_block_count_z
      - .offset:         76
        .size:           2
        .value_kind:     hidden_group_size_x
      - .offset:         78
        .size:           2
        .value_kind:     hidden_group_size_y
      - .offset:         80
        .size:           2
        .value_kind:     hidden_group_size_z
      - .offset:         82
        .size:           2
        .value_kind:     hidden_remainder_x
      - .offset:         84
        .size:           2
        .value_kind:     hidden_remainder_y
      - .offset:         86
        .size:           2
        .value_kind:     hidden_remainder_z
      - .offset:         104
        .size:           8
        .value_kind:     hidden_global_offset_x
      - .offset:         112
        .size:           8
        .value_kind:     hidden_global_offset_y
      - .offset:         120
        .size:           8
        .value_kind:     hidden_global_offset_z
      - .offset:         128
        .size:           2
        .value_kind:     hidden_grid_dims
    .group_segment_fixed_size: 0
    .kernarg_segment_align: 8
    .kernarg_segment_size: 320
    .language:       OpenCL C
    .language_version:
      - 2
      - 0
    .max_flat_workgroup_size: 1024
    .name:           _ZN2at6native12_GLOBAL__N_127reflection_pad2d_out_kernelIdEEvPKT_PS3_lliiiiiii
    .private_segment_fixed_size: 0
    .sgpr_count:     36
    .sgpr_spill_count: 0
    .symbol:         _ZN2at6native12_GLOBAL__N_127reflection_pad2d_out_kernelIdEEvPKT_PS3_lliiiiiii.kd
    .uniform_work_group_size: 1
    .uses_dynamic_stack: false
    .vgpr_count:     16
    .vgpr_spill_count: 0
    .wavefront_size: 32
    .workgroup_processor_mode: 1
  - .args:
      - .address_space:  global
        .offset:         0
        .size:           8
        .value_kind:     global_buffer
      - .address_space:  global
        .offset:         8
        .size:           8
        .value_kind:     global_buffer
      - .offset:         16
        .size:           8
        .value_kind:     by_value
      - .offset:         24
        .size:           8
        .value_kind:     by_value
      - .offset:         32
        .size:           4
        .value_kind:     by_value
      - .offset:         36
        .size:           4
        .value_kind:     by_value
      - .offset:         40
        .size:           4
        .value_kind:     by_value
      - .offset:         44
        .size:           4
        .value_kind:     by_value
      - .offset:         48
        .size:           4
        .value_kind:     by_value
      - .offset:         52
        .size:           4
        .value_kind:     by_value
      - .offset:         56
        .size:           4
        .value_kind:     by_value
      - .offset:         64
        .size:           4
        .value_kind:     hidden_block_count_x
      - .offset:         68
        .size:           4
        .value_kind:     hidden_block_count_y
      - .offset:         72
        .size:           4
        .value_kind:     hidden_block_count_z
      - .offset:         76
        .size:           2
        .value_kind:     hidden_group_size_x
      - .offset:         78
        .size:           2
        .value_kind:     hidden_group_size_y
      - .offset:         80
        .size:           2
        .value_kind:     hidden_group_size_z
      - .offset:         82
        .size:           2
        .value_kind:     hidden_remainder_x
      - .offset:         84
        .size:           2
        .value_kind:     hidden_remainder_y
      - .offset:         86
        .size:           2
        .value_kind:     hidden_remainder_z
      - .offset:         104
        .size:           8
        .value_kind:     hidden_global_offset_x
      - .offset:         112
        .size:           8
        .value_kind:     hidden_global_offset_y
      - .offset:         120
        .size:           8
        .value_kind:     hidden_global_offset_z
      - .offset:         128
        .size:           2
        .value_kind:     hidden_grid_dims
    .group_segment_fixed_size: 0
    .kernarg_segment_align: 8
    .kernarg_segment_size: 320
    .language:       OpenCL C
    .language_version:
      - 2
      - 0
    .max_flat_workgroup_size: 1024
    .name:           _ZN2at6native12_GLOBAL__N_127reflection_pad2d_out_kernelIfEEvPKT_PS3_lliiiiiii
    .private_segment_fixed_size: 0
    .sgpr_count:     36
    .sgpr_spill_count: 0
    .symbol:         _ZN2at6native12_GLOBAL__N_127reflection_pad2d_out_kernelIfEEvPKT_PS3_lliiiiiii.kd
    .uniform_work_group_size: 1
    .uses_dynamic_stack: false
    .vgpr_count:     16
    .vgpr_spill_count: 0
    .wavefront_size: 32
    .workgroup_processor_mode: 1
  - .args:
      - .address_space:  global
        .offset:         0
        .size:           8
        .value_kind:     global_buffer
      - .address_space:  global
        .offset:         8
        .size:           8
        .value_kind:     global_buffer
      - .offset:         16
        .size:           8
        .value_kind:     by_value
      - .offset:         24
        .size:           8
        .value_kind:     by_value
      - .offset:         32
        .size:           4
        .value_kind:     by_value
      - .offset:         36
        .size:           4
        .value_kind:     by_value
      - .offset:         40
        .size:           4
        .value_kind:     by_value
      - .offset:         44
        .size:           4
        .value_kind:     by_value
      - .offset:         48
        .size:           4
        .value_kind:     by_value
      - .offset:         52
        .size:           4
        .value_kind:     by_value
      - .offset:         56
        .size:           4
        .value_kind:     by_value
      - .offset:         64
        .size:           4
        .value_kind:     hidden_block_count_x
      - .offset:         68
        .size:           4
        .value_kind:     hidden_block_count_y
      - .offset:         72
        .size:           4
        .value_kind:     hidden_block_count_z
      - .offset:         76
        .size:           2
        .value_kind:     hidden_group_size_x
      - .offset:         78
        .size:           2
        .value_kind:     hidden_group_size_y
      - .offset:         80
        .size:           2
        .value_kind:     hidden_group_size_z
      - .offset:         82
        .size:           2
        .value_kind:     hidden_remainder_x
      - .offset:         84
        .size:           2
        .value_kind:     hidden_remainder_y
      - .offset:         86
        .size:           2
        .value_kind:     hidden_remainder_z
      - .offset:         104
        .size:           8
        .value_kind:     hidden_global_offset_x
      - .offset:         112
        .size:           8
        .value_kind:     hidden_global_offset_y
      - .offset:         120
        .size:           8
        .value_kind:     hidden_global_offset_z
      - .offset:         128
        .size:           2
        .value_kind:     hidden_grid_dims
    .group_segment_fixed_size: 0
    .kernarg_segment_align: 8
    .kernarg_segment_size: 320
    .language:       OpenCL C
    .language_version:
      - 2
      - 0
    .max_flat_workgroup_size: 1024
    .name:           _ZN2at6native12_GLOBAL__N_127reflection_pad2d_out_kernelIN3c107complexIdEEEEvPKT_PS6_lliiiiiii
    .private_segment_fixed_size: 0
    .sgpr_count:     36
    .sgpr_spill_count: 0
    .symbol:         _ZN2at6native12_GLOBAL__N_127reflection_pad2d_out_kernelIN3c107complexIdEEEEvPKT_PS6_lliiiiiii.kd
    .uniform_work_group_size: 1
    .uses_dynamic_stack: false
    .vgpr_count:     16
    .vgpr_spill_count: 0
    .wavefront_size: 32
    .workgroup_processor_mode: 1
  - .args:
      - .address_space:  global
        .offset:         0
        .size:           8
        .value_kind:     global_buffer
      - .address_space:  global
        .offset:         8
        .size:           8
        .value_kind:     global_buffer
      - .offset:         16
        .size:           8
        .value_kind:     by_value
      - .offset:         24
        .size:           8
        .value_kind:     by_value
      - .offset:         32
        .size:           4
        .value_kind:     by_value
      - .offset:         36
        .size:           4
        .value_kind:     by_value
      - .offset:         40
        .size:           4
        .value_kind:     by_value
      - .offset:         44
        .size:           4
        .value_kind:     by_value
      - .offset:         48
        .size:           4
        .value_kind:     by_value
      - .offset:         52
        .size:           4
        .value_kind:     by_value
      - .offset:         56
        .size:           4
        .value_kind:     by_value
      - .offset:         64
        .size:           4
        .value_kind:     hidden_block_count_x
      - .offset:         68
        .size:           4
        .value_kind:     hidden_block_count_y
      - .offset:         72
        .size:           4
        .value_kind:     hidden_block_count_z
      - .offset:         76
        .size:           2
        .value_kind:     hidden_group_size_x
      - .offset:         78
        .size:           2
        .value_kind:     hidden_group_size_y
      - .offset:         80
        .size:           2
        .value_kind:     hidden_group_size_z
      - .offset:         82
        .size:           2
        .value_kind:     hidden_remainder_x
      - .offset:         84
        .size:           2
        .value_kind:     hidden_remainder_y
      - .offset:         86
        .size:           2
        .value_kind:     hidden_remainder_z
      - .offset:         104
        .size:           8
        .value_kind:     hidden_global_offset_x
      - .offset:         112
        .size:           8
        .value_kind:     hidden_global_offset_y
      - .offset:         120
        .size:           8
        .value_kind:     hidden_global_offset_z
      - .offset:         128
        .size:           2
        .value_kind:     hidden_grid_dims
    .group_segment_fixed_size: 0
    .kernarg_segment_align: 8
    .kernarg_segment_size: 320
    .language:       OpenCL C
    .language_version:
      - 2
      - 0
    .max_flat_workgroup_size: 1024
    .name:           _ZN2at6native12_GLOBAL__N_127reflection_pad2d_out_kernelIN3c107complexIfEEEEvPKT_PS6_lliiiiiii
    .private_segment_fixed_size: 0
    .sgpr_count:     36
    .sgpr_spill_count: 0
    .symbol:         _ZN2at6native12_GLOBAL__N_127reflection_pad2d_out_kernelIN3c107complexIfEEEEvPKT_PS6_lliiiiiii.kd
    .uniform_work_group_size: 1
    .uses_dynamic_stack: false
    .vgpr_count:     16
    .vgpr_spill_count: 0
    .wavefront_size: 32
    .workgroup_processor_mode: 1
  - .args:
      - .address_space:  global
        .offset:         0
        .size:           8
        .value_kind:     global_buffer
      - .address_space:  global
        .offset:         8
        .size:           8
        .value_kind:     global_buffer
      - .offset:         16
        .size:           8
        .value_kind:     by_value
      - .offset:         24
        .size:           8
        .value_kind:     by_value
      - .offset:         32
        .size:           4
        .value_kind:     by_value
      - .offset:         36
        .size:           4
        .value_kind:     by_value
      - .offset:         40
        .size:           4
        .value_kind:     by_value
      - .offset:         44
        .size:           4
        .value_kind:     by_value
      - .offset:         48
        .size:           4
        .value_kind:     by_value
      - .offset:         52
        .size:           4
        .value_kind:     by_value
      - .offset:         56
        .size:           4
        .value_kind:     by_value
      - .offset:         64
        .size:           4
        .value_kind:     hidden_block_count_x
      - .offset:         68
        .size:           4
        .value_kind:     hidden_block_count_y
      - .offset:         72
        .size:           4
        .value_kind:     hidden_block_count_z
      - .offset:         76
        .size:           2
        .value_kind:     hidden_group_size_x
      - .offset:         78
        .size:           2
        .value_kind:     hidden_group_size_y
      - .offset:         80
        .size:           2
        .value_kind:     hidden_group_size_z
      - .offset:         82
        .size:           2
        .value_kind:     hidden_remainder_x
      - .offset:         84
        .size:           2
        .value_kind:     hidden_remainder_y
      - .offset:         86
        .size:           2
        .value_kind:     hidden_remainder_z
      - .offset:         104
        .size:           8
        .value_kind:     hidden_global_offset_x
      - .offset:         112
        .size:           8
        .value_kind:     hidden_global_offset_y
      - .offset:         120
        .size:           8
        .value_kind:     hidden_global_offset_z
      - .offset:         128
        .size:           2
        .value_kind:     hidden_grid_dims
    .group_segment_fixed_size: 0
    .kernarg_segment_align: 8
    .kernarg_segment_size: 320
    .language:       OpenCL C
    .language_version:
      - 2
      - 0
    .max_flat_workgroup_size: 1024
    .name:           _ZN2at6native12_GLOBAL__N_127reflection_pad2d_out_kernelIN3c104HalfEEEvPKT_PS5_lliiiiiii
    .private_segment_fixed_size: 0
    .sgpr_count:     36
    .sgpr_spill_count: 0
    .symbol:         _ZN2at6native12_GLOBAL__N_127reflection_pad2d_out_kernelIN3c104HalfEEEvPKT_PS5_lliiiiiii.kd
    .uniform_work_group_size: 1
    .uses_dynamic_stack: false
    .vgpr_count:     16
    .vgpr_spill_count: 0
    .wavefront_size: 32
    .workgroup_processor_mode: 1
  - .args:
      - .address_space:  global
        .offset:         0
        .size:           8
        .value_kind:     global_buffer
      - .address_space:  global
        .offset:         8
        .size:           8
        .value_kind:     global_buffer
      - .offset:         16
        .size:           8
        .value_kind:     by_value
      - .offset:         24
        .size:           8
        .value_kind:     by_value
      - .offset:         32
        .size:           4
        .value_kind:     by_value
      - .offset:         36
        .size:           4
        .value_kind:     by_value
      - .offset:         40
        .size:           4
        .value_kind:     by_value
      - .offset:         44
        .size:           4
        .value_kind:     by_value
      - .offset:         48
        .size:           4
        .value_kind:     by_value
      - .offset:         52
        .size:           4
        .value_kind:     by_value
      - .offset:         56
        .size:           4
        .value_kind:     by_value
      - .offset:         64
        .size:           4
        .value_kind:     hidden_block_count_x
      - .offset:         68
        .size:           4
        .value_kind:     hidden_block_count_y
      - .offset:         72
        .size:           4
        .value_kind:     hidden_block_count_z
      - .offset:         76
        .size:           2
        .value_kind:     hidden_group_size_x
      - .offset:         78
        .size:           2
        .value_kind:     hidden_group_size_y
      - .offset:         80
        .size:           2
        .value_kind:     hidden_group_size_z
      - .offset:         82
        .size:           2
        .value_kind:     hidden_remainder_x
      - .offset:         84
        .size:           2
        .value_kind:     hidden_remainder_y
      - .offset:         86
        .size:           2
        .value_kind:     hidden_remainder_z
      - .offset:         104
        .size:           8
        .value_kind:     hidden_global_offset_x
      - .offset:         112
        .size:           8
        .value_kind:     hidden_global_offset_y
      - .offset:         120
        .size:           8
        .value_kind:     hidden_global_offset_z
      - .offset:         128
        .size:           2
        .value_kind:     hidden_grid_dims
    .group_segment_fixed_size: 0
    .kernarg_segment_align: 8
    .kernarg_segment_size: 320
    .language:       OpenCL C
    .language_version:
      - 2
      - 0
    .max_flat_workgroup_size: 1024
    .name:           _ZN2at6native12_GLOBAL__N_127reflection_pad2d_out_kernelIN3c108BFloat16EEEvPKT_PS5_lliiiiiii
    .private_segment_fixed_size: 0
    .sgpr_count:     36
    .sgpr_spill_count: 0
    .symbol:         _ZN2at6native12_GLOBAL__N_127reflection_pad2d_out_kernelIN3c108BFloat16EEEvPKT_PS5_lliiiiiii.kd
    .uniform_work_group_size: 1
    .uses_dynamic_stack: false
    .vgpr_count:     16
    .vgpr_spill_count: 0
    .wavefront_size: 32
    .workgroup_processor_mode: 1
  - .args:
      - .address_space:  global
        .offset:         0
        .size:           8
        .value_kind:     global_buffer
      - .address_space:  global
        .offset:         8
        .size:           8
        .value_kind:     global_buffer
      - .offset:         16
        .size:           8
        .value_kind:     by_value
      - .offset:         24
        .size:           8
        .value_kind:     by_value
      - .offset:         32
        .size:           4
        .value_kind:     by_value
      - .offset:         36
        .size:           4
        .value_kind:     by_value
      - .offset:         40
        .size:           4
        .value_kind:     by_value
      - .offset:         44
        .size:           4
        .value_kind:     by_value
      - .offset:         48
        .size:           4
        .value_kind:     by_value
      - .offset:         52
        .size:           4
        .value_kind:     by_value
      - .offset:         56
        .size:           4
        .value_kind:     by_value
      - .offset:         64
        .size:           4
        .value_kind:     hidden_block_count_x
      - .offset:         68
        .size:           4
        .value_kind:     hidden_block_count_y
      - .offset:         72
        .size:           4
        .value_kind:     hidden_block_count_z
      - .offset:         76
        .size:           2
        .value_kind:     hidden_group_size_x
      - .offset:         78
        .size:           2
        .value_kind:     hidden_group_size_y
      - .offset:         80
        .size:           2
        .value_kind:     hidden_group_size_z
      - .offset:         82
        .size:           2
        .value_kind:     hidden_remainder_x
      - .offset:         84
        .size:           2
        .value_kind:     hidden_remainder_y
      - .offset:         86
        .size:           2
        .value_kind:     hidden_remainder_z
      - .offset:         104
        .size:           8
        .value_kind:     hidden_global_offset_x
      - .offset:         112
        .size:           8
        .value_kind:     hidden_global_offset_y
      - .offset:         120
        .size:           8
        .value_kind:     hidden_global_offset_z
      - .offset:         128
        .size:           2
        .value_kind:     hidden_grid_dims
    .group_segment_fixed_size: 0
    .kernarg_segment_align: 8
    .kernarg_segment_size: 320
    .language:       OpenCL C
    .language_version:
      - 2
      - 0
    .max_flat_workgroup_size: 1024
    .name:           _ZN2at6native12_GLOBAL__N_140reflection_pad2d_backward_det_out_kernelIdEEvPT_PKS3_lliiiiiii
    .private_segment_fixed_size: 0
    .sgpr_count:     65
    .sgpr_spill_count: 0
    .symbol:         _ZN2at6native12_GLOBAL__N_140reflection_pad2d_backward_det_out_kernelIdEEvPT_PKS3_lliiiiiii.kd
    .uniform_work_group_size: 1
    .uses_dynamic_stack: false
    .vgpr_count:     36
    .vgpr_spill_count: 0
    .wavefront_size: 32
    .workgroup_processor_mode: 1
  - .args:
      - .address_space:  global
        .offset:         0
        .size:           8
        .value_kind:     global_buffer
      - .address_space:  global
        .offset:         8
        .size:           8
        .value_kind:     global_buffer
      - .offset:         16
        .size:           8
        .value_kind:     by_value
      - .offset:         24
        .size:           8
        .value_kind:     by_value
      - .offset:         32
        .size:           4
        .value_kind:     by_value
      - .offset:         36
        .size:           4
        .value_kind:     by_value
      - .offset:         40
        .size:           4
        .value_kind:     by_value
      - .offset:         44
        .size:           4
        .value_kind:     by_value
      - .offset:         48
        .size:           4
        .value_kind:     by_value
      - .offset:         52
        .size:           4
        .value_kind:     by_value
      - .offset:         56
        .size:           4
        .value_kind:     by_value
      - .offset:         64
        .size:           4
        .value_kind:     hidden_block_count_x
      - .offset:         68
        .size:           4
        .value_kind:     hidden_block_count_y
      - .offset:         72
        .size:           4
        .value_kind:     hidden_block_count_z
      - .offset:         76
        .size:           2
        .value_kind:     hidden_group_size_x
      - .offset:         78
        .size:           2
        .value_kind:     hidden_group_size_y
      - .offset:         80
        .size:           2
        .value_kind:     hidden_group_size_z
      - .offset:         82
        .size:           2
        .value_kind:     hidden_remainder_x
      - .offset:         84
        .size:           2
        .value_kind:     hidden_remainder_y
      - .offset:         86
        .size:           2
        .value_kind:     hidden_remainder_z
      - .offset:         104
        .size:           8
        .value_kind:     hidden_global_offset_x
      - .offset:         112
        .size:           8
        .value_kind:     hidden_global_offset_y
      - .offset:         120
        .size:           8
        .value_kind:     hidden_global_offset_z
      - .offset:         128
        .size:           2
        .value_kind:     hidden_grid_dims
    .group_segment_fixed_size: 0
    .kernarg_segment_align: 8
    .kernarg_segment_size: 320
    .language:       OpenCL C
    .language_version:
      - 2
      - 0
    .max_flat_workgroup_size: 1024
    .name:           _ZN2at6native12_GLOBAL__N_136reflection_pad2d_backward_out_kernelIdEEvPT_PKS3_lliiiiiii
    .private_segment_fixed_size: 0
    .sgpr_count:     36
    .sgpr_spill_count: 0
    .symbol:         _ZN2at6native12_GLOBAL__N_136reflection_pad2d_backward_out_kernelIdEEvPT_PKS3_lliiiiiii.kd
    .uniform_work_group_size: 1
    .uses_dynamic_stack: false
    .vgpr_count:     17
    .vgpr_spill_count: 0
    .wavefront_size: 32
    .workgroup_processor_mode: 1
  - .args:
      - .address_space:  global
        .offset:         0
        .size:           8
        .value_kind:     global_buffer
      - .address_space:  global
        .offset:         8
        .size:           8
        .value_kind:     global_buffer
      - .offset:         16
        .size:           8
        .value_kind:     by_value
      - .offset:         24
        .size:           8
        .value_kind:     by_value
      - .offset:         32
        .size:           4
        .value_kind:     by_value
      - .offset:         36
        .size:           4
        .value_kind:     by_value
      - .offset:         40
        .size:           4
        .value_kind:     by_value
      - .offset:         44
        .size:           4
        .value_kind:     by_value
      - .offset:         48
        .size:           4
        .value_kind:     by_value
      - .offset:         52
        .size:           4
        .value_kind:     by_value
      - .offset:         56
        .size:           4
        .value_kind:     by_value
      - .offset:         64
        .size:           4
        .value_kind:     hidden_block_count_x
      - .offset:         68
        .size:           4
        .value_kind:     hidden_block_count_y
      - .offset:         72
        .size:           4
        .value_kind:     hidden_block_count_z
      - .offset:         76
        .size:           2
        .value_kind:     hidden_group_size_x
      - .offset:         78
        .size:           2
        .value_kind:     hidden_group_size_y
      - .offset:         80
        .size:           2
        .value_kind:     hidden_group_size_z
      - .offset:         82
        .size:           2
        .value_kind:     hidden_remainder_x
      - .offset:         84
        .size:           2
        .value_kind:     hidden_remainder_y
      - .offset:         86
        .size:           2
        .value_kind:     hidden_remainder_z
      - .offset:         104
        .size:           8
        .value_kind:     hidden_global_offset_x
      - .offset:         112
        .size:           8
        .value_kind:     hidden_global_offset_y
      - .offset:         120
        .size:           8
        .value_kind:     hidden_global_offset_z
      - .offset:         128
        .size:           2
        .value_kind:     hidden_grid_dims
    .group_segment_fixed_size: 0
    .kernarg_segment_align: 8
    .kernarg_segment_size: 320
    .language:       OpenCL C
    .language_version:
      - 2
      - 0
    .max_flat_workgroup_size: 1024
    .name:           _ZN2at6native12_GLOBAL__N_140reflection_pad2d_backward_det_out_kernelIfEEvPT_PKS3_lliiiiiii
    .private_segment_fixed_size: 0
    .sgpr_count:     65
    .sgpr_spill_count: 0
    .symbol:         _ZN2at6native12_GLOBAL__N_140reflection_pad2d_backward_det_out_kernelIfEEvPT_PKS3_lliiiiiii.kd
    .uniform_work_group_size: 1
    .uses_dynamic_stack: false
    .vgpr_count:     35
    .vgpr_spill_count: 0
    .wavefront_size: 32
    .workgroup_processor_mode: 1
  - .args:
      - .address_space:  global
        .offset:         0
        .size:           8
        .value_kind:     global_buffer
      - .address_space:  global
        .offset:         8
        .size:           8
        .value_kind:     global_buffer
      - .offset:         16
        .size:           8
        .value_kind:     by_value
      - .offset:         24
        .size:           8
        .value_kind:     by_value
      - .offset:         32
        .size:           4
        .value_kind:     by_value
      - .offset:         36
        .size:           4
        .value_kind:     by_value
      - .offset:         40
        .size:           4
        .value_kind:     by_value
      - .offset:         44
        .size:           4
        .value_kind:     by_value
      - .offset:         48
        .size:           4
        .value_kind:     by_value
      - .offset:         52
        .size:           4
        .value_kind:     by_value
      - .offset:         56
        .size:           4
        .value_kind:     by_value
      - .offset:         64
        .size:           4
        .value_kind:     hidden_block_count_x
      - .offset:         68
        .size:           4
        .value_kind:     hidden_block_count_y
      - .offset:         72
        .size:           4
        .value_kind:     hidden_block_count_z
      - .offset:         76
        .size:           2
        .value_kind:     hidden_group_size_x
      - .offset:         78
        .size:           2
        .value_kind:     hidden_group_size_y
      - .offset:         80
        .size:           2
        .value_kind:     hidden_group_size_z
      - .offset:         82
        .size:           2
        .value_kind:     hidden_remainder_x
      - .offset:         84
        .size:           2
        .value_kind:     hidden_remainder_y
      - .offset:         86
        .size:           2
        .value_kind:     hidden_remainder_z
      - .offset:         104
        .size:           8
        .value_kind:     hidden_global_offset_x
      - .offset:         112
        .size:           8
        .value_kind:     hidden_global_offset_y
      - .offset:         120
        .size:           8
        .value_kind:     hidden_global_offset_z
      - .offset:         128
        .size:           2
        .value_kind:     hidden_grid_dims
    .group_segment_fixed_size: 0
    .kernarg_segment_align: 8
    .kernarg_segment_size: 320
    .language:       OpenCL C
    .language_version:
      - 2
      - 0
    .max_flat_workgroup_size: 1024
    .name:           _ZN2at6native12_GLOBAL__N_136reflection_pad2d_backward_out_kernelIfEEvPT_PKS3_lliiiiiii
    .private_segment_fixed_size: 0
    .sgpr_count:     36
    .sgpr_spill_count: 0
    .symbol:         _ZN2at6native12_GLOBAL__N_136reflection_pad2d_backward_out_kernelIfEEvPT_PKS3_lliiiiiii.kd
    .uniform_work_group_size: 1
    .uses_dynamic_stack: false
    .vgpr_count:     17
    .vgpr_spill_count: 0
    .wavefront_size: 32
    .workgroup_processor_mode: 1
  - .args:
      - .address_space:  global
        .offset:         0
        .size:           8
        .value_kind:     global_buffer
      - .address_space:  global
        .offset:         8
        .size:           8
        .value_kind:     global_buffer
      - .offset:         16
        .size:           8
        .value_kind:     by_value
      - .offset:         24
        .size:           8
        .value_kind:     by_value
      - .offset:         32
        .size:           4
        .value_kind:     by_value
      - .offset:         36
        .size:           4
        .value_kind:     by_value
      - .offset:         40
        .size:           4
        .value_kind:     by_value
      - .offset:         44
        .size:           4
        .value_kind:     by_value
      - .offset:         48
        .size:           4
        .value_kind:     by_value
      - .offset:         52
        .size:           4
        .value_kind:     by_value
      - .offset:         56
        .size:           4
        .value_kind:     by_value
      - .offset:         64
        .size:           4
        .value_kind:     hidden_block_count_x
      - .offset:         68
        .size:           4
        .value_kind:     hidden_block_count_y
      - .offset:         72
        .size:           4
        .value_kind:     hidden_block_count_z
      - .offset:         76
        .size:           2
        .value_kind:     hidden_group_size_x
      - .offset:         78
        .size:           2
        .value_kind:     hidden_group_size_y
      - .offset:         80
        .size:           2
        .value_kind:     hidden_group_size_z
      - .offset:         82
        .size:           2
        .value_kind:     hidden_remainder_x
      - .offset:         84
        .size:           2
        .value_kind:     hidden_remainder_y
      - .offset:         86
        .size:           2
        .value_kind:     hidden_remainder_z
      - .offset:         104
        .size:           8
        .value_kind:     hidden_global_offset_x
      - .offset:         112
        .size:           8
        .value_kind:     hidden_global_offset_y
      - .offset:         120
        .size:           8
        .value_kind:     hidden_global_offset_z
      - .offset:         128
        .size:           2
        .value_kind:     hidden_grid_dims
    .group_segment_fixed_size: 0
    .kernarg_segment_align: 8
    .kernarg_segment_size: 320
    .language:       OpenCL C
    .language_version:
      - 2
      - 0
    .max_flat_workgroup_size: 1024
    .name:           _ZN2at6native12_GLOBAL__N_140reflection_pad2d_backward_det_out_kernelIN3c107complexIdEEEEvPT_PKS6_lliiiiiii
    .private_segment_fixed_size: 0
    .sgpr_count:     65
    .sgpr_spill_count: 0
    .symbol:         _ZN2at6native12_GLOBAL__N_140reflection_pad2d_backward_det_out_kernelIN3c107complexIdEEEEvPT_PKS6_lliiiiiii.kd
    .uniform_work_group_size: 1
    .uses_dynamic_stack: false
    .vgpr_count:     38
    .vgpr_spill_count: 0
    .wavefront_size: 32
    .workgroup_processor_mode: 1
  - .args:
      - .address_space:  global
        .offset:         0
        .size:           8
        .value_kind:     global_buffer
      - .address_space:  global
        .offset:         8
        .size:           8
        .value_kind:     global_buffer
      - .offset:         16
        .size:           8
        .value_kind:     by_value
      - .offset:         24
        .size:           8
        .value_kind:     by_value
      - .offset:         32
        .size:           4
        .value_kind:     by_value
      - .offset:         36
        .size:           4
        .value_kind:     by_value
      - .offset:         40
        .size:           4
        .value_kind:     by_value
      - .offset:         44
        .size:           4
        .value_kind:     by_value
      - .offset:         48
        .size:           4
        .value_kind:     by_value
      - .offset:         52
        .size:           4
        .value_kind:     by_value
      - .offset:         56
        .size:           4
        .value_kind:     by_value
      - .offset:         64
        .size:           4
        .value_kind:     hidden_block_count_x
      - .offset:         68
        .size:           4
        .value_kind:     hidden_block_count_y
      - .offset:         72
        .size:           4
        .value_kind:     hidden_block_count_z
      - .offset:         76
        .size:           2
        .value_kind:     hidden_group_size_x
      - .offset:         78
        .size:           2
        .value_kind:     hidden_group_size_y
      - .offset:         80
        .size:           2
        .value_kind:     hidden_group_size_z
      - .offset:         82
        .size:           2
        .value_kind:     hidden_remainder_x
      - .offset:         84
        .size:           2
        .value_kind:     hidden_remainder_y
      - .offset:         86
        .size:           2
        .value_kind:     hidden_remainder_z
      - .offset:         104
        .size:           8
        .value_kind:     hidden_global_offset_x
      - .offset:         112
        .size:           8
        .value_kind:     hidden_global_offset_y
      - .offset:         120
        .size:           8
        .value_kind:     hidden_global_offset_z
      - .offset:         128
        .size:           2
        .value_kind:     hidden_grid_dims
    .group_segment_fixed_size: 0
    .kernarg_segment_align: 8
    .kernarg_segment_size: 320
    .language:       OpenCL C
    .language_version:
      - 2
      - 0
    .max_flat_workgroup_size: 1024
    .name:           _ZN2at6native12_GLOBAL__N_136reflection_pad2d_backward_out_kernelIN3c107complexIdEEEEvPT_PKS6_lliiiiiii
    .private_segment_fixed_size: 0
    .sgpr_count:     36
    .sgpr_spill_count: 0
    .symbol:         _ZN2at6native12_GLOBAL__N_136reflection_pad2d_backward_out_kernelIN3c107complexIdEEEEvPT_PKS6_lliiiiiii.kd
    .uniform_work_group_size: 1
    .uses_dynamic_stack: false
    .vgpr_count:     17
    .vgpr_spill_count: 0
    .wavefront_size: 32
    .workgroup_processor_mode: 1
  - .args:
      - .address_space:  global
        .offset:         0
        .size:           8
        .value_kind:     global_buffer
      - .address_space:  global
        .offset:         8
        .size:           8
        .value_kind:     global_buffer
      - .offset:         16
        .size:           8
        .value_kind:     by_value
      - .offset:         24
        .size:           8
        .value_kind:     by_value
      - .offset:         32
        .size:           4
        .value_kind:     by_value
      - .offset:         36
        .size:           4
        .value_kind:     by_value
      - .offset:         40
        .size:           4
        .value_kind:     by_value
      - .offset:         44
        .size:           4
        .value_kind:     by_value
      - .offset:         48
        .size:           4
        .value_kind:     by_value
      - .offset:         52
        .size:           4
        .value_kind:     by_value
      - .offset:         56
        .size:           4
        .value_kind:     by_value
      - .offset:         64
        .size:           4
        .value_kind:     hidden_block_count_x
      - .offset:         68
        .size:           4
        .value_kind:     hidden_block_count_y
      - .offset:         72
        .size:           4
        .value_kind:     hidden_block_count_z
      - .offset:         76
        .size:           2
        .value_kind:     hidden_group_size_x
      - .offset:         78
        .size:           2
        .value_kind:     hidden_group_size_y
      - .offset:         80
        .size:           2
        .value_kind:     hidden_group_size_z
      - .offset:         82
        .size:           2
        .value_kind:     hidden_remainder_x
      - .offset:         84
        .size:           2
        .value_kind:     hidden_remainder_y
      - .offset:         86
        .size:           2
        .value_kind:     hidden_remainder_z
      - .offset:         104
        .size:           8
        .value_kind:     hidden_global_offset_x
      - .offset:         112
        .size:           8
        .value_kind:     hidden_global_offset_y
      - .offset:         120
        .size:           8
        .value_kind:     hidden_global_offset_z
      - .offset:         128
        .size:           2
        .value_kind:     hidden_grid_dims
    .group_segment_fixed_size: 0
    .kernarg_segment_align: 8
    .kernarg_segment_size: 320
    .language:       OpenCL C
    .language_version:
      - 2
      - 0
    .max_flat_workgroup_size: 1024
    .name:           _ZN2at6native12_GLOBAL__N_140reflection_pad2d_backward_det_out_kernelIN3c107complexIfEEEEvPT_PKS6_lliiiiiii
    .private_segment_fixed_size: 0
    .sgpr_count:     65
    .sgpr_spill_count: 0
    .symbol:         _ZN2at6native12_GLOBAL__N_140reflection_pad2d_backward_det_out_kernelIN3c107complexIfEEEEvPT_PKS6_lliiiiiii.kd
    .uniform_work_group_size: 1
    .uses_dynamic_stack: false
    .vgpr_count:     36
    .vgpr_spill_count: 0
    .wavefront_size: 32
    .workgroup_processor_mode: 1
  - .args:
      - .address_space:  global
        .offset:         0
        .size:           8
        .value_kind:     global_buffer
      - .address_space:  global
        .offset:         8
        .size:           8
        .value_kind:     global_buffer
      - .offset:         16
        .size:           8
        .value_kind:     by_value
      - .offset:         24
        .size:           8
        .value_kind:     by_value
      - .offset:         32
        .size:           4
        .value_kind:     by_value
      - .offset:         36
        .size:           4
        .value_kind:     by_value
      - .offset:         40
        .size:           4
        .value_kind:     by_value
      - .offset:         44
        .size:           4
        .value_kind:     by_value
      - .offset:         48
        .size:           4
        .value_kind:     by_value
      - .offset:         52
        .size:           4
        .value_kind:     by_value
      - .offset:         56
        .size:           4
        .value_kind:     by_value
      - .offset:         64
        .size:           4
        .value_kind:     hidden_block_count_x
      - .offset:         68
        .size:           4
        .value_kind:     hidden_block_count_y
      - .offset:         72
        .size:           4
        .value_kind:     hidden_block_count_z
      - .offset:         76
        .size:           2
        .value_kind:     hidden_group_size_x
      - .offset:         78
        .size:           2
        .value_kind:     hidden_group_size_y
      - .offset:         80
        .size:           2
        .value_kind:     hidden_group_size_z
      - .offset:         82
        .size:           2
        .value_kind:     hidden_remainder_x
      - .offset:         84
        .size:           2
        .value_kind:     hidden_remainder_y
      - .offset:         86
        .size:           2
        .value_kind:     hidden_remainder_z
      - .offset:         104
        .size:           8
        .value_kind:     hidden_global_offset_x
      - .offset:         112
        .size:           8
        .value_kind:     hidden_global_offset_y
      - .offset:         120
        .size:           8
        .value_kind:     hidden_global_offset_z
      - .offset:         128
        .size:           2
        .value_kind:     hidden_grid_dims
    .group_segment_fixed_size: 0
    .kernarg_segment_align: 8
    .kernarg_segment_size: 320
    .language:       OpenCL C
    .language_version:
      - 2
      - 0
    .max_flat_workgroup_size: 1024
    .name:           _ZN2at6native12_GLOBAL__N_136reflection_pad2d_backward_out_kernelIN3c107complexIfEEEEvPT_PKS6_lliiiiiii
    .private_segment_fixed_size: 0
    .sgpr_count:     36
    .sgpr_spill_count: 0
    .symbol:         _ZN2at6native12_GLOBAL__N_136reflection_pad2d_backward_out_kernelIN3c107complexIfEEEEvPT_PKS6_lliiiiiii.kd
    .uniform_work_group_size: 1
    .uses_dynamic_stack: false
    .vgpr_count:     17
    .vgpr_spill_count: 0
    .wavefront_size: 32
    .workgroup_processor_mode: 1
  - .args:
      - .address_space:  global
        .offset:         0
        .size:           8
        .value_kind:     global_buffer
      - .address_space:  global
        .offset:         8
        .size:           8
        .value_kind:     global_buffer
      - .offset:         16
        .size:           8
        .value_kind:     by_value
      - .offset:         24
        .size:           8
        .value_kind:     by_value
      - .offset:         32
        .size:           4
        .value_kind:     by_value
      - .offset:         36
        .size:           4
        .value_kind:     by_value
      - .offset:         40
        .size:           4
        .value_kind:     by_value
      - .offset:         44
        .size:           4
        .value_kind:     by_value
      - .offset:         48
        .size:           4
        .value_kind:     by_value
      - .offset:         52
        .size:           4
        .value_kind:     by_value
      - .offset:         56
        .size:           4
        .value_kind:     by_value
      - .offset:         64
        .size:           4
        .value_kind:     hidden_block_count_x
      - .offset:         68
        .size:           4
        .value_kind:     hidden_block_count_y
      - .offset:         72
        .size:           4
        .value_kind:     hidden_block_count_z
      - .offset:         76
        .size:           2
        .value_kind:     hidden_group_size_x
      - .offset:         78
        .size:           2
        .value_kind:     hidden_group_size_y
      - .offset:         80
        .size:           2
        .value_kind:     hidden_group_size_z
      - .offset:         82
        .size:           2
        .value_kind:     hidden_remainder_x
      - .offset:         84
        .size:           2
        .value_kind:     hidden_remainder_y
      - .offset:         86
        .size:           2
        .value_kind:     hidden_remainder_z
      - .offset:         104
        .size:           8
        .value_kind:     hidden_global_offset_x
      - .offset:         112
        .size:           8
        .value_kind:     hidden_global_offset_y
      - .offset:         120
        .size:           8
        .value_kind:     hidden_global_offset_z
      - .offset:         128
        .size:           2
        .value_kind:     hidden_grid_dims
    .group_segment_fixed_size: 0
    .kernarg_segment_align: 8
    .kernarg_segment_size: 320
    .language:       OpenCL C
    .language_version:
      - 2
      - 0
    .max_flat_workgroup_size: 1024
    .name:           _ZN2at6native12_GLOBAL__N_140reflection_pad2d_backward_det_out_kernelIN3c104HalfEEEvPT_PKS5_lliiiiiii
    .private_segment_fixed_size: 0
    .sgpr_count:     65
    .sgpr_spill_count: 0
    .symbol:         _ZN2at6native12_GLOBAL__N_140reflection_pad2d_backward_det_out_kernelIN3c104HalfEEEvPT_PKS5_lliiiiiii.kd
    .uniform_work_group_size: 1
    .uses_dynamic_stack: false
    .vgpr_count:     35
    .vgpr_spill_count: 0
    .wavefront_size: 32
    .workgroup_processor_mode: 1
  - .args:
      - .address_space:  global
        .offset:         0
        .size:           8
        .value_kind:     global_buffer
      - .address_space:  global
        .offset:         8
        .size:           8
        .value_kind:     global_buffer
      - .offset:         16
        .size:           8
        .value_kind:     by_value
      - .offset:         24
        .size:           8
        .value_kind:     by_value
      - .offset:         32
        .size:           4
        .value_kind:     by_value
      - .offset:         36
        .size:           4
        .value_kind:     by_value
      - .offset:         40
        .size:           4
        .value_kind:     by_value
      - .offset:         44
        .size:           4
        .value_kind:     by_value
      - .offset:         48
        .size:           4
        .value_kind:     by_value
      - .offset:         52
        .size:           4
        .value_kind:     by_value
      - .offset:         56
        .size:           4
        .value_kind:     by_value
      - .offset:         64
        .size:           4
        .value_kind:     hidden_block_count_x
      - .offset:         68
        .size:           4
        .value_kind:     hidden_block_count_y
      - .offset:         72
        .size:           4
        .value_kind:     hidden_block_count_z
      - .offset:         76
        .size:           2
        .value_kind:     hidden_group_size_x
      - .offset:         78
        .size:           2
        .value_kind:     hidden_group_size_y
      - .offset:         80
        .size:           2
        .value_kind:     hidden_group_size_z
      - .offset:         82
        .size:           2
        .value_kind:     hidden_remainder_x
      - .offset:         84
        .size:           2
        .value_kind:     hidden_remainder_y
      - .offset:         86
        .size:           2
        .value_kind:     hidden_remainder_z
      - .offset:         104
        .size:           8
        .value_kind:     hidden_global_offset_x
      - .offset:         112
        .size:           8
        .value_kind:     hidden_global_offset_y
      - .offset:         120
        .size:           8
        .value_kind:     hidden_global_offset_z
      - .offset:         128
        .size:           2
        .value_kind:     hidden_grid_dims
    .group_segment_fixed_size: 0
    .kernarg_segment_align: 8
    .kernarg_segment_size: 320
    .language:       OpenCL C
    .language_version:
      - 2
      - 0
    .max_flat_workgroup_size: 1024
    .name:           _ZN2at6native12_GLOBAL__N_136reflection_pad2d_backward_out_kernelIN3c104HalfEEEvPT_PKS5_lliiiiiii
    .private_segment_fixed_size: 0
    .sgpr_count:     36
    .sgpr_spill_count: 0
    .symbol:         _ZN2at6native12_GLOBAL__N_136reflection_pad2d_backward_out_kernelIN3c104HalfEEEvPT_PKS5_lliiiiiii.kd
    .uniform_work_group_size: 1
    .uses_dynamic_stack: false
    .vgpr_count:     17
    .vgpr_spill_count: 0
    .wavefront_size: 32
    .workgroup_processor_mode: 1
  - .args:
      - .address_space:  global
        .offset:         0
        .size:           8
        .value_kind:     global_buffer
      - .address_space:  global
        .offset:         8
        .size:           8
        .value_kind:     global_buffer
      - .offset:         16
        .size:           8
        .value_kind:     by_value
      - .offset:         24
        .size:           8
        .value_kind:     by_value
      - .offset:         32
        .size:           4
        .value_kind:     by_value
      - .offset:         36
        .size:           4
        .value_kind:     by_value
      - .offset:         40
        .size:           4
        .value_kind:     by_value
      - .offset:         44
        .size:           4
        .value_kind:     by_value
      - .offset:         48
        .size:           4
        .value_kind:     by_value
      - .offset:         52
        .size:           4
        .value_kind:     by_value
      - .offset:         56
        .size:           4
        .value_kind:     by_value
      - .offset:         64
        .size:           4
        .value_kind:     hidden_block_count_x
      - .offset:         68
        .size:           4
        .value_kind:     hidden_block_count_y
      - .offset:         72
        .size:           4
        .value_kind:     hidden_block_count_z
      - .offset:         76
        .size:           2
        .value_kind:     hidden_group_size_x
      - .offset:         78
        .size:           2
        .value_kind:     hidden_group_size_y
      - .offset:         80
        .size:           2
        .value_kind:     hidden_group_size_z
      - .offset:         82
        .size:           2
        .value_kind:     hidden_remainder_x
      - .offset:         84
        .size:           2
        .value_kind:     hidden_remainder_y
      - .offset:         86
        .size:           2
        .value_kind:     hidden_remainder_z
      - .offset:         104
        .size:           8
        .value_kind:     hidden_global_offset_x
      - .offset:         112
        .size:           8
        .value_kind:     hidden_global_offset_y
      - .offset:         120
        .size:           8
        .value_kind:     hidden_global_offset_z
      - .offset:         128
        .size:           2
        .value_kind:     hidden_grid_dims
    .group_segment_fixed_size: 0
    .kernarg_segment_align: 8
    .kernarg_segment_size: 320
    .language:       OpenCL C
    .language_version:
      - 2
      - 0
    .max_flat_workgroup_size: 1024
    .name:           _ZN2at6native12_GLOBAL__N_140reflection_pad2d_backward_det_out_kernelIN3c108BFloat16EEEvPT_PKS5_lliiiiiii
    .private_segment_fixed_size: 0
    .sgpr_count:     65
    .sgpr_spill_count: 0
    .symbol:         _ZN2at6native12_GLOBAL__N_140reflection_pad2d_backward_det_out_kernelIN3c108BFloat16EEEvPT_PKS5_lliiiiiii.kd
    .uniform_work_group_size: 1
    .uses_dynamic_stack: false
    .vgpr_count:     35
    .vgpr_spill_count: 0
    .wavefront_size: 32
    .workgroup_processor_mode: 1
  - .args:
      - .address_space:  global
        .offset:         0
        .size:           8
        .value_kind:     global_buffer
      - .address_space:  global
        .offset:         8
        .size:           8
        .value_kind:     global_buffer
      - .offset:         16
        .size:           8
        .value_kind:     by_value
      - .offset:         24
        .size:           8
        .value_kind:     by_value
      - .offset:         32
        .size:           4
        .value_kind:     by_value
      - .offset:         36
        .size:           4
        .value_kind:     by_value
      - .offset:         40
        .size:           4
        .value_kind:     by_value
      - .offset:         44
        .size:           4
        .value_kind:     by_value
      - .offset:         48
        .size:           4
        .value_kind:     by_value
      - .offset:         52
        .size:           4
        .value_kind:     by_value
      - .offset:         56
        .size:           4
        .value_kind:     by_value
      - .offset:         64
        .size:           4
        .value_kind:     hidden_block_count_x
      - .offset:         68
        .size:           4
        .value_kind:     hidden_block_count_y
      - .offset:         72
        .size:           4
        .value_kind:     hidden_block_count_z
      - .offset:         76
        .size:           2
        .value_kind:     hidden_group_size_x
      - .offset:         78
        .size:           2
        .value_kind:     hidden_group_size_y
      - .offset:         80
        .size:           2
        .value_kind:     hidden_group_size_z
      - .offset:         82
        .size:           2
        .value_kind:     hidden_remainder_x
      - .offset:         84
        .size:           2
        .value_kind:     hidden_remainder_y
      - .offset:         86
        .size:           2
        .value_kind:     hidden_remainder_z
      - .offset:         104
        .size:           8
        .value_kind:     hidden_global_offset_x
      - .offset:         112
        .size:           8
        .value_kind:     hidden_global_offset_y
      - .offset:         120
        .size:           8
        .value_kind:     hidden_global_offset_z
      - .offset:         128
        .size:           2
        .value_kind:     hidden_grid_dims
    .group_segment_fixed_size: 0
    .kernarg_segment_align: 8
    .kernarg_segment_size: 320
    .language:       OpenCL C
    .language_version:
      - 2
      - 0
    .max_flat_workgroup_size: 1024
    .name:           _ZN2at6native12_GLOBAL__N_136reflection_pad2d_backward_out_kernelIN3c108BFloat16EEEvPT_PKS5_lliiiiiii
    .private_segment_fixed_size: 0
    .sgpr_count:     36
    .sgpr_spill_count: 0
    .symbol:         _ZN2at6native12_GLOBAL__N_136reflection_pad2d_backward_out_kernelIN3c108BFloat16EEEvPT_PKS5_lliiiiiii.kd
    .uniform_work_group_size: 1
    .uses_dynamic_stack: false
    .vgpr_count:     17
    .vgpr_spill_count: 0
    .wavefront_size: 32
    .workgroup_processor_mode: 1
  - .args:
      - .address_space:  global
        .offset:         0
        .size:           8
        .value_kind:     global_buffer
      - .address_space:  global
        .offset:         8
        .size:           8
        .value_kind:     global_buffer
      - .offset:         16
        .size:           8
        .value_kind:     by_value
      - .offset:         24
        .size:           8
        .value_kind:     by_value
      - .offset:         32
        .size:           8
        .value_kind:     by_value
      - .offset:         40
        .size:           4
        .value_kind:     hidden_block_count_x
      - .offset:         44
        .size:           4
        .value_kind:     hidden_block_count_y
      - .offset:         48
        .size:           4
        .value_kind:     hidden_block_count_z
      - .offset:         52
        .size:           2
        .value_kind:     hidden_group_size_x
      - .offset:         54
        .size:           2
        .value_kind:     hidden_group_size_y
      - .offset:         56
        .size:           2
        .value_kind:     hidden_group_size_z
      - .offset:         58
        .size:           2
        .value_kind:     hidden_remainder_x
      - .offset:         60
        .size:           2
        .value_kind:     hidden_remainder_y
      - .offset:         62
        .size:           2
        .value_kind:     hidden_remainder_z
      - .offset:         80
        .size:           8
        .value_kind:     hidden_global_offset_x
      - .offset:         88
        .size:           8
        .value_kind:     hidden_global_offset_y
      - .offset:         96
        .size:           8
        .value_kind:     hidden_global_offset_z
      - .offset:         104
        .size:           2
        .value_kind:     hidden_grid_dims
    .group_segment_fixed_size: 0
    .kernarg_segment_align: 8
    .kernarg_segment_size: 296
    .language:       OpenCL C
    .language_version:
      - 2
      - 0
    .max_flat_workgroup_size: 1024
    .name:           _ZN2at6native12_GLOBAL__N_127reflection_pad1d_out_kernelIhEEvPKT_PS3_lll
    .private_segment_fixed_size: 0
    .sgpr_count:     21
    .sgpr_spill_count: 0
    .symbol:         _ZN2at6native12_GLOBAL__N_127reflection_pad1d_out_kernelIhEEvPKT_PS3_lll.kd
    .uniform_work_group_size: 1
    .uses_dynamic_stack: false
    .vgpr_count:     8
    .vgpr_spill_count: 0
    .wavefront_size: 32
    .workgroup_processor_mode: 1
  - .args:
      - .actual_access:  read_only
        .address_space:  global
        .offset:         0
        .size:           8
        .value_kind:     global_buffer
      - .actual_access:  write_only
        .address_space:  global
        .offset:         8
        .size:           8
        .value_kind:     global_buffer
      - .offset:         16
        .size:           8
        .value_kind:     by_value
      - .offset:         24
        .size:           8
        .value_kind:     by_value
      - .offset:         32
        .size:           8
        .value_kind:     by_value
      - .offset:         40
        .size:           8
        .value_kind:     by_value
      - .offset:         48
        .size:           8
        .value_kind:     by_value
      - .offset:         56
        .size:           4
        .value_kind:     hidden_block_count_x
      - .offset:         60
        .size:           4
        .value_kind:     hidden_block_count_y
      - .offset:         64
        .size:           4
        .value_kind:     hidden_block_count_z
      - .offset:         68
        .size:           2
        .value_kind:     hidden_group_size_x
      - .offset:         70
        .size:           2
        .value_kind:     hidden_group_size_y
      - .offset:         72
        .size:           2
        .value_kind:     hidden_group_size_z
      - .offset:         74
        .size:           2
        .value_kind:     hidden_remainder_x
      - .offset:         76
        .size:           2
        .value_kind:     hidden_remainder_y
      - .offset:         78
        .size:           2
        .value_kind:     hidden_remainder_z
      - .offset:         96
        .size:           8
        .value_kind:     hidden_global_offset_x
      - .offset:         104
        .size:           8
        .value_kind:     hidden_global_offset_y
      - .offset:         112
        .size:           8
        .value_kind:     hidden_global_offset_z
      - .offset:         120
        .size:           2
        .value_kind:     hidden_grid_dims
    .group_segment_fixed_size: 0
    .kernarg_segment_align: 8
    .kernarg_segment_size: 312
    .language:       OpenCL C
    .language_version:
      - 2
      - 0
    .max_flat_workgroup_size: 1024
    .name:           _ZN2at6native12_GLOBAL__N_121reflection_pad1d_flatIhEEvPKT_PS3_lllll
    .private_segment_fixed_size: 0
    .sgpr_count:     70
    .sgpr_spill_count: 0
    .symbol:         _ZN2at6native12_GLOBAL__N_121reflection_pad1d_flatIhEEvPKT_PS3_lllll.kd
    .uniform_work_group_size: 1
    .uses_dynamic_stack: false
    .vgpr_count:     44
    .vgpr_spill_count: 0
    .wavefront_size: 32
    .workgroup_processor_mode: 1
  - .args:
      - .address_space:  global
        .offset:         0
        .size:           8
        .value_kind:     global_buffer
      - .address_space:  global
        .offset:         8
        .size:           8
        .value_kind:     global_buffer
      - .offset:         16
        .size:           8
        .value_kind:     by_value
      - .offset:         24
        .size:           8
        .value_kind:     by_value
      - .offset:         32
        .size:           8
        .value_kind:     by_value
      - .offset:         40
        .size:           4
        .value_kind:     hidden_block_count_x
      - .offset:         44
        .size:           4
        .value_kind:     hidden_block_count_y
      - .offset:         48
        .size:           4
        .value_kind:     hidden_block_count_z
      - .offset:         52
        .size:           2
        .value_kind:     hidden_group_size_x
      - .offset:         54
        .size:           2
        .value_kind:     hidden_group_size_y
      - .offset:         56
        .size:           2
        .value_kind:     hidden_group_size_z
      - .offset:         58
        .size:           2
        .value_kind:     hidden_remainder_x
      - .offset:         60
        .size:           2
        .value_kind:     hidden_remainder_y
      - .offset:         62
        .size:           2
        .value_kind:     hidden_remainder_z
      - .offset:         80
        .size:           8
        .value_kind:     hidden_global_offset_x
      - .offset:         88
        .size:           8
        .value_kind:     hidden_global_offset_y
      - .offset:         96
        .size:           8
        .value_kind:     hidden_global_offset_z
      - .offset:         104
        .size:           2
        .value_kind:     hidden_grid_dims
    .group_segment_fixed_size: 0
    .kernarg_segment_align: 8
    .kernarg_segment_size: 296
    .language:       OpenCL C
    .language_version:
      - 2
      - 0
    .max_flat_workgroup_size: 1024
    .name:           _ZN2at6native12_GLOBAL__N_127reflection_pad1d_out_kernelIaEEvPKT_PS3_lll
    .private_segment_fixed_size: 0
    .sgpr_count:     21
    .sgpr_spill_count: 0
    .symbol:         _ZN2at6native12_GLOBAL__N_127reflection_pad1d_out_kernelIaEEvPKT_PS3_lll.kd
    .uniform_work_group_size: 1
    .uses_dynamic_stack: false
    .vgpr_count:     8
    .vgpr_spill_count: 0
    .wavefront_size: 32
    .workgroup_processor_mode: 1
  - .args:
      - .actual_access:  read_only
        .address_space:  global
        .offset:         0
        .size:           8
        .value_kind:     global_buffer
      - .actual_access:  write_only
        .address_space:  global
        .offset:         8
        .size:           8
        .value_kind:     global_buffer
      - .offset:         16
        .size:           8
        .value_kind:     by_value
      - .offset:         24
        .size:           8
        .value_kind:     by_value
      - .offset:         32
        .size:           8
        .value_kind:     by_value
      - .offset:         40
        .size:           8
        .value_kind:     by_value
      - .offset:         48
        .size:           8
        .value_kind:     by_value
      - .offset:         56
        .size:           4
        .value_kind:     hidden_block_count_x
      - .offset:         60
        .size:           4
        .value_kind:     hidden_block_count_y
      - .offset:         64
        .size:           4
        .value_kind:     hidden_block_count_z
      - .offset:         68
        .size:           2
        .value_kind:     hidden_group_size_x
      - .offset:         70
        .size:           2
        .value_kind:     hidden_group_size_y
      - .offset:         72
        .size:           2
        .value_kind:     hidden_group_size_z
      - .offset:         74
        .size:           2
        .value_kind:     hidden_remainder_x
      - .offset:         76
        .size:           2
        .value_kind:     hidden_remainder_y
      - .offset:         78
        .size:           2
        .value_kind:     hidden_remainder_z
      - .offset:         96
        .size:           8
        .value_kind:     hidden_global_offset_x
      - .offset:         104
        .size:           8
        .value_kind:     hidden_global_offset_y
      - .offset:         112
        .size:           8
        .value_kind:     hidden_global_offset_z
      - .offset:         120
        .size:           2
        .value_kind:     hidden_grid_dims
    .group_segment_fixed_size: 0
    .kernarg_segment_align: 8
    .kernarg_segment_size: 312
    .language:       OpenCL C
    .language_version:
      - 2
      - 0
    .max_flat_workgroup_size: 1024
    .name:           _ZN2at6native12_GLOBAL__N_121reflection_pad1d_flatIaEEvPKT_PS3_lllll
    .private_segment_fixed_size: 0
    .sgpr_count:     70
    .sgpr_spill_count: 0
    .symbol:         _ZN2at6native12_GLOBAL__N_121reflection_pad1d_flatIaEEvPKT_PS3_lllll.kd
    .uniform_work_group_size: 1
    .uses_dynamic_stack: false
    .vgpr_count:     44
    .vgpr_spill_count: 0
    .wavefront_size: 32
    .workgroup_processor_mode: 1
  - .args:
      - .address_space:  global
        .offset:         0
        .size:           8
        .value_kind:     global_buffer
      - .address_space:  global
        .offset:         8
        .size:           8
        .value_kind:     global_buffer
      - .offset:         16
        .size:           8
        .value_kind:     by_value
      - .offset:         24
        .size:           8
        .value_kind:     by_value
      - .offset:         32
        .size:           8
        .value_kind:     by_value
      - .offset:         40
        .size:           4
        .value_kind:     hidden_block_count_x
      - .offset:         44
        .size:           4
        .value_kind:     hidden_block_count_y
      - .offset:         48
        .size:           4
        .value_kind:     hidden_block_count_z
      - .offset:         52
        .size:           2
        .value_kind:     hidden_group_size_x
      - .offset:         54
        .size:           2
        .value_kind:     hidden_group_size_y
      - .offset:         56
        .size:           2
        .value_kind:     hidden_group_size_z
      - .offset:         58
        .size:           2
        .value_kind:     hidden_remainder_x
      - .offset:         60
        .size:           2
        .value_kind:     hidden_remainder_y
      - .offset:         62
        .size:           2
        .value_kind:     hidden_remainder_z
      - .offset:         80
        .size:           8
        .value_kind:     hidden_global_offset_x
      - .offset:         88
        .size:           8
        .value_kind:     hidden_global_offset_y
      - .offset:         96
        .size:           8
        .value_kind:     hidden_global_offset_z
      - .offset:         104
        .size:           2
        .value_kind:     hidden_grid_dims
    .group_segment_fixed_size: 0
    .kernarg_segment_align: 8
    .kernarg_segment_size: 296
    .language:       OpenCL C
    .language_version:
      - 2
      - 0
    .max_flat_workgroup_size: 1024
    .name:           _ZN2at6native12_GLOBAL__N_127reflection_pad1d_out_kernelIiEEvPKT_PS3_lll
    .private_segment_fixed_size: 0
    .sgpr_count:     21
    .sgpr_spill_count: 0
    .symbol:         _ZN2at6native12_GLOBAL__N_127reflection_pad1d_out_kernelIiEEvPKT_PS3_lll.kd
    .uniform_work_group_size: 1
    .uses_dynamic_stack: false
    .vgpr_count:     8
    .vgpr_spill_count: 0
    .wavefront_size: 32
    .workgroup_processor_mode: 1
  - .args:
      - .actual_access:  read_only
        .address_space:  global
        .offset:         0
        .size:           8
        .value_kind:     global_buffer
      - .actual_access:  write_only
        .address_space:  global
        .offset:         8
        .size:           8
        .value_kind:     global_buffer
      - .offset:         16
        .size:           8
        .value_kind:     by_value
      - .offset:         24
        .size:           8
        .value_kind:     by_value
      - .offset:         32
        .size:           8
        .value_kind:     by_value
      - .offset:         40
        .size:           8
        .value_kind:     by_value
      - .offset:         48
        .size:           8
        .value_kind:     by_value
      - .offset:         56
        .size:           4
        .value_kind:     hidden_block_count_x
      - .offset:         60
        .size:           4
        .value_kind:     hidden_block_count_y
      - .offset:         64
        .size:           4
        .value_kind:     hidden_block_count_z
      - .offset:         68
        .size:           2
        .value_kind:     hidden_group_size_x
      - .offset:         70
        .size:           2
        .value_kind:     hidden_group_size_y
      - .offset:         72
        .size:           2
        .value_kind:     hidden_group_size_z
      - .offset:         74
        .size:           2
        .value_kind:     hidden_remainder_x
      - .offset:         76
        .size:           2
        .value_kind:     hidden_remainder_y
      - .offset:         78
        .size:           2
        .value_kind:     hidden_remainder_z
      - .offset:         96
        .size:           8
        .value_kind:     hidden_global_offset_x
      - .offset:         104
        .size:           8
        .value_kind:     hidden_global_offset_y
      - .offset:         112
        .size:           8
        .value_kind:     hidden_global_offset_z
      - .offset:         120
        .size:           2
        .value_kind:     hidden_grid_dims
    .group_segment_fixed_size: 0
    .kernarg_segment_align: 8
    .kernarg_segment_size: 312
    .language:       OpenCL C
    .language_version:
      - 2
      - 0
    .max_flat_workgroup_size: 1024
    .name:           _ZN2at6native12_GLOBAL__N_121reflection_pad1d_flatIiEEvPKT_PS3_lllll
    .private_segment_fixed_size: 0
    .sgpr_count:     30
    .sgpr_spill_count: 0
    .symbol:         _ZN2at6native12_GLOBAL__N_121reflection_pad1d_flatIiEEvPKT_PS3_lllll.kd
    .uniform_work_group_size: 1
    .uses_dynamic_stack: false
    .vgpr_count:     20
    .vgpr_spill_count: 0
    .wavefront_size: 32
    .workgroup_processor_mode: 1
  - .args:
      - .address_space:  global
        .offset:         0
        .size:           8
        .value_kind:     global_buffer
      - .address_space:  global
        .offset:         8
        .size:           8
        .value_kind:     global_buffer
      - .offset:         16
        .size:           8
        .value_kind:     by_value
      - .offset:         24
        .size:           8
        .value_kind:     by_value
      - .offset:         32
        .size:           8
        .value_kind:     by_value
      - .offset:         40
        .size:           4
        .value_kind:     hidden_block_count_x
      - .offset:         44
        .size:           4
        .value_kind:     hidden_block_count_y
      - .offset:         48
        .size:           4
        .value_kind:     hidden_block_count_z
      - .offset:         52
        .size:           2
        .value_kind:     hidden_group_size_x
      - .offset:         54
        .size:           2
        .value_kind:     hidden_group_size_y
      - .offset:         56
        .size:           2
        .value_kind:     hidden_group_size_z
      - .offset:         58
        .size:           2
        .value_kind:     hidden_remainder_x
      - .offset:         60
        .size:           2
        .value_kind:     hidden_remainder_y
      - .offset:         62
        .size:           2
        .value_kind:     hidden_remainder_z
      - .offset:         80
        .size:           8
        .value_kind:     hidden_global_offset_x
      - .offset:         88
        .size:           8
        .value_kind:     hidden_global_offset_y
      - .offset:         96
        .size:           8
        .value_kind:     hidden_global_offset_z
      - .offset:         104
        .size:           2
        .value_kind:     hidden_grid_dims
    .group_segment_fixed_size: 0
    .kernarg_segment_align: 8
    .kernarg_segment_size: 296
    .language:       OpenCL C
    .language_version:
      - 2
      - 0
    .max_flat_workgroup_size: 1024
    .name:           _ZN2at6native12_GLOBAL__N_127reflection_pad1d_out_kernelIlEEvPKT_PS3_lll
    .private_segment_fixed_size: 0
    .sgpr_count:     21
    .sgpr_spill_count: 0
    .symbol:         _ZN2at6native12_GLOBAL__N_127reflection_pad1d_out_kernelIlEEvPKT_PS3_lll.kd
    .uniform_work_group_size: 1
    .uses_dynamic_stack: false
    .vgpr_count:     8
    .vgpr_spill_count: 0
    .wavefront_size: 32
    .workgroup_processor_mode: 1
  - .args:
      - .actual_access:  read_only
        .address_space:  global
        .offset:         0
        .size:           8
        .value_kind:     global_buffer
      - .actual_access:  write_only
        .address_space:  global
        .offset:         8
        .size:           8
        .value_kind:     global_buffer
      - .offset:         16
        .size:           8
        .value_kind:     by_value
      - .offset:         24
        .size:           8
        .value_kind:     by_value
      - .offset:         32
        .size:           8
        .value_kind:     by_value
      - .offset:         40
        .size:           8
        .value_kind:     by_value
      - .offset:         48
        .size:           8
        .value_kind:     by_value
      - .offset:         56
        .size:           4
        .value_kind:     hidden_block_count_x
      - .offset:         60
        .size:           4
        .value_kind:     hidden_block_count_y
      - .offset:         64
        .size:           4
        .value_kind:     hidden_block_count_z
      - .offset:         68
        .size:           2
        .value_kind:     hidden_group_size_x
      - .offset:         70
        .size:           2
        .value_kind:     hidden_group_size_y
      - .offset:         72
        .size:           2
        .value_kind:     hidden_group_size_z
      - .offset:         74
        .size:           2
        .value_kind:     hidden_remainder_x
      - .offset:         76
        .size:           2
        .value_kind:     hidden_remainder_y
      - .offset:         78
        .size:           2
        .value_kind:     hidden_remainder_z
      - .offset:         96
        .size:           8
        .value_kind:     hidden_global_offset_x
      - .offset:         104
        .size:           8
        .value_kind:     hidden_global_offset_y
      - .offset:         112
        .size:           8
        .value_kind:     hidden_global_offset_z
      - .offset:         120
        .size:           2
        .value_kind:     hidden_grid_dims
    .group_segment_fixed_size: 0
    .kernarg_segment_align: 8
    .kernarg_segment_size: 312
    .language:       OpenCL C
    .language_version:
      - 2
      - 0
    .max_flat_workgroup_size: 1024
    .name:           _ZN2at6native12_GLOBAL__N_121reflection_pad1d_flatIlEEvPKT_PS3_lllll
    .private_segment_fixed_size: 0
    .sgpr_count:     30
    .sgpr_spill_count: 0
    .symbol:         _ZN2at6native12_GLOBAL__N_121reflection_pad1d_flatIlEEvPKT_PS3_lllll.kd
    .uniform_work_group_size: 1
    .uses_dynamic_stack: false
    .vgpr_count:     20
    .vgpr_spill_count: 0
    .wavefront_size: 32
    .workgroup_processor_mode: 1
  - .args:
      - .address_space:  global
        .offset:         0
        .size:           8
        .value_kind:     global_buffer
      - .address_space:  global
        .offset:         8
        .size:           8
        .value_kind:     global_buffer
      - .offset:         16
        .size:           8
        .value_kind:     by_value
      - .offset:         24
        .size:           8
        .value_kind:     by_value
      - .offset:         32
        .size:           8
        .value_kind:     by_value
      - .offset:         40
        .size:           4
        .value_kind:     hidden_block_count_x
      - .offset:         44
        .size:           4
        .value_kind:     hidden_block_count_y
      - .offset:         48
        .size:           4
        .value_kind:     hidden_block_count_z
      - .offset:         52
        .size:           2
        .value_kind:     hidden_group_size_x
      - .offset:         54
        .size:           2
        .value_kind:     hidden_group_size_y
      - .offset:         56
        .size:           2
        .value_kind:     hidden_group_size_z
      - .offset:         58
        .size:           2
        .value_kind:     hidden_remainder_x
      - .offset:         60
        .size:           2
        .value_kind:     hidden_remainder_y
      - .offset:         62
        .size:           2
        .value_kind:     hidden_remainder_z
      - .offset:         80
        .size:           8
        .value_kind:     hidden_global_offset_x
      - .offset:         88
        .size:           8
        .value_kind:     hidden_global_offset_y
      - .offset:         96
        .size:           8
        .value_kind:     hidden_global_offset_z
      - .offset:         104
        .size:           2
        .value_kind:     hidden_grid_dims
    .group_segment_fixed_size: 0
    .kernarg_segment_align: 8
    .kernarg_segment_size: 296
    .language:       OpenCL C
    .language_version:
      - 2
      - 0
    .max_flat_workgroup_size: 1024
    .name:           _ZN2at6native12_GLOBAL__N_127reflection_pad1d_out_kernelIsEEvPKT_PS3_lll
    .private_segment_fixed_size: 0
    .sgpr_count:     21
    .sgpr_spill_count: 0
    .symbol:         _ZN2at6native12_GLOBAL__N_127reflection_pad1d_out_kernelIsEEvPKT_PS3_lll.kd
    .uniform_work_group_size: 1
    .uses_dynamic_stack: false
    .vgpr_count:     8
    .vgpr_spill_count: 0
    .wavefront_size: 32
    .workgroup_processor_mode: 1
  - .args:
      - .actual_access:  read_only
        .address_space:  global
        .offset:         0
        .size:           8
        .value_kind:     global_buffer
      - .actual_access:  write_only
        .address_space:  global
        .offset:         8
        .size:           8
        .value_kind:     global_buffer
      - .offset:         16
        .size:           8
        .value_kind:     by_value
      - .offset:         24
        .size:           8
        .value_kind:     by_value
      - .offset:         32
        .size:           8
        .value_kind:     by_value
      - .offset:         40
        .size:           8
        .value_kind:     by_value
      - .offset:         48
        .size:           8
        .value_kind:     by_value
      - .offset:         56
        .size:           4
        .value_kind:     hidden_block_count_x
      - .offset:         60
        .size:           4
        .value_kind:     hidden_block_count_y
      - .offset:         64
        .size:           4
        .value_kind:     hidden_block_count_z
      - .offset:         68
        .size:           2
        .value_kind:     hidden_group_size_x
      - .offset:         70
        .size:           2
        .value_kind:     hidden_group_size_y
      - .offset:         72
        .size:           2
        .value_kind:     hidden_group_size_z
      - .offset:         74
        .size:           2
        .value_kind:     hidden_remainder_x
      - .offset:         76
        .size:           2
        .value_kind:     hidden_remainder_y
      - .offset:         78
        .size:           2
        .value_kind:     hidden_remainder_z
      - .offset:         96
        .size:           8
        .value_kind:     hidden_global_offset_x
      - .offset:         104
        .size:           8
        .value_kind:     hidden_global_offset_y
      - .offset:         112
        .size:           8
        .value_kind:     hidden_global_offset_z
      - .offset:         120
        .size:           2
        .value_kind:     hidden_grid_dims
    .group_segment_fixed_size: 0
    .kernarg_segment_align: 8
    .kernarg_segment_size: 312
    .language:       OpenCL C
    .language_version:
      - 2
      - 0
    .max_flat_workgroup_size: 1024
    .name:           _ZN2at6native12_GLOBAL__N_121reflection_pad1d_flatIsEEvPKT_PS3_lllll
    .private_segment_fixed_size: 0
    .sgpr_count:     46
    .sgpr_spill_count: 0
    .symbol:         _ZN2at6native12_GLOBAL__N_121reflection_pad1d_flatIsEEvPKT_PS3_lllll.kd
    .uniform_work_group_size: 1
    .uses_dynamic_stack: false
    .vgpr_count:     37
    .vgpr_spill_count: 0
    .wavefront_size: 32
    .workgroup_processor_mode: 1
  - .args:
      - .address_space:  global
        .offset:         0
        .size:           8
        .value_kind:     global_buffer
      - .address_space:  global
        .offset:         8
        .size:           8
        .value_kind:     global_buffer
      - .offset:         16
        .size:           8
        .value_kind:     by_value
      - .offset:         24
        .size:           8
        .value_kind:     by_value
      - .offset:         32
        .size:           8
        .value_kind:     by_value
      - .offset:         40
        .size:           4
        .value_kind:     hidden_block_count_x
      - .offset:         44
        .size:           4
        .value_kind:     hidden_block_count_y
      - .offset:         48
        .size:           4
        .value_kind:     hidden_block_count_z
      - .offset:         52
        .size:           2
        .value_kind:     hidden_group_size_x
      - .offset:         54
        .size:           2
        .value_kind:     hidden_group_size_y
      - .offset:         56
        .size:           2
        .value_kind:     hidden_group_size_z
      - .offset:         58
        .size:           2
        .value_kind:     hidden_remainder_x
      - .offset:         60
        .size:           2
        .value_kind:     hidden_remainder_y
      - .offset:         62
        .size:           2
        .value_kind:     hidden_remainder_z
      - .offset:         80
        .size:           8
        .value_kind:     hidden_global_offset_x
      - .offset:         88
        .size:           8
        .value_kind:     hidden_global_offset_y
      - .offset:         96
        .size:           8
        .value_kind:     hidden_global_offset_z
      - .offset:         104
        .size:           2
        .value_kind:     hidden_grid_dims
    .group_segment_fixed_size: 0
    .kernarg_segment_align: 8
    .kernarg_segment_size: 296
    .language:       OpenCL C
    .language_version:
      - 2
      - 0
    .max_flat_workgroup_size: 1024
    .name:           _ZN2at6native12_GLOBAL__N_127reflection_pad1d_out_kernelIdEEvPKT_PS3_lll
    .private_segment_fixed_size: 0
    .sgpr_count:     21
    .sgpr_spill_count: 0
    .symbol:         _ZN2at6native12_GLOBAL__N_127reflection_pad1d_out_kernelIdEEvPKT_PS3_lll.kd
    .uniform_work_group_size: 1
    .uses_dynamic_stack: false
    .vgpr_count:     8
    .vgpr_spill_count: 0
    .wavefront_size: 32
    .workgroup_processor_mode: 1
  - .args:
      - .actual_access:  read_only
        .address_space:  global
        .offset:         0
        .size:           8
        .value_kind:     global_buffer
      - .actual_access:  write_only
        .address_space:  global
        .offset:         8
        .size:           8
        .value_kind:     global_buffer
      - .offset:         16
        .size:           8
        .value_kind:     by_value
      - .offset:         24
        .size:           8
        .value_kind:     by_value
      - .offset:         32
        .size:           8
        .value_kind:     by_value
      - .offset:         40
        .size:           8
        .value_kind:     by_value
      - .offset:         48
        .size:           8
        .value_kind:     by_value
      - .offset:         56
        .size:           4
        .value_kind:     hidden_block_count_x
      - .offset:         60
        .size:           4
        .value_kind:     hidden_block_count_y
      - .offset:         64
        .size:           4
        .value_kind:     hidden_block_count_z
      - .offset:         68
        .size:           2
        .value_kind:     hidden_group_size_x
      - .offset:         70
        .size:           2
        .value_kind:     hidden_group_size_y
      - .offset:         72
        .size:           2
        .value_kind:     hidden_group_size_z
      - .offset:         74
        .size:           2
        .value_kind:     hidden_remainder_x
      - .offset:         76
        .size:           2
        .value_kind:     hidden_remainder_y
      - .offset:         78
        .size:           2
        .value_kind:     hidden_remainder_z
      - .offset:         96
        .size:           8
        .value_kind:     hidden_global_offset_x
      - .offset:         104
        .size:           8
        .value_kind:     hidden_global_offset_y
      - .offset:         112
        .size:           8
        .value_kind:     hidden_global_offset_z
      - .offset:         120
        .size:           2
        .value_kind:     hidden_grid_dims
    .group_segment_fixed_size: 0
    .kernarg_segment_align: 8
    .kernarg_segment_size: 312
    .language:       OpenCL C
    .language_version:
      - 2
      - 0
    .max_flat_workgroup_size: 1024
    .name:           _ZN2at6native12_GLOBAL__N_121reflection_pad1d_flatIdEEvPKT_PS3_lllll
    .private_segment_fixed_size: 0
    .sgpr_count:     30
    .sgpr_spill_count: 0
    .symbol:         _ZN2at6native12_GLOBAL__N_121reflection_pad1d_flatIdEEvPKT_PS3_lllll.kd
    .uniform_work_group_size: 1
    .uses_dynamic_stack: false
    .vgpr_count:     20
    .vgpr_spill_count: 0
    .wavefront_size: 32
    .workgroup_processor_mode: 1
  - .args:
      - .address_space:  global
        .offset:         0
        .size:           8
        .value_kind:     global_buffer
      - .address_space:  global
        .offset:         8
        .size:           8
        .value_kind:     global_buffer
      - .offset:         16
        .size:           8
        .value_kind:     by_value
      - .offset:         24
        .size:           8
        .value_kind:     by_value
      - .offset:         32
        .size:           8
        .value_kind:     by_value
      - .offset:         40
        .size:           4
        .value_kind:     hidden_block_count_x
      - .offset:         44
        .size:           4
        .value_kind:     hidden_block_count_y
      - .offset:         48
        .size:           4
        .value_kind:     hidden_block_count_z
      - .offset:         52
        .size:           2
        .value_kind:     hidden_group_size_x
      - .offset:         54
        .size:           2
        .value_kind:     hidden_group_size_y
      - .offset:         56
        .size:           2
        .value_kind:     hidden_group_size_z
      - .offset:         58
        .size:           2
        .value_kind:     hidden_remainder_x
      - .offset:         60
        .size:           2
        .value_kind:     hidden_remainder_y
      - .offset:         62
        .size:           2
        .value_kind:     hidden_remainder_z
      - .offset:         80
        .size:           8
        .value_kind:     hidden_global_offset_x
      - .offset:         88
        .size:           8
        .value_kind:     hidden_global_offset_y
      - .offset:         96
        .size:           8
        .value_kind:     hidden_global_offset_z
      - .offset:         104
        .size:           2
        .value_kind:     hidden_grid_dims
    .group_segment_fixed_size: 0
    .kernarg_segment_align: 8
    .kernarg_segment_size: 296
    .language:       OpenCL C
    .language_version:
      - 2
      - 0
    .max_flat_workgroup_size: 1024
    .name:           _ZN2at6native12_GLOBAL__N_127reflection_pad1d_out_kernelIfEEvPKT_PS3_lll
    .private_segment_fixed_size: 0
    .sgpr_count:     21
    .sgpr_spill_count: 0
    .symbol:         _ZN2at6native12_GLOBAL__N_127reflection_pad1d_out_kernelIfEEvPKT_PS3_lll.kd
    .uniform_work_group_size: 1
    .uses_dynamic_stack: false
    .vgpr_count:     8
    .vgpr_spill_count: 0
    .wavefront_size: 32
    .workgroup_processor_mode: 1
  - .args:
      - .actual_access:  read_only
        .address_space:  global
        .offset:         0
        .size:           8
        .value_kind:     global_buffer
      - .actual_access:  write_only
        .address_space:  global
        .offset:         8
        .size:           8
        .value_kind:     global_buffer
      - .offset:         16
        .size:           8
        .value_kind:     by_value
      - .offset:         24
        .size:           8
        .value_kind:     by_value
      - .offset:         32
        .size:           8
        .value_kind:     by_value
      - .offset:         40
        .size:           8
        .value_kind:     by_value
      - .offset:         48
        .size:           8
        .value_kind:     by_value
      - .offset:         56
        .size:           4
        .value_kind:     hidden_block_count_x
      - .offset:         60
        .size:           4
        .value_kind:     hidden_block_count_y
      - .offset:         64
        .size:           4
        .value_kind:     hidden_block_count_z
      - .offset:         68
        .size:           2
        .value_kind:     hidden_group_size_x
      - .offset:         70
        .size:           2
        .value_kind:     hidden_group_size_y
      - .offset:         72
        .size:           2
        .value_kind:     hidden_group_size_z
      - .offset:         74
        .size:           2
        .value_kind:     hidden_remainder_x
      - .offset:         76
        .size:           2
        .value_kind:     hidden_remainder_y
      - .offset:         78
        .size:           2
        .value_kind:     hidden_remainder_z
      - .offset:         96
        .size:           8
        .value_kind:     hidden_global_offset_x
      - .offset:         104
        .size:           8
        .value_kind:     hidden_global_offset_y
      - .offset:         112
        .size:           8
        .value_kind:     hidden_global_offset_z
      - .offset:         120
        .size:           2
        .value_kind:     hidden_grid_dims
    .group_segment_fixed_size: 0
    .kernarg_segment_align: 8
    .kernarg_segment_size: 312
    .language:       OpenCL C
    .language_version:
      - 2
      - 0
    .max_flat_workgroup_size: 1024
    .name:           _ZN2at6native12_GLOBAL__N_121reflection_pad1d_flatIfEEvPKT_PS3_lllll
    .private_segment_fixed_size: 0
    .sgpr_count:     30
    .sgpr_spill_count: 0
    .symbol:         _ZN2at6native12_GLOBAL__N_121reflection_pad1d_flatIfEEvPKT_PS3_lllll.kd
    .uniform_work_group_size: 1
    .uses_dynamic_stack: false
    .vgpr_count:     20
    .vgpr_spill_count: 0
    .wavefront_size: 32
    .workgroup_processor_mode: 1
  - .args:
      - .address_space:  global
        .offset:         0
        .size:           8
        .value_kind:     global_buffer
      - .address_space:  global
        .offset:         8
        .size:           8
        .value_kind:     global_buffer
      - .offset:         16
        .size:           8
        .value_kind:     by_value
      - .offset:         24
        .size:           8
        .value_kind:     by_value
      - .offset:         32
        .size:           8
        .value_kind:     by_value
      - .offset:         40
        .size:           4
        .value_kind:     hidden_block_count_x
      - .offset:         44
        .size:           4
        .value_kind:     hidden_block_count_y
      - .offset:         48
        .size:           4
        .value_kind:     hidden_block_count_z
      - .offset:         52
        .size:           2
        .value_kind:     hidden_group_size_x
      - .offset:         54
        .size:           2
        .value_kind:     hidden_group_size_y
      - .offset:         56
        .size:           2
        .value_kind:     hidden_group_size_z
      - .offset:         58
        .size:           2
        .value_kind:     hidden_remainder_x
      - .offset:         60
        .size:           2
        .value_kind:     hidden_remainder_y
      - .offset:         62
        .size:           2
        .value_kind:     hidden_remainder_z
      - .offset:         80
        .size:           8
        .value_kind:     hidden_global_offset_x
      - .offset:         88
        .size:           8
        .value_kind:     hidden_global_offset_y
      - .offset:         96
        .size:           8
        .value_kind:     hidden_global_offset_z
      - .offset:         104
        .size:           2
        .value_kind:     hidden_grid_dims
    .group_segment_fixed_size: 0
    .kernarg_segment_align: 8
    .kernarg_segment_size: 296
    .language:       OpenCL C
    .language_version:
      - 2
      - 0
    .max_flat_workgroup_size: 1024
    .name:           _ZN2at6native12_GLOBAL__N_127reflection_pad1d_out_kernelIN3c107complexIdEEEEvPKT_PS6_lll
    .private_segment_fixed_size: 0
    .sgpr_count:     21
    .sgpr_spill_count: 0
    .symbol:         _ZN2at6native12_GLOBAL__N_127reflection_pad1d_out_kernelIN3c107complexIdEEEEvPKT_PS6_lll.kd
    .uniform_work_group_size: 1
    .uses_dynamic_stack: false
    .vgpr_count:     8
    .vgpr_spill_count: 0
    .wavefront_size: 32
    .workgroup_processor_mode: 1
  - .args:
      - .actual_access:  read_only
        .address_space:  global
        .offset:         0
        .size:           8
        .value_kind:     global_buffer
      - .actual_access:  write_only
        .address_space:  global
        .offset:         8
        .size:           8
        .value_kind:     global_buffer
      - .offset:         16
        .size:           8
        .value_kind:     by_value
      - .offset:         24
        .size:           8
        .value_kind:     by_value
      - .offset:         32
        .size:           8
        .value_kind:     by_value
      - .offset:         40
        .size:           8
        .value_kind:     by_value
      - .offset:         48
        .size:           8
        .value_kind:     by_value
      - .offset:         56
        .size:           4
        .value_kind:     hidden_block_count_x
      - .offset:         60
        .size:           4
        .value_kind:     hidden_block_count_y
      - .offset:         64
        .size:           4
        .value_kind:     hidden_block_count_z
      - .offset:         68
        .size:           2
        .value_kind:     hidden_group_size_x
      - .offset:         70
        .size:           2
        .value_kind:     hidden_group_size_y
      - .offset:         72
        .size:           2
        .value_kind:     hidden_group_size_z
      - .offset:         74
        .size:           2
        .value_kind:     hidden_remainder_x
      - .offset:         76
        .size:           2
        .value_kind:     hidden_remainder_y
      - .offset:         78
        .size:           2
        .value_kind:     hidden_remainder_z
      - .offset:         96
        .size:           8
        .value_kind:     hidden_global_offset_x
      - .offset:         104
        .size:           8
        .value_kind:     hidden_global_offset_y
      - .offset:         112
        .size:           8
        .value_kind:     hidden_global_offset_z
      - .offset:         120
        .size:           2
        .value_kind:     hidden_grid_dims
    .group_segment_fixed_size: 0
    .kernarg_segment_align: 8
    .kernarg_segment_size: 312
    .language:       OpenCL C
    .language_version:
      - 2
      - 0
    .max_flat_workgroup_size: 1024
    .name:           _ZN2at6native12_GLOBAL__N_121reflection_pad1d_flatIN3c107complexIdEEEEvPKT_PS6_lllll
    .private_segment_fixed_size: 0
    .sgpr_count:     30
    .sgpr_spill_count: 0
    .symbol:         _ZN2at6native12_GLOBAL__N_121reflection_pad1d_flatIN3c107complexIdEEEEvPKT_PS6_lllll.kd
    .uniform_work_group_size: 1
    .uses_dynamic_stack: false
    .vgpr_count:     20
    .vgpr_spill_count: 0
    .wavefront_size: 32
    .workgroup_processor_mode: 1
  - .args:
      - .address_space:  global
        .offset:         0
        .size:           8
        .value_kind:     global_buffer
      - .address_space:  global
        .offset:         8
        .size:           8
        .value_kind:     global_buffer
      - .offset:         16
        .size:           8
        .value_kind:     by_value
      - .offset:         24
        .size:           8
        .value_kind:     by_value
      - .offset:         32
        .size:           8
        .value_kind:     by_value
      - .offset:         40
        .size:           4
        .value_kind:     hidden_block_count_x
      - .offset:         44
        .size:           4
        .value_kind:     hidden_block_count_y
      - .offset:         48
        .size:           4
        .value_kind:     hidden_block_count_z
      - .offset:         52
        .size:           2
        .value_kind:     hidden_group_size_x
      - .offset:         54
        .size:           2
        .value_kind:     hidden_group_size_y
      - .offset:         56
        .size:           2
        .value_kind:     hidden_group_size_z
      - .offset:         58
        .size:           2
        .value_kind:     hidden_remainder_x
      - .offset:         60
        .size:           2
        .value_kind:     hidden_remainder_y
      - .offset:         62
        .size:           2
        .value_kind:     hidden_remainder_z
      - .offset:         80
        .size:           8
        .value_kind:     hidden_global_offset_x
      - .offset:         88
        .size:           8
        .value_kind:     hidden_global_offset_y
      - .offset:         96
        .size:           8
        .value_kind:     hidden_global_offset_z
      - .offset:         104
        .size:           2
        .value_kind:     hidden_grid_dims
    .group_segment_fixed_size: 0
    .kernarg_segment_align: 8
    .kernarg_segment_size: 296
    .language:       OpenCL C
    .language_version:
      - 2
      - 0
    .max_flat_workgroup_size: 1024
    .name:           _ZN2at6native12_GLOBAL__N_127reflection_pad1d_out_kernelIN3c107complexIfEEEEvPKT_PS6_lll
    .private_segment_fixed_size: 0
    .sgpr_count:     21
    .sgpr_spill_count: 0
    .symbol:         _ZN2at6native12_GLOBAL__N_127reflection_pad1d_out_kernelIN3c107complexIfEEEEvPKT_PS6_lll.kd
    .uniform_work_group_size: 1
    .uses_dynamic_stack: false
    .vgpr_count:     8
    .vgpr_spill_count: 0
    .wavefront_size: 32
    .workgroup_processor_mode: 1
  - .args:
      - .actual_access:  read_only
        .address_space:  global
        .offset:         0
        .size:           8
        .value_kind:     global_buffer
      - .actual_access:  write_only
        .address_space:  global
        .offset:         8
        .size:           8
        .value_kind:     global_buffer
      - .offset:         16
        .size:           8
        .value_kind:     by_value
      - .offset:         24
        .size:           8
        .value_kind:     by_value
      - .offset:         32
        .size:           8
        .value_kind:     by_value
      - .offset:         40
        .size:           8
        .value_kind:     by_value
      - .offset:         48
        .size:           8
        .value_kind:     by_value
      - .offset:         56
        .size:           4
        .value_kind:     hidden_block_count_x
      - .offset:         60
        .size:           4
        .value_kind:     hidden_block_count_y
      - .offset:         64
        .size:           4
        .value_kind:     hidden_block_count_z
      - .offset:         68
        .size:           2
        .value_kind:     hidden_group_size_x
      - .offset:         70
        .size:           2
        .value_kind:     hidden_group_size_y
      - .offset:         72
        .size:           2
        .value_kind:     hidden_group_size_z
      - .offset:         74
        .size:           2
        .value_kind:     hidden_remainder_x
      - .offset:         76
        .size:           2
        .value_kind:     hidden_remainder_y
      - .offset:         78
        .size:           2
        .value_kind:     hidden_remainder_z
      - .offset:         96
        .size:           8
        .value_kind:     hidden_global_offset_x
      - .offset:         104
        .size:           8
        .value_kind:     hidden_global_offset_y
      - .offset:         112
        .size:           8
        .value_kind:     hidden_global_offset_z
      - .offset:         120
        .size:           2
        .value_kind:     hidden_grid_dims
    .group_segment_fixed_size: 0
    .kernarg_segment_align: 8
    .kernarg_segment_size: 312
    .language:       OpenCL C
    .language_version:
      - 2
      - 0
    .max_flat_workgroup_size: 1024
    .name:           _ZN2at6native12_GLOBAL__N_121reflection_pad1d_flatIN3c107complexIfEEEEvPKT_PS6_lllll
    .private_segment_fixed_size: 0
    .sgpr_count:     30
    .sgpr_spill_count: 0
    .symbol:         _ZN2at6native12_GLOBAL__N_121reflection_pad1d_flatIN3c107complexIfEEEEvPKT_PS6_lllll.kd
    .uniform_work_group_size: 1
    .uses_dynamic_stack: false
    .vgpr_count:     20
    .vgpr_spill_count: 0
    .wavefront_size: 32
    .workgroup_processor_mode: 1
  - .args:
      - .address_space:  global
        .offset:         0
        .size:           8
        .value_kind:     global_buffer
      - .address_space:  global
        .offset:         8
        .size:           8
        .value_kind:     global_buffer
      - .offset:         16
        .size:           8
        .value_kind:     by_value
      - .offset:         24
        .size:           8
        .value_kind:     by_value
      - .offset:         32
        .size:           8
        .value_kind:     by_value
      - .offset:         40
        .size:           4
        .value_kind:     hidden_block_count_x
      - .offset:         44
        .size:           4
        .value_kind:     hidden_block_count_y
      - .offset:         48
        .size:           4
        .value_kind:     hidden_block_count_z
      - .offset:         52
        .size:           2
        .value_kind:     hidden_group_size_x
      - .offset:         54
        .size:           2
        .value_kind:     hidden_group_size_y
      - .offset:         56
        .size:           2
        .value_kind:     hidden_group_size_z
      - .offset:         58
        .size:           2
        .value_kind:     hidden_remainder_x
      - .offset:         60
        .size:           2
        .value_kind:     hidden_remainder_y
      - .offset:         62
        .size:           2
        .value_kind:     hidden_remainder_z
      - .offset:         80
        .size:           8
        .value_kind:     hidden_global_offset_x
      - .offset:         88
        .size:           8
        .value_kind:     hidden_global_offset_y
      - .offset:         96
        .size:           8
        .value_kind:     hidden_global_offset_z
      - .offset:         104
        .size:           2
        .value_kind:     hidden_grid_dims
    .group_segment_fixed_size: 0
    .kernarg_segment_align: 8
    .kernarg_segment_size: 296
    .language:       OpenCL C
    .language_version:
      - 2
      - 0
    .max_flat_workgroup_size: 1024
    .name:           _ZN2at6native12_GLOBAL__N_127reflection_pad1d_out_kernelIN3c104HalfEEEvPKT_PS5_lll
    .private_segment_fixed_size: 0
    .sgpr_count:     21
    .sgpr_spill_count: 0
    .symbol:         _ZN2at6native12_GLOBAL__N_127reflection_pad1d_out_kernelIN3c104HalfEEEvPKT_PS5_lll.kd
    .uniform_work_group_size: 1
    .uses_dynamic_stack: false
    .vgpr_count:     8
    .vgpr_spill_count: 0
    .wavefront_size: 32
    .workgroup_processor_mode: 1
  - .args:
      - .actual_access:  read_only
        .address_space:  global
        .offset:         0
        .size:           8
        .value_kind:     global_buffer
      - .actual_access:  write_only
        .address_space:  global
        .offset:         8
        .size:           8
        .value_kind:     global_buffer
      - .offset:         16
        .size:           8
        .value_kind:     by_value
      - .offset:         24
        .size:           8
        .value_kind:     by_value
      - .offset:         32
        .size:           8
        .value_kind:     by_value
      - .offset:         40
        .size:           8
        .value_kind:     by_value
      - .offset:         48
        .size:           8
        .value_kind:     by_value
      - .offset:         56
        .size:           4
        .value_kind:     hidden_block_count_x
      - .offset:         60
        .size:           4
        .value_kind:     hidden_block_count_y
      - .offset:         64
        .size:           4
        .value_kind:     hidden_block_count_z
      - .offset:         68
        .size:           2
        .value_kind:     hidden_group_size_x
      - .offset:         70
        .size:           2
        .value_kind:     hidden_group_size_y
      - .offset:         72
        .size:           2
        .value_kind:     hidden_group_size_z
      - .offset:         74
        .size:           2
        .value_kind:     hidden_remainder_x
      - .offset:         76
        .size:           2
        .value_kind:     hidden_remainder_y
      - .offset:         78
        .size:           2
        .value_kind:     hidden_remainder_z
      - .offset:         96
        .size:           8
        .value_kind:     hidden_global_offset_x
      - .offset:         104
        .size:           8
        .value_kind:     hidden_global_offset_y
      - .offset:         112
        .size:           8
        .value_kind:     hidden_global_offset_z
      - .offset:         120
        .size:           2
        .value_kind:     hidden_grid_dims
    .group_segment_fixed_size: 0
    .kernarg_segment_align: 8
    .kernarg_segment_size: 312
    .language:       OpenCL C
    .language_version:
      - 2
      - 0
    .max_flat_workgroup_size: 1024
    .name:           _ZN2at6native12_GLOBAL__N_121reflection_pad1d_flatIN3c104HalfEEEvPKT_PS5_lllll
    .private_segment_fixed_size: 0
    .sgpr_count:     46
    .sgpr_spill_count: 0
    .symbol:         _ZN2at6native12_GLOBAL__N_121reflection_pad1d_flatIN3c104HalfEEEvPKT_PS5_lllll.kd
    .uniform_work_group_size: 1
    .uses_dynamic_stack: false
    .vgpr_count:     37
    .vgpr_spill_count: 0
    .wavefront_size: 32
    .workgroup_processor_mode: 1
  - .args:
      - .address_space:  global
        .offset:         0
        .size:           8
        .value_kind:     global_buffer
      - .address_space:  global
        .offset:         8
        .size:           8
        .value_kind:     global_buffer
      - .offset:         16
        .size:           8
        .value_kind:     by_value
      - .offset:         24
        .size:           8
        .value_kind:     by_value
      - .offset:         32
        .size:           8
        .value_kind:     by_value
      - .offset:         40
        .size:           4
        .value_kind:     hidden_block_count_x
      - .offset:         44
        .size:           4
        .value_kind:     hidden_block_count_y
      - .offset:         48
        .size:           4
        .value_kind:     hidden_block_count_z
      - .offset:         52
        .size:           2
        .value_kind:     hidden_group_size_x
      - .offset:         54
        .size:           2
        .value_kind:     hidden_group_size_y
      - .offset:         56
        .size:           2
        .value_kind:     hidden_group_size_z
      - .offset:         58
        .size:           2
        .value_kind:     hidden_remainder_x
      - .offset:         60
        .size:           2
        .value_kind:     hidden_remainder_y
      - .offset:         62
        .size:           2
        .value_kind:     hidden_remainder_z
      - .offset:         80
        .size:           8
        .value_kind:     hidden_global_offset_x
      - .offset:         88
        .size:           8
        .value_kind:     hidden_global_offset_y
      - .offset:         96
        .size:           8
        .value_kind:     hidden_global_offset_z
      - .offset:         104
        .size:           2
        .value_kind:     hidden_grid_dims
    .group_segment_fixed_size: 0
    .kernarg_segment_align: 8
    .kernarg_segment_size: 296
    .language:       OpenCL C
    .language_version:
      - 2
      - 0
    .max_flat_workgroup_size: 1024
    .name:           _ZN2at6native12_GLOBAL__N_127reflection_pad1d_out_kernelIN3c108BFloat16EEEvPKT_PS5_lll
    .private_segment_fixed_size: 0
    .sgpr_count:     21
    .sgpr_spill_count: 0
    .symbol:         _ZN2at6native12_GLOBAL__N_127reflection_pad1d_out_kernelIN3c108BFloat16EEEvPKT_PS5_lll.kd
    .uniform_work_group_size: 1
    .uses_dynamic_stack: false
    .vgpr_count:     8
    .vgpr_spill_count: 0
    .wavefront_size: 32
    .workgroup_processor_mode: 1
  - .args:
      - .actual_access:  read_only
        .address_space:  global
        .offset:         0
        .size:           8
        .value_kind:     global_buffer
      - .actual_access:  write_only
        .address_space:  global
        .offset:         8
        .size:           8
        .value_kind:     global_buffer
      - .offset:         16
        .size:           8
        .value_kind:     by_value
      - .offset:         24
        .size:           8
        .value_kind:     by_value
      - .offset:         32
        .size:           8
        .value_kind:     by_value
      - .offset:         40
        .size:           8
        .value_kind:     by_value
      - .offset:         48
        .size:           8
        .value_kind:     by_value
      - .offset:         56
        .size:           4
        .value_kind:     hidden_block_count_x
      - .offset:         60
        .size:           4
        .value_kind:     hidden_block_count_y
      - .offset:         64
        .size:           4
        .value_kind:     hidden_block_count_z
      - .offset:         68
        .size:           2
        .value_kind:     hidden_group_size_x
      - .offset:         70
        .size:           2
        .value_kind:     hidden_group_size_y
      - .offset:         72
        .size:           2
        .value_kind:     hidden_group_size_z
      - .offset:         74
        .size:           2
        .value_kind:     hidden_remainder_x
      - .offset:         76
        .size:           2
        .value_kind:     hidden_remainder_y
      - .offset:         78
        .size:           2
        .value_kind:     hidden_remainder_z
      - .offset:         96
        .size:           8
        .value_kind:     hidden_global_offset_x
      - .offset:         104
        .size:           8
        .value_kind:     hidden_global_offset_y
      - .offset:         112
        .size:           8
        .value_kind:     hidden_global_offset_z
      - .offset:         120
        .size:           2
        .value_kind:     hidden_grid_dims
    .group_segment_fixed_size: 0
    .kernarg_segment_align: 8
    .kernarg_segment_size: 312
    .language:       OpenCL C
    .language_version:
      - 2
      - 0
    .max_flat_workgroup_size: 1024
    .name:           _ZN2at6native12_GLOBAL__N_121reflection_pad1d_flatIN3c108BFloat16EEEvPKT_PS5_lllll
    .private_segment_fixed_size: 0
    .sgpr_count:     46
    .sgpr_spill_count: 0
    .symbol:         _ZN2at6native12_GLOBAL__N_121reflection_pad1d_flatIN3c108BFloat16EEEvPKT_PS5_lllll.kd
    .uniform_work_group_size: 1
    .uses_dynamic_stack: false
    .vgpr_count:     37
    .vgpr_spill_count: 0
    .wavefront_size: 32
    .workgroup_processor_mode: 1
  - .args:
      - .address_space:  global
        .offset:         0
        .size:           8
        .value_kind:     global_buffer
      - .address_space:  global
        .offset:         8
        .size:           8
        .value_kind:     global_buffer
      - .offset:         16
        .size:           8
        .value_kind:     by_value
      - .offset:         24
        .size:           8
        .value_kind:     by_value
      - .offset:         32
        .size:           8
        .value_kind:     by_value
      - .offset:         40
        .size:           4
        .value_kind:     hidden_block_count_x
      - .offset:         44
        .size:           4
        .value_kind:     hidden_block_count_y
      - .offset:         48
        .size:           4
        .value_kind:     hidden_block_count_z
      - .offset:         52
        .size:           2
        .value_kind:     hidden_group_size_x
      - .offset:         54
        .size:           2
        .value_kind:     hidden_group_size_y
      - .offset:         56
        .size:           2
        .value_kind:     hidden_group_size_z
      - .offset:         58
        .size:           2
        .value_kind:     hidden_remainder_x
      - .offset:         60
        .size:           2
        .value_kind:     hidden_remainder_y
      - .offset:         62
        .size:           2
        .value_kind:     hidden_remainder_z
      - .offset:         80
        .size:           8
        .value_kind:     hidden_global_offset_x
      - .offset:         88
        .size:           8
        .value_kind:     hidden_global_offset_y
      - .offset:         96
        .size:           8
        .value_kind:     hidden_global_offset_z
      - .offset:         104
        .size:           2
        .value_kind:     hidden_grid_dims
    .group_segment_fixed_size: 0
    .kernarg_segment_align: 8
    .kernarg_segment_size: 296
    .language:       OpenCL C
    .language_version:
      - 2
      - 0
    .max_flat_workgroup_size: 1024
    .name:           _ZN2at6native12_GLOBAL__N_136reflection_pad1d_backward_out_kernelIdEEvPT_PKS3_lll
    .private_segment_fixed_size: 0
    .sgpr_count:     21
    .sgpr_spill_count: 0
    .symbol:         _ZN2at6native12_GLOBAL__N_136reflection_pad1d_backward_out_kernelIdEEvPT_PKS3_lll.kd
    .uniform_work_group_size: 1
    .uses_dynamic_stack: false
    .vgpr_count:     8
    .vgpr_spill_count: 0
    .wavefront_size: 32
    .workgroup_processor_mode: 1
  - .args:
      - .address_space:  global
        .offset:         0
        .size:           8
        .value_kind:     global_buffer
      - .actual_access:  read_only
        .address_space:  global
        .offset:         8
        .size:           8
        .value_kind:     global_buffer
      - .offset:         16
        .size:           8
        .value_kind:     by_value
      - .offset:         24
        .size:           8
        .value_kind:     by_value
      - .offset:         32
        .size:           8
        .value_kind:     by_value
      - .offset:         40
        .size:           8
        .value_kind:     by_value
      - .offset:         48
        .size:           4
        .value_kind:     hidden_block_count_x
      - .offset:         52
        .size:           4
        .value_kind:     hidden_block_count_y
      - .offset:         56
        .size:           4
        .value_kind:     hidden_block_count_z
      - .offset:         60
        .size:           2
        .value_kind:     hidden_group_size_x
      - .offset:         62
        .size:           2
        .value_kind:     hidden_group_size_y
      - .offset:         64
        .size:           2
        .value_kind:     hidden_group_size_z
      - .offset:         66
        .size:           2
        .value_kind:     hidden_remainder_x
      - .offset:         68
        .size:           2
        .value_kind:     hidden_remainder_y
      - .offset:         70
        .size:           2
        .value_kind:     hidden_remainder_z
      - .offset:         88
        .size:           8
        .value_kind:     hidden_global_offset_x
      - .offset:         96
        .size:           8
        .value_kind:     hidden_global_offset_y
      - .offset:         104
        .size:           8
        .value_kind:     hidden_global_offset_z
      - .offset:         112
        .size:           2
        .value_kind:     hidden_grid_dims
    .group_segment_fixed_size: 0
    .kernarg_segment_align: 8
    .kernarg_segment_size: 304
    .language:       OpenCL C
    .language_version:
      - 2
      - 0
    .max_flat_workgroup_size: 1024
    .name:           _ZN2at6native12_GLOBAL__N_130reflection_pad1d_backward_flatIdEEvPT_PKS3_llll
    .private_segment_fixed_size: 0
    .sgpr_count:     28
    .sgpr_spill_count: 0
    .symbol:         _ZN2at6native12_GLOBAL__N_130reflection_pad1d_backward_flatIdEEvPT_PKS3_llll.kd
    .uniform_work_group_size: 1
    .uses_dynamic_stack: false
    .vgpr_count:     18
    .vgpr_spill_count: 0
    .wavefront_size: 32
    .workgroup_processor_mode: 1
  - .args:
      - .address_space:  global
        .offset:         0
        .size:           8
        .value_kind:     global_buffer
      - .address_space:  global
        .offset:         8
        .size:           8
        .value_kind:     global_buffer
      - .offset:         16
        .size:           8
        .value_kind:     by_value
      - .offset:         24
        .size:           8
        .value_kind:     by_value
      - .offset:         32
        .size:           8
        .value_kind:     by_value
      - .offset:         40
        .size:           4
        .value_kind:     hidden_block_count_x
      - .offset:         44
        .size:           4
        .value_kind:     hidden_block_count_y
      - .offset:         48
        .size:           4
        .value_kind:     hidden_block_count_z
      - .offset:         52
        .size:           2
        .value_kind:     hidden_group_size_x
      - .offset:         54
        .size:           2
        .value_kind:     hidden_group_size_y
      - .offset:         56
        .size:           2
        .value_kind:     hidden_group_size_z
      - .offset:         58
        .size:           2
        .value_kind:     hidden_remainder_x
      - .offset:         60
        .size:           2
        .value_kind:     hidden_remainder_y
      - .offset:         62
        .size:           2
        .value_kind:     hidden_remainder_z
      - .offset:         80
        .size:           8
        .value_kind:     hidden_global_offset_x
      - .offset:         88
        .size:           8
        .value_kind:     hidden_global_offset_y
      - .offset:         96
        .size:           8
        .value_kind:     hidden_global_offset_z
      - .offset:         104
        .size:           2
        .value_kind:     hidden_grid_dims
    .group_segment_fixed_size: 0
    .kernarg_segment_align: 8
    .kernarg_segment_size: 296
    .language:       OpenCL C
    .language_version:
      - 2
      - 0
    .max_flat_workgroup_size: 1024
    .name:           _ZN2at6native12_GLOBAL__N_136reflection_pad1d_backward_out_kernelIfEEvPT_PKS3_lll
    .private_segment_fixed_size: 0
    .sgpr_count:     21
    .sgpr_spill_count: 0
    .symbol:         _ZN2at6native12_GLOBAL__N_136reflection_pad1d_backward_out_kernelIfEEvPT_PKS3_lll.kd
    .uniform_work_group_size: 1
    .uses_dynamic_stack: false
    .vgpr_count:     8
    .vgpr_spill_count: 0
    .wavefront_size: 32
    .workgroup_processor_mode: 1
  - .args:
      - .address_space:  global
        .offset:         0
        .size:           8
        .value_kind:     global_buffer
      - .actual_access:  read_only
        .address_space:  global
        .offset:         8
        .size:           8
        .value_kind:     global_buffer
      - .offset:         16
        .size:           8
        .value_kind:     by_value
      - .offset:         24
        .size:           8
        .value_kind:     by_value
      - .offset:         32
        .size:           8
        .value_kind:     by_value
      - .offset:         40
        .size:           8
        .value_kind:     by_value
      - .offset:         48
        .size:           4
        .value_kind:     hidden_block_count_x
      - .offset:         52
        .size:           4
        .value_kind:     hidden_block_count_y
      - .offset:         56
        .size:           4
        .value_kind:     hidden_block_count_z
      - .offset:         60
        .size:           2
        .value_kind:     hidden_group_size_x
      - .offset:         62
        .size:           2
        .value_kind:     hidden_group_size_y
      - .offset:         64
        .size:           2
        .value_kind:     hidden_group_size_z
      - .offset:         66
        .size:           2
        .value_kind:     hidden_remainder_x
      - .offset:         68
        .size:           2
        .value_kind:     hidden_remainder_y
      - .offset:         70
        .size:           2
        .value_kind:     hidden_remainder_z
      - .offset:         88
        .size:           8
        .value_kind:     hidden_global_offset_x
      - .offset:         96
        .size:           8
        .value_kind:     hidden_global_offset_y
      - .offset:         104
        .size:           8
        .value_kind:     hidden_global_offset_z
      - .offset:         112
        .size:           2
        .value_kind:     hidden_grid_dims
    .group_segment_fixed_size: 0
    .kernarg_segment_align: 8
    .kernarg_segment_size: 304
    .language:       OpenCL C
    .language_version:
      - 2
      - 0
    .max_flat_workgroup_size: 1024
    .name:           _ZN2at6native12_GLOBAL__N_130reflection_pad1d_backward_flatIfEEvPT_PKS3_llll
    .private_segment_fixed_size: 0
    .sgpr_count:     28
    .sgpr_spill_count: 0
    .symbol:         _ZN2at6native12_GLOBAL__N_130reflection_pad1d_backward_flatIfEEvPT_PKS3_llll.kd
    .uniform_work_group_size: 1
    .uses_dynamic_stack: false
    .vgpr_count:     18
    .vgpr_spill_count: 0
    .wavefront_size: 32
    .workgroup_processor_mode: 1
  - .args:
      - .address_space:  global
        .offset:         0
        .size:           8
        .value_kind:     global_buffer
      - .address_space:  global
        .offset:         8
        .size:           8
        .value_kind:     global_buffer
      - .offset:         16
        .size:           8
        .value_kind:     by_value
      - .offset:         24
        .size:           8
        .value_kind:     by_value
      - .offset:         32
        .size:           8
        .value_kind:     by_value
      - .offset:         40
        .size:           4
        .value_kind:     hidden_block_count_x
      - .offset:         44
        .size:           4
        .value_kind:     hidden_block_count_y
      - .offset:         48
        .size:           4
        .value_kind:     hidden_block_count_z
      - .offset:         52
        .size:           2
        .value_kind:     hidden_group_size_x
      - .offset:         54
        .size:           2
        .value_kind:     hidden_group_size_y
      - .offset:         56
        .size:           2
        .value_kind:     hidden_group_size_z
      - .offset:         58
        .size:           2
        .value_kind:     hidden_remainder_x
      - .offset:         60
        .size:           2
        .value_kind:     hidden_remainder_y
      - .offset:         62
        .size:           2
        .value_kind:     hidden_remainder_z
      - .offset:         80
        .size:           8
        .value_kind:     hidden_global_offset_x
      - .offset:         88
        .size:           8
        .value_kind:     hidden_global_offset_y
      - .offset:         96
        .size:           8
        .value_kind:     hidden_global_offset_z
      - .offset:         104
        .size:           2
        .value_kind:     hidden_grid_dims
    .group_segment_fixed_size: 0
    .kernarg_segment_align: 8
    .kernarg_segment_size: 296
    .language:       OpenCL C
    .language_version:
      - 2
      - 0
    .max_flat_workgroup_size: 1024
    .name:           _ZN2at6native12_GLOBAL__N_136reflection_pad1d_backward_out_kernelIN3c107complexIdEEEEvPT_PKS6_lll
    .private_segment_fixed_size: 0
    .sgpr_count:     21
    .sgpr_spill_count: 0
    .symbol:         _ZN2at6native12_GLOBAL__N_136reflection_pad1d_backward_out_kernelIN3c107complexIdEEEEvPT_PKS6_lll.kd
    .uniform_work_group_size: 1
    .uses_dynamic_stack: false
    .vgpr_count:     10
    .vgpr_spill_count: 0
    .wavefront_size: 32
    .workgroup_processor_mode: 1
  - .args:
      - .address_space:  global
        .offset:         0
        .size:           8
        .value_kind:     global_buffer
      - .actual_access:  read_only
        .address_space:  global
        .offset:         8
        .size:           8
        .value_kind:     global_buffer
      - .offset:         16
        .size:           8
        .value_kind:     by_value
      - .offset:         24
        .size:           8
        .value_kind:     by_value
      - .offset:         32
        .size:           8
        .value_kind:     by_value
      - .offset:         40
        .size:           8
        .value_kind:     by_value
      - .offset:         48
        .size:           4
        .value_kind:     hidden_block_count_x
      - .offset:         52
        .size:           4
        .value_kind:     hidden_block_count_y
      - .offset:         56
        .size:           4
        .value_kind:     hidden_block_count_z
      - .offset:         60
        .size:           2
        .value_kind:     hidden_group_size_x
      - .offset:         62
        .size:           2
        .value_kind:     hidden_group_size_y
      - .offset:         64
        .size:           2
        .value_kind:     hidden_group_size_z
      - .offset:         66
        .size:           2
        .value_kind:     hidden_remainder_x
      - .offset:         68
        .size:           2
        .value_kind:     hidden_remainder_y
      - .offset:         70
        .size:           2
        .value_kind:     hidden_remainder_z
      - .offset:         88
        .size:           8
        .value_kind:     hidden_global_offset_x
      - .offset:         96
        .size:           8
        .value_kind:     hidden_global_offset_y
      - .offset:         104
        .size:           8
        .value_kind:     hidden_global_offset_z
      - .offset:         112
        .size:           2
        .value_kind:     hidden_grid_dims
    .group_segment_fixed_size: 0
    .kernarg_segment_align: 8
    .kernarg_segment_size: 304
    .language:       OpenCL C
    .language_version:
      - 2
      - 0
    .max_flat_workgroup_size: 1024
    .name:           _ZN2at6native12_GLOBAL__N_130reflection_pad1d_backward_flatIN3c107complexIdEEEEvPT_PKS6_llll
    .private_segment_fixed_size: 0
    .sgpr_count:     28
    .sgpr_spill_count: 0
    .symbol:         _ZN2at6native12_GLOBAL__N_130reflection_pad1d_backward_flatIN3c107complexIdEEEEvPT_PKS6_llll.kd
    .uniform_work_group_size: 1
    .uses_dynamic_stack: false
    .vgpr_count:     18
    .vgpr_spill_count: 0
    .wavefront_size: 32
    .workgroup_processor_mode: 1
  - .args:
      - .address_space:  global
        .offset:         0
        .size:           8
        .value_kind:     global_buffer
      - .address_space:  global
        .offset:         8
        .size:           8
        .value_kind:     global_buffer
      - .offset:         16
        .size:           8
        .value_kind:     by_value
      - .offset:         24
        .size:           8
        .value_kind:     by_value
      - .offset:         32
        .size:           8
        .value_kind:     by_value
      - .offset:         40
        .size:           4
        .value_kind:     hidden_block_count_x
      - .offset:         44
        .size:           4
        .value_kind:     hidden_block_count_y
      - .offset:         48
        .size:           4
        .value_kind:     hidden_block_count_z
      - .offset:         52
        .size:           2
        .value_kind:     hidden_group_size_x
      - .offset:         54
        .size:           2
        .value_kind:     hidden_group_size_y
      - .offset:         56
        .size:           2
        .value_kind:     hidden_group_size_z
      - .offset:         58
        .size:           2
        .value_kind:     hidden_remainder_x
      - .offset:         60
        .size:           2
        .value_kind:     hidden_remainder_y
      - .offset:         62
        .size:           2
        .value_kind:     hidden_remainder_z
      - .offset:         80
        .size:           8
        .value_kind:     hidden_global_offset_x
      - .offset:         88
        .size:           8
        .value_kind:     hidden_global_offset_y
      - .offset:         96
        .size:           8
        .value_kind:     hidden_global_offset_z
      - .offset:         104
        .size:           2
        .value_kind:     hidden_grid_dims
    .group_segment_fixed_size: 0
    .kernarg_segment_align: 8
    .kernarg_segment_size: 296
    .language:       OpenCL C
    .language_version:
      - 2
      - 0
    .max_flat_workgroup_size: 1024
    .name:           _ZN2at6native12_GLOBAL__N_136reflection_pad1d_backward_out_kernelIN3c107complexIfEEEEvPT_PKS6_lll
    .private_segment_fixed_size: 0
    .sgpr_count:     21
    .sgpr_spill_count: 0
    .symbol:         _ZN2at6native12_GLOBAL__N_136reflection_pad1d_backward_out_kernelIN3c107complexIfEEEEvPT_PKS6_lll.kd
    .uniform_work_group_size: 1
    .uses_dynamic_stack: false
    .vgpr_count:     8
    .vgpr_spill_count: 0
    .wavefront_size: 32
    .workgroup_processor_mode: 1
  - .args:
      - .address_space:  global
        .offset:         0
        .size:           8
        .value_kind:     global_buffer
      - .actual_access:  read_only
        .address_space:  global
        .offset:         8
        .size:           8
        .value_kind:     global_buffer
      - .offset:         16
        .size:           8
        .value_kind:     by_value
      - .offset:         24
        .size:           8
        .value_kind:     by_value
      - .offset:         32
        .size:           8
        .value_kind:     by_value
      - .offset:         40
        .size:           8
        .value_kind:     by_value
      - .offset:         48
        .size:           4
        .value_kind:     hidden_block_count_x
      - .offset:         52
        .size:           4
        .value_kind:     hidden_block_count_y
      - .offset:         56
        .size:           4
        .value_kind:     hidden_block_count_z
      - .offset:         60
        .size:           2
        .value_kind:     hidden_group_size_x
      - .offset:         62
        .size:           2
        .value_kind:     hidden_group_size_y
      - .offset:         64
        .size:           2
        .value_kind:     hidden_group_size_z
      - .offset:         66
        .size:           2
        .value_kind:     hidden_remainder_x
      - .offset:         68
        .size:           2
        .value_kind:     hidden_remainder_y
      - .offset:         70
        .size:           2
        .value_kind:     hidden_remainder_z
      - .offset:         88
        .size:           8
        .value_kind:     hidden_global_offset_x
      - .offset:         96
        .size:           8
        .value_kind:     hidden_global_offset_y
      - .offset:         104
        .size:           8
        .value_kind:     hidden_global_offset_z
      - .offset:         112
        .size:           2
        .value_kind:     hidden_grid_dims
    .group_segment_fixed_size: 0
    .kernarg_segment_align: 8
    .kernarg_segment_size: 304
    .language:       OpenCL C
    .language_version:
      - 2
      - 0
    .max_flat_workgroup_size: 1024
    .name:           _ZN2at6native12_GLOBAL__N_130reflection_pad1d_backward_flatIN3c107complexIfEEEEvPT_PKS6_llll
    .private_segment_fixed_size: 0
    .sgpr_count:     28
    .sgpr_spill_count: 0
    .symbol:         _ZN2at6native12_GLOBAL__N_130reflection_pad1d_backward_flatIN3c107complexIfEEEEvPT_PKS6_llll.kd
    .uniform_work_group_size: 1
    .uses_dynamic_stack: false
    .vgpr_count:     18
    .vgpr_spill_count: 0
    .wavefront_size: 32
    .workgroup_processor_mode: 1
  - .args:
      - .address_space:  global
        .offset:         0
        .size:           8
        .value_kind:     global_buffer
      - .address_space:  global
        .offset:         8
        .size:           8
        .value_kind:     global_buffer
      - .offset:         16
        .size:           8
        .value_kind:     by_value
      - .offset:         24
        .size:           8
        .value_kind:     by_value
      - .offset:         32
        .size:           8
        .value_kind:     by_value
      - .offset:         40
        .size:           4
        .value_kind:     hidden_block_count_x
      - .offset:         44
        .size:           4
        .value_kind:     hidden_block_count_y
      - .offset:         48
        .size:           4
        .value_kind:     hidden_block_count_z
      - .offset:         52
        .size:           2
        .value_kind:     hidden_group_size_x
      - .offset:         54
        .size:           2
        .value_kind:     hidden_group_size_y
      - .offset:         56
        .size:           2
        .value_kind:     hidden_group_size_z
      - .offset:         58
        .size:           2
        .value_kind:     hidden_remainder_x
      - .offset:         60
        .size:           2
        .value_kind:     hidden_remainder_y
      - .offset:         62
        .size:           2
        .value_kind:     hidden_remainder_z
      - .offset:         80
        .size:           8
        .value_kind:     hidden_global_offset_x
      - .offset:         88
        .size:           8
        .value_kind:     hidden_global_offset_y
      - .offset:         96
        .size:           8
        .value_kind:     hidden_global_offset_z
      - .offset:         104
        .size:           2
        .value_kind:     hidden_grid_dims
    .group_segment_fixed_size: 0
    .kernarg_segment_align: 8
    .kernarg_segment_size: 296
    .language:       OpenCL C
    .language_version:
      - 2
      - 0
    .max_flat_workgroup_size: 1024
    .name:           _ZN2at6native12_GLOBAL__N_136reflection_pad1d_backward_out_kernelIN3c104HalfEEEvPT_PKS5_lll
    .private_segment_fixed_size: 0
    .sgpr_count:     21
    .sgpr_spill_count: 0
    .symbol:         _ZN2at6native12_GLOBAL__N_136reflection_pad1d_backward_out_kernelIN3c104HalfEEEvPT_PKS5_lll.kd
    .uniform_work_group_size: 1
    .uses_dynamic_stack: false
    .vgpr_count:     10
    .vgpr_spill_count: 0
    .wavefront_size: 32
    .workgroup_processor_mode: 1
  - .args:
      - .address_space:  global
        .offset:         0
        .size:           8
        .value_kind:     global_buffer
      - .actual_access:  read_only
        .address_space:  global
        .offset:         8
        .size:           8
        .value_kind:     global_buffer
      - .offset:         16
        .size:           8
        .value_kind:     by_value
      - .offset:         24
        .size:           8
        .value_kind:     by_value
      - .offset:         32
        .size:           8
        .value_kind:     by_value
      - .offset:         40
        .size:           8
        .value_kind:     by_value
      - .offset:         48
        .size:           4
        .value_kind:     hidden_block_count_x
      - .offset:         52
        .size:           4
        .value_kind:     hidden_block_count_y
      - .offset:         56
        .size:           4
        .value_kind:     hidden_block_count_z
      - .offset:         60
        .size:           2
        .value_kind:     hidden_group_size_x
      - .offset:         62
        .size:           2
        .value_kind:     hidden_group_size_y
      - .offset:         64
        .size:           2
        .value_kind:     hidden_group_size_z
      - .offset:         66
        .size:           2
        .value_kind:     hidden_remainder_x
      - .offset:         68
        .size:           2
        .value_kind:     hidden_remainder_y
      - .offset:         70
        .size:           2
        .value_kind:     hidden_remainder_z
      - .offset:         88
        .size:           8
        .value_kind:     hidden_global_offset_x
      - .offset:         96
        .size:           8
        .value_kind:     hidden_global_offset_y
      - .offset:         104
        .size:           8
        .value_kind:     hidden_global_offset_z
      - .offset:         112
        .size:           2
        .value_kind:     hidden_grid_dims
    .group_segment_fixed_size: 0
    .kernarg_segment_align: 8
    .kernarg_segment_size: 304
    .language:       OpenCL C
    .language_version:
      - 2
      - 0
    .max_flat_workgroup_size: 1024
    .name:           _ZN2at6native12_GLOBAL__N_130reflection_pad1d_backward_flatIN3c104HalfEEEvPT_PKS5_llll
    .private_segment_fixed_size: 0
    .sgpr_count:     29
    .sgpr_spill_count: 0
    .symbol:         _ZN2at6native12_GLOBAL__N_130reflection_pad1d_backward_flatIN3c104HalfEEEvPT_PKS5_llll.kd
    .uniform_work_group_size: 1
    .uses_dynamic_stack: false
    .vgpr_count:     18
    .vgpr_spill_count: 0
    .wavefront_size: 32
    .workgroup_processor_mode: 1
  - .args:
      - .address_space:  global
        .offset:         0
        .size:           8
        .value_kind:     global_buffer
      - .address_space:  global
        .offset:         8
        .size:           8
        .value_kind:     global_buffer
      - .offset:         16
        .size:           8
        .value_kind:     by_value
      - .offset:         24
        .size:           8
        .value_kind:     by_value
      - .offset:         32
        .size:           8
        .value_kind:     by_value
      - .offset:         40
        .size:           4
        .value_kind:     hidden_block_count_x
      - .offset:         44
        .size:           4
        .value_kind:     hidden_block_count_y
      - .offset:         48
        .size:           4
        .value_kind:     hidden_block_count_z
      - .offset:         52
        .size:           2
        .value_kind:     hidden_group_size_x
      - .offset:         54
        .size:           2
        .value_kind:     hidden_group_size_y
      - .offset:         56
        .size:           2
        .value_kind:     hidden_group_size_z
      - .offset:         58
        .size:           2
        .value_kind:     hidden_remainder_x
      - .offset:         60
        .size:           2
        .value_kind:     hidden_remainder_y
      - .offset:         62
        .size:           2
        .value_kind:     hidden_remainder_z
      - .offset:         80
        .size:           8
        .value_kind:     hidden_global_offset_x
      - .offset:         88
        .size:           8
        .value_kind:     hidden_global_offset_y
      - .offset:         96
        .size:           8
        .value_kind:     hidden_global_offset_z
      - .offset:         104
        .size:           2
        .value_kind:     hidden_grid_dims
    .group_segment_fixed_size: 0
    .kernarg_segment_align: 8
    .kernarg_segment_size: 296
    .language:       OpenCL C
    .language_version:
      - 2
      - 0
    .max_flat_workgroup_size: 1024
    .name:           _ZN2at6native12_GLOBAL__N_136reflection_pad1d_backward_out_kernelIN3c108BFloat16EEEvPT_PKS5_lll
    .private_segment_fixed_size: 0
    .sgpr_count:     21
    .sgpr_spill_count: 0
    .symbol:         _ZN2at6native12_GLOBAL__N_136reflection_pad1d_backward_out_kernelIN3c108BFloat16EEEvPT_PKS5_lll.kd
    .uniform_work_group_size: 1
    .uses_dynamic_stack: false
    .vgpr_count:     10
    .vgpr_spill_count: 0
    .wavefront_size: 32
    .workgroup_processor_mode: 1
  - .args:
      - .address_space:  global
        .offset:         0
        .size:           8
        .value_kind:     global_buffer
      - .actual_access:  read_only
        .address_space:  global
        .offset:         8
        .size:           8
        .value_kind:     global_buffer
      - .offset:         16
        .size:           8
        .value_kind:     by_value
      - .offset:         24
        .size:           8
        .value_kind:     by_value
      - .offset:         32
        .size:           8
        .value_kind:     by_value
      - .offset:         40
        .size:           8
        .value_kind:     by_value
      - .offset:         48
        .size:           4
        .value_kind:     hidden_block_count_x
      - .offset:         52
        .size:           4
        .value_kind:     hidden_block_count_y
      - .offset:         56
        .size:           4
        .value_kind:     hidden_block_count_z
      - .offset:         60
        .size:           2
        .value_kind:     hidden_group_size_x
      - .offset:         62
        .size:           2
        .value_kind:     hidden_group_size_y
      - .offset:         64
        .size:           2
        .value_kind:     hidden_group_size_z
      - .offset:         66
        .size:           2
        .value_kind:     hidden_remainder_x
      - .offset:         68
        .size:           2
        .value_kind:     hidden_remainder_y
      - .offset:         70
        .size:           2
        .value_kind:     hidden_remainder_z
      - .offset:         88
        .size:           8
        .value_kind:     hidden_global_offset_x
      - .offset:         96
        .size:           8
        .value_kind:     hidden_global_offset_y
      - .offset:         104
        .size:           8
        .value_kind:     hidden_global_offset_z
      - .offset:         112
        .size:           2
        .value_kind:     hidden_grid_dims
    .group_segment_fixed_size: 0
    .kernarg_segment_align: 8
    .kernarg_segment_size: 304
    .language:       OpenCL C
    .language_version:
      - 2
      - 0
    .max_flat_workgroup_size: 1024
    .name:           _ZN2at6native12_GLOBAL__N_130reflection_pad1d_backward_flatIN3c108BFloat16EEEvPT_PKS5_llll
    .private_segment_fixed_size: 0
    .sgpr_count:     29
    .sgpr_spill_count: 0
    .symbol:         _ZN2at6native12_GLOBAL__N_130reflection_pad1d_backward_flatIN3c108BFloat16EEEvPT_PKS5_llll.kd
    .uniform_work_group_size: 1
    .uses_dynamic_stack: false
    .vgpr_count:     18
    .vgpr_spill_count: 0
    .wavefront_size: 32
    .workgroup_processor_mode: 1
  - .args:
      - .offset:         0
        .size:           88
        .value_kind:     by_value
      - .offset:         88
        .size:           88
        .value_kind:     by_value
      - .offset:         176
        .size:           8
        .value_kind:     by_value
      - .offset:         184
        .size:           8
        .value_kind:     by_value
      - .offset:         192
        .size:           8
        .value_kind:     by_value
      - .offset:         200
        .size:           8
        .value_kind:     by_value
      - .offset:         208
        .size:           8
        .value_kind:     by_value
      - .offset:         216
        .size:           4
        .value_kind:     hidden_block_count_x
      - .offset:         220
        .size:           4
        .value_kind:     hidden_block_count_y
      - .offset:         224
        .size:           4
        .value_kind:     hidden_block_count_z
      - .offset:         228
        .size:           2
        .value_kind:     hidden_group_size_x
      - .offset:         230
        .size:           2
        .value_kind:     hidden_group_size_y
      - .offset:         232
        .size:           2
        .value_kind:     hidden_group_size_z
      - .offset:         234
        .size:           2
        .value_kind:     hidden_remainder_x
      - .offset:         236
        .size:           2
        .value_kind:     hidden_remainder_y
      - .offset:         238
        .size:           2
        .value_kind:     hidden_remainder_z
      - .offset:         256
        .size:           8
        .value_kind:     hidden_global_offset_x
      - .offset:         264
        .size:           8
        .value_kind:     hidden_global_offset_y
      - .offset:         272
        .size:           8
        .value_kind:     hidden_global_offset_z
      - .offset:         280
        .size:           2
        .value_kind:     hidden_grid_dims
    .group_segment_fixed_size: 0
    .kernarg_segment_align: 8
    .kernarg_segment_size: 472
    .language:       OpenCL C
    .language_version:
      - 2
      - 0
    .max_flat_workgroup_size: 1024
    .name:           _ZN2at6native12_GLOBAL__N_127reflection_pad3d_out_kernelIhEEvN5torch10headeronly6detail27GenericPackedTensorAccessorINS5_14TensorAccessorIN3c108ArrayRefIlEEKT_Lm4ENS4_16DefaultPtrTraitsElEENS_6detail16IndexBoundsCheckILm5ElEESC_Lm5ESD_lEENS6_INS7_ISA_SB_Lm4ESD_lEESH_SB_Lm5ESD_lEElllll
    .private_segment_fixed_size: 0
    .sgpr_count:     60
    .sgpr_spill_count: 0
    .symbol:         _ZN2at6native12_GLOBAL__N_127reflection_pad3d_out_kernelIhEEvN5torch10headeronly6detail27GenericPackedTensorAccessorINS5_14TensorAccessorIN3c108ArrayRefIlEEKT_Lm4ENS4_16DefaultPtrTraitsElEENS_6detail16IndexBoundsCheckILm5ElEESC_Lm5ESD_lEENS6_INS7_ISA_SB_Lm4ESD_lEESH_SB_Lm5ESD_lEElllll.kd
    .uniform_work_group_size: 1
    .uses_dynamic_stack: false
    .vgpr_count:     23
    .vgpr_spill_count: 0
    .wavefront_size: 32
    .workgroup_processor_mode: 1
  - .args:
      - .offset:         0
        .size:           88
        .value_kind:     by_value
      - .offset:         88
        .size:           88
        .value_kind:     by_value
      - .offset:         176
        .size:           8
        .value_kind:     by_value
      - .offset:         184
        .size:           8
        .value_kind:     by_value
      - .offset:         192
        .size:           8
        .value_kind:     by_value
      - .offset:         200
        .size:           8
        .value_kind:     by_value
      - .offset:         208
        .size:           8
        .value_kind:     by_value
      - .offset:         216
        .size:           4
        .value_kind:     hidden_block_count_x
      - .offset:         220
        .size:           4
        .value_kind:     hidden_block_count_y
      - .offset:         224
        .size:           4
        .value_kind:     hidden_block_count_z
      - .offset:         228
        .size:           2
        .value_kind:     hidden_group_size_x
      - .offset:         230
        .size:           2
        .value_kind:     hidden_group_size_y
      - .offset:         232
        .size:           2
        .value_kind:     hidden_group_size_z
      - .offset:         234
        .size:           2
        .value_kind:     hidden_remainder_x
      - .offset:         236
        .size:           2
        .value_kind:     hidden_remainder_y
      - .offset:         238
        .size:           2
        .value_kind:     hidden_remainder_z
      - .offset:         256
        .size:           8
        .value_kind:     hidden_global_offset_x
      - .offset:         264
        .size:           8
        .value_kind:     hidden_global_offset_y
      - .offset:         272
        .size:           8
        .value_kind:     hidden_global_offset_z
      - .offset:         280
        .size:           2
        .value_kind:     hidden_grid_dims
    .group_segment_fixed_size: 0
    .kernarg_segment_align: 8
    .kernarg_segment_size: 472
    .language:       OpenCL C
    .language_version:
      - 2
      - 0
    .max_flat_workgroup_size: 1024
    .name:           _ZN2at6native12_GLOBAL__N_127reflection_pad3d_out_kernelIaEEvN5torch10headeronly6detail27GenericPackedTensorAccessorINS5_14TensorAccessorIN3c108ArrayRefIlEEKT_Lm4ENS4_16DefaultPtrTraitsElEENS_6detail16IndexBoundsCheckILm5ElEESC_Lm5ESD_lEENS6_INS7_ISA_SB_Lm4ESD_lEESH_SB_Lm5ESD_lEElllll
    .private_segment_fixed_size: 0
    .sgpr_count:     60
    .sgpr_spill_count: 0
    .symbol:         _ZN2at6native12_GLOBAL__N_127reflection_pad3d_out_kernelIaEEvN5torch10headeronly6detail27GenericPackedTensorAccessorINS5_14TensorAccessorIN3c108ArrayRefIlEEKT_Lm4ENS4_16DefaultPtrTraitsElEENS_6detail16IndexBoundsCheckILm5ElEESC_Lm5ESD_lEENS6_INS7_ISA_SB_Lm4ESD_lEESH_SB_Lm5ESD_lEElllll.kd
    .uniform_work_group_size: 1
    .uses_dynamic_stack: false
    .vgpr_count:     23
    .vgpr_spill_count: 0
    .wavefront_size: 32
    .workgroup_processor_mode: 1
  - .args:
      - .offset:         0
        .size:           88
        .value_kind:     by_value
      - .offset:         88
        .size:           88
        .value_kind:     by_value
      - .offset:         176
        .size:           8
        .value_kind:     by_value
      - .offset:         184
        .size:           8
        .value_kind:     by_value
      - .offset:         192
        .size:           8
        .value_kind:     by_value
      - .offset:         200
        .size:           8
        .value_kind:     by_value
      - .offset:         208
        .size:           8
        .value_kind:     by_value
      - .offset:         216
        .size:           4
        .value_kind:     hidden_block_count_x
      - .offset:         220
        .size:           4
        .value_kind:     hidden_block_count_y
      - .offset:         224
        .size:           4
        .value_kind:     hidden_block_count_z
      - .offset:         228
        .size:           2
        .value_kind:     hidden_group_size_x
      - .offset:         230
        .size:           2
        .value_kind:     hidden_group_size_y
      - .offset:         232
        .size:           2
        .value_kind:     hidden_group_size_z
      - .offset:         234
        .size:           2
        .value_kind:     hidden_remainder_x
      - .offset:         236
        .size:           2
        .value_kind:     hidden_remainder_y
      - .offset:         238
        .size:           2
        .value_kind:     hidden_remainder_z
      - .offset:         256
        .size:           8
        .value_kind:     hidden_global_offset_x
      - .offset:         264
        .size:           8
        .value_kind:     hidden_global_offset_y
      - .offset:         272
        .size:           8
        .value_kind:     hidden_global_offset_z
      - .offset:         280
        .size:           2
        .value_kind:     hidden_grid_dims
    .group_segment_fixed_size: 0
    .kernarg_segment_align: 8
    .kernarg_segment_size: 472
    .language:       OpenCL C
    .language_version:
      - 2
      - 0
    .max_flat_workgroup_size: 1024
    .name:           _ZN2at6native12_GLOBAL__N_127reflection_pad3d_out_kernelIiEEvN5torch10headeronly6detail27GenericPackedTensorAccessorINS5_14TensorAccessorIN3c108ArrayRefIlEEKT_Lm4ENS4_16DefaultPtrTraitsElEENS_6detail16IndexBoundsCheckILm5ElEESC_Lm5ESD_lEENS6_INS7_ISA_SB_Lm4ESD_lEESH_SB_Lm5ESD_lEElllll
    .private_segment_fixed_size: 0
    .sgpr_count:     60
    .sgpr_spill_count: 0
    .symbol:         _ZN2at6native12_GLOBAL__N_127reflection_pad3d_out_kernelIiEEvN5torch10headeronly6detail27GenericPackedTensorAccessorINS5_14TensorAccessorIN3c108ArrayRefIlEEKT_Lm4ENS4_16DefaultPtrTraitsElEENS_6detail16IndexBoundsCheckILm5ElEESC_Lm5ESD_lEENS6_INS7_ISA_SB_Lm4ESD_lEESH_SB_Lm5ESD_lEElllll.kd
    .uniform_work_group_size: 1
    .uses_dynamic_stack: false
    .vgpr_count:     18
    .vgpr_spill_count: 0
    .wavefront_size: 32
    .workgroup_processor_mode: 1
  - .args:
      - .offset:         0
        .size:           88
        .value_kind:     by_value
      - .offset:         88
        .size:           88
        .value_kind:     by_value
      - .offset:         176
        .size:           8
        .value_kind:     by_value
      - .offset:         184
        .size:           8
        .value_kind:     by_value
      - .offset:         192
        .size:           8
        .value_kind:     by_value
      - .offset:         200
        .size:           8
        .value_kind:     by_value
      - .offset:         208
        .size:           8
        .value_kind:     by_value
      - .offset:         216
        .size:           4
        .value_kind:     hidden_block_count_x
      - .offset:         220
        .size:           4
        .value_kind:     hidden_block_count_y
      - .offset:         224
        .size:           4
        .value_kind:     hidden_block_count_z
      - .offset:         228
        .size:           2
        .value_kind:     hidden_group_size_x
      - .offset:         230
        .size:           2
        .value_kind:     hidden_group_size_y
      - .offset:         232
        .size:           2
        .value_kind:     hidden_group_size_z
      - .offset:         234
        .size:           2
        .value_kind:     hidden_remainder_x
      - .offset:         236
        .size:           2
        .value_kind:     hidden_remainder_y
      - .offset:         238
        .size:           2
        .value_kind:     hidden_remainder_z
      - .offset:         256
        .size:           8
        .value_kind:     hidden_global_offset_x
      - .offset:         264
        .size:           8
        .value_kind:     hidden_global_offset_y
      - .offset:         272
        .size:           8
        .value_kind:     hidden_global_offset_z
      - .offset:         280
        .size:           2
        .value_kind:     hidden_grid_dims
    .group_segment_fixed_size: 0
    .kernarg_segment_align: 8
    .kernarg_segment_size: 472
    .language:       OpenCL C
    .language_version:
      - 2
      - 0
    .max_flat_workgroup_size: 1024
    .name:           _ZN2at6native12_GLOBAL__N_127reflection_pad3d_out_kernelIlEEvN5torch10headeronly6detail27GenericPackedTensorAccessorINS5_14TensorAccessorIN3c108ArrayRefIlEEKT_Lm4ENS4_16DefaultPtrTraitsElEENS_6detail16IndexBoundsCheckILm5ElEESC_Lm5ESD_lEENS6_INS7_ISA_SB_Lm4ESD_lEESH_SB_Lm5ESD_lEElllll
    .private_segment_fixed_size: 0
    .sgpr_count:     60
    .sgpr_spill_count: 0
    .symbol:         _ZN2at6native12_GLOBAL__N_127reflection_pad3d_out_kernelIlEEvN5torch10headeronly6detail27GenericPackedTensorAccessorINS5_14TensorAccessorIN3c108ArrayRefIlEEKT_Lm4ENS4_16DefaultPtrTraitsElEENS_6detail16IndexBoundsCheckILm5ElEESC_Lm5ESD_lEENS6_INS7_ISA_SB_Lm4ESD_lEESH_SB_Lm5ESD_lEElllll.kd
    .uniform_work_group_size: 1
    .uses_dynamic_stack: false
    .vgpr_count:     18
    .vgpr_spill_count: 0
    .wavefront_size: 32
    .workgroup_processor_mode: 1
  - .args:
      - .offset:         0
        .size:           88
        .value_kind:     by_value
      - .offset:         88
        .size:           88
        .value_kind:     by_value
      - .offset:         176
        .size:           8
        .value_kind:     by_value
      - .offset:         184
        .size:           8
        .value_kind:     by_value
      - .offset:         192
        .size:           8
        .value_kind:     by_value
      - .offset:         200
        .size:           8
        .value_kind:     by_value
      - .offset:         208
        .size:           8
        .value_kind:     by_value
      - .offset:         216
        .size:           4
        .value_kind:     hidden_block_count_x
      - .offset:         220
        .size:           4
        .value_kind:     hidden_block_count_y
      - .offset:         224
        .size:           4
        .value_kind:     hidden_block_count_z
      - .offset:         228
        .size:           2
        .value_kind:     hidden_group_size_x
      - .offset:         230
        .size:           2
        .value_kind:     hidden_group_size_y
      - .offset:         232
        .size:           2
        .value_kind:     hidden_group_size_z
      - .offset:         234
        .size:           2
        .value_kind:     hidden_remainder_x
      - .offset:         236
        .size:           2
        .value_kind:     hidden_remainder_y
      - .offset:         238
        .size:           2
        .value_kind:     hidden_remainder_z
      - .offset:         256
        .size:           8
        .value_kind:     hidden_global_offset_x
      - .offset:         264
        .size:           8
        .value_kind:     hidden_global_offset_y
      - .offset:         272
        .size:           8
        .value_kind:     hidden_global_offset_z
      - .offset:         280
        .size:           2
        .value_kind:     hidden_grid_dims
    .group_segment_fixed_size: 0
    .kernarg_segment_align: 8
    .kernarg_segment_size: 472
    .language:       OpenCL C
    .language_version:
      - 2
      - 0
    .max_flat_workgroup_size: 1024
    .name:           _ZN2at6native12_GLOBAL__N_127reflection_pad3d_out_kernelIsEEvN5torch10headeronly6detail27GenericPackedTensorAccessorINS5_14TensorAccessorIN3c108ArrayRefIlEEKT_Lm4ENS4_16DefaultPtrTraitsElEENS_6detail16IndexBoundsCheckILm5ElEESC_Lm5ESD_lEENS6_INS7_ISA_SB_Lm4ESD_lEESH_SB_Lm5ESD_lEElllll
    .private_segment_fixed_size: 0
    .sgpr_count:     60
    .sgpr_spill_count: 0
    .symbol:         _ZN2at6native12_GLOBAL__N_127reflection_pad3d_out_kernelIsEEvN5torch10headeronly6detail27GenericPackedTensorAccessorINS5_14TensorAccessorIN3c108ArrayRefIlEEKT_Lm4ENS4_16DefaultPtrTraitsElEENS_6detail16IndexBoundsCheckILm5ElEESC_Lm5ESD_lEENS6_INS7_ISA_SB_Lm4ESD_lEESH_SB_Lm5ESD_lEElllll.kd
    .uniform_work_group_size: 1
    .uses_dynamic_stack: false
    .vgpr_count:     18
    .vgpr_spill_count: 0
    .wavefront_size: 32
    .workgroup_processor_mode: 1
  - .args:
      - .offset:         0
        .size:           88
        .value_kind:     by_value
      - .offset:         88
        .size:           88
        .value_kind:     by_value
      - .offset:         176
        .size:           8
        .value_kind:     by_value
      - .offset:         184
        .size:           8
        .value_kind:     by_value
      - .offset:         192
        .size:           8
        .value_kind:     by_value
      - .offset:         200
        .size:           8
        .value_kind:     by_value
      - .offset:         208
        .size:           8
        .value_kind:     by_value
      - .offset:         216
        .size:           4
        .value_kind:     hidden_block_count_x
      - .offset:         220
        .size:           4
        .value_kind:     hidden_block_count_y
      - .offset:         224
        .size:           4
        .value_kind:     hidden_block_count_z
      - .offset:         228
        .size:           2
        .value_kind:     hidden_group_size_x
      - .offset:         230
        .size:           2
        .value_kind:     hidden_group_size_y
      - .offset:         232
        .size:           2
        .value_kind:     hidden_group_size_z
      - .offset:         234
        .size:           2
        .value_kind:     hidden_remainder_x
      - .offset:         236
        .size:           2
        .value_kind:     hidden_remainder_y
      - .offset:         238
        .size:           2
        .value_kind:     hidden_remainder_z
      - .offset:         256
        .size:           8
        .value_kind:     hidden_global_offset_x
      - .offset:         264
        .size:           8
        .value_kind:     hidden_global_offset_y
      - .offset:         272
        .size:           8
        .value_kind:     hidden_global_offset_z
      - .offset:         280
        .size:           2
        .value_kind:     hidden_grid_dims
    .group_segment_fixed_size: 0
    .kernarg_segment_align: 8
    .kernarg_segment_size: 472
    .language:       OpenCL C
    .language_version:
      - 2
      - 0
    .max_flat_workgroup_size: 1024
    .name:           _ZN2at6native12_GLOBAL__N_127reflection_pad3d_out_kernelIdEEvN5torch10headeronly6detail27GenericPackedTensorAccessorINS5_14TensorAccessorIN3c108ArrayRefIlEEKT_Lm4ENS4_16DefaultPtrTraitsElEENS_6detail16IndexBoundsCheckILm5ElEESC_Lm5ESD_lEENS6_INS7_ISA_SB_Lm4ESD_lEESH_SB_Lm5ESD_lEElllll
    .private_segment_fixed_size: 0
    .sgpr_count:     60
    .sgpr_spill_count: 0
    .symbol:         _ZN2at6native12_GLOBAL__N_127reflection_pad3d_out_kernelIdEEvN5torch10headeronly6detail27GenericPackedTensorAccessorINS5_14TensorAccessorIN3c108ArrayRefIlEEKT_Lm4ENS4_16DefaultPtrTraitsElEENS_6detail16IndexBoundsCheckILm5ElEESC_Lm5ESD_lEENS6_INS7_ISA_SB_Lm4ESD_lEESH_SB_Lm5ESD_lEElllll.kd
    .uniform_work_group_size: 1
    .uses_dynamic_stack: false
    .vgpr_count:     18
    .vgpr_spill_count: 0
    .wavefront_size: 32
    .workgroup_processor_mode: 1
  - .args:
      - .offset:         0
        .size:           88
        .value_kind:     by_value
      - .offset:         88
        .size:           88
        .value_kind:     by_value
      - .offset:         176
        .size:           8
        .value_kind:     by_value
      - .offset:         184
        .size:           8
        .value_kind:     by_value
      - .offset:         192
        .size:           8
        .value_kind:     by_value
      - .offset:         200
        .size:           8
        .value_kind:     by_value
      - .offset:         208
        .size:           8
        .value_kind:     by_value
      - .offset:         216
        .size:           4
        .value_kind:     hidden_block_count_x
      - .offset:         220
        .size:           4
        .value_kind:     hidden_block_count_y
      - .offset:         224
        .size:           4
        .value_kind:     hidden_block_count_z
      - .offset:         228
        .size:           2
        .value_kind:     hidden_group_size_x
      - .offset:         230
        .size:           2
        .value_kind:     hidden_group_size_y
      - .offset:         232
        .size:           2
        .value_kind:     hidden_group_size_z
      - .offset:         234
        .size:           2
        .value_kind:     hidden_remainder_x
      - .offset:         236
        .size:           2
        .value_kind:     hidden_remainder_y
      - .offset:         238
        .size:           2
        .value_kind:     hidden_remainder_z
      - .offset:         256
        .size:           8
        .value_kind:     hidden_global_offset_x
      - .offset:         264
        .size:           8
        .value_kind:     hidden_global_offset_y
      - .offset:         272
        .size:           8
        .value_kind:     hidden_global_offset_z
      - .offset:         280
        .size:           2
        .value_kind:     hidden_grid_dims
    .group_segment_fixed_size: 0
    .kernarg_segment_align: 8
    .kernarg_segment_size: 472
    .language:       OpenCL C
    .language_version:
      - 2
      - 0
    .max_flat_workgroup_size: 1024
    .name:           _ZN2at6native12_GLOBAL__N_127reflection_pad3d_out_kernelIfEEvN5torch10headeronly6detail27GenericPackedTensorAccessorINS5_14TensorAccessorIN3c108ArrayRefIlEEKT_Lm4ENS4_16DefaultPtrTraitsElEENS_6detail16IndexBoundsCheckILm5ElEESC_Lm5ESD_lEENS6_INS7_ISA_SB_Lm4ESD_lEESH_SB_Lm5ESD_lEElllll
    .private_segment_fixed_size: 0
    .sgpr_count:     60
    .sgpr_spill_count: 0
    .symbol:         _ZN2at6native12_GLOBAL__N_127reflection_pad3d_out_kernelIfEEvN5torch10headeronly6detail27GenericPackedTensorAccessorINS5_14TensorAccessorIN3c108ArrayRefIlEEKT_Lm4ENS4_16DefaultPtrTraitsElEENS_6detail16IndexBoundsCheckILm5ElEESC_Lm5ESD_lEENS6_INS7_ISA_SB_Lm4ESD_lEESH_SB_Lm5ESD_lEElllll.kd
    .uniform_work_group_size: 1
    .uses_dynamic_stack: false
    .vgpr_count:     18
    .vgpr_spill_count: 0
    .wavefront_size: 32
    .workgroup_processor_mode: 1
  - .args:
      - .offset:         0
        .size:           88
        .value_kind:     by_value
      - .offset:         88
        .size:           88
        .value_kind:     by_value
      - .offset:         176
        .size:           8
        .value_kind:     by_value
      - .offset:         184
        .size:           8
        .value_kind:     by_value
      - .offset:         192
        .size:           8
        .value_kind:     by_value
      - .offset:         200
        .size:           8
        .value_kind:     by_value
      - .offset:         208
        .size:           8
        .value_kind:     by_value
      - .offset:         216
        .size:           4
        .value_kind:     hidden_block_count_x
      - .offset:         220
        .size:           4
        .value_kind:     hidden_block_count_y
      - .offset:         224
        .size:           4
        .value_kind:     hidden_block_count_z
      - .offset:         228
        .size:           2
        .value_kind:     hidden_group_size_x
      - .offset:         230
        .size:           2
        .value_kind:     hidden_group_size_y
      - .offset:         232
        .size:           2
        .value_kind:     hidden_group_size_z
      - .offset:         234
        .size:           2
        .value_kind:     hidden_remainder_x
      - .offset:         236
        .size:           2
        .value_kind:     hidden_remainder_y
      - .offset:         238
        .size:           2
        .value_kind:     hidden_remainder_z
      - .offset:         256
        .size:           8
        .value_kind:     hidden_global_offset_x
      - .offset:         264
        .size:           8
        .value_kind:     hidden_global_offset_y
      - .offset:         272
        .size:           8
        .value_kind:     hidden_global_offset_z
      - .offset:         280
        .size:           2
        .value_kind:     hidden_grid_dims
    .group_segment_fixed_size: 0
    .kernarg_segment_align: 8
    .kernarg_segment_size: 472
    .language:       OpenCL C
    .language_version:
      - 2
      - 0
    .max_flat_workgroup_size: 1024
    .name:           _ZN2at6native12_GLOBAL__N_127reflection_pad3d_out_kernelIN3c107complexIdEEEEvN5torch10headeronly6detail27GenericPackedTensorAccessorINS8_14TensorAccessorINS3_8ArrayRefIlEEKT_Lm4ENS7_16DefaultPtrTraitsElEENS_6detail16IndexBoundsCheckILm5ElEESE_Lm5ESF_lEENS9_INSA_ISC_SD_Lm4ESF_lEESJ_SD_Lm5ESF_lEElllll
    .private_segment_fixed_size: 0
    .sgpr_count:     60
    .sgpr_spill_count: 0
    .symbol:         _ZN2at6native12_GLOBAL__N_127reflection_pad3d_out_kernelIN3c107complexIdEEEEvN5torch10headeronly6detail27GenericPackedTensorAccessorINS8_14TensorAccessorINS3_8ArrayRefIlEEKT_Lm4ENS7_16DefaultPtrTraitsElEENS_6detail16IndexBoundsCheckILm5ElEESE_Lm5ESF_lEENS9_INSA_ISC_SD_Lm4ESF_lEESJ_SD_Lm5ESF_lEElllll.kd
    .uniform_work_group_size: 1
    .uses_dynamic_stack: false
    .vgpr_count:     18
    .vgpr_spill_count: 0
    .wavefront_size: 32
    .workgroup_processor_mode: 1
  - .args:
      - .offset:         0
        .size:           88
        .value_kind:     by_value
      - .offset:         88
        .size:           88
        .value_kind:     by_value
      - .offset:         176
        .size:           8
        .value_kind:     by_value
      - .offset:         184
        .size:           8
        .value_kind:     by_value
      - .offset:         192
        .size:           8
        .value_kind:     by_value
      - .offset:         200
        .size:           8
        .value_kind:     by_value
      - .offset:         208
        .size:           8
        .value_kind:     by_value
      - .offset:         216
        .size:           4
        .value_kind:     hidden_block_count_x
      - .offset:         220
        .size:           4
        .value_kind:     hidden_block_count_y
      - .offset:         224
        .size:           4
        .value_kind:     hidden_block_count_z
      - .offset:         228
        .size:           2
        .value_kind:     hidden_group_size_x
      - .offset:         230
        .size:           2
        .value_kind:     hidden_group_size_y
      - .offset:         232
        .size:           2
        .value_kind:     hidden_group_size_z
      - .offset:         234
        .size:           2
        .value_kind:     hidden_remainder_x
      - .offset:         236
        .size:           2
        .value_kind:     hidden_remainder_y
      - .offset:         238
        .size:           2
        .value_kind:     hidden_remainder_z
      - .offset:         256
        .size:           8
        .value_kind:     hidden_global_offset_x
      - .offset:         264
        .size:           8
        .value_kind:     hidden_global_offset_y
      - .offset:         272
        .size:           8
        .value_kind:     hidden_global_offset_z
      - .offset:         280
        .size:           2
        .value_kind:     hidden_grid_dims
    .group_segment_fixed_size: 0
    .kernarg_segment_align: 8
    .kernarg_segment_size: 472
    .language:       OpenCL C
    .language_version:
      - 2
      - 0
    .max_flat_workgroup_size: 1024
    .name:           _ZN2at6native12_GLOBAL__N_127reflection_pad3d_out_kernelIN3c107complexIfEEEEvN5torch10headeronly6detail27GenericPackedTensorAccessorINS8_14TensorAccessorINS3_8ArrayRefIlEEKT_Lm4ENS7_16DefaultPtrTraitsElEENS_6detail16IndexBoundsCheckILm5ElEESE_Lm5ESF_lEENS9_INSA_ISC_SD_Lm4ESF_lEESJ_SD_Lm5ESF_lEElllll
    .private_segment_fixed_size: 0
    .sgpr_count:     60
    .sgpr_spill_count: 0
    .symbol:         _ZN2at6native12_GLOBAL__N_127reflection_pad3d_out_kernelIN3c107complexIfEEEEvN5torch10headeronly6detail27GenericPackedTensorAccessorINS8_14TensorAccessorINS3_8ArrayRefIlEEKT_Lm4ENS7_16DefaultPtrTraitsElEENS_6detail16IndexBoundsCheckILm5ElEESE_Lm5ESF_lEENS9_INSA_ISC_SD_Lm4ESF_lEESJ_SD_Lm5ESF_lEElllll.kd
    .uniform_work_group_size: 1
    .uses_dynamic_stack: false
    .vgpr_count:     18
    .vgpr_spill_count: 0
    .wavefront_size: 32
    .workgroup_processor_mode: 1
  - .args:
      - .offset:         0
        .size:           88
        .value_kind:     by_value
      - .offset:         88
        .size:           88
        .value_kind:     by_value
      - .offset:         176
        .size:           8
        .value_kind:     by_value
      - .offset:         184
        .size:           8
        .value_kind:     by_value
      - .offset:         192
        .size:           8
        .value_kind:     by_value
      - .offset:         200
        .size:           8
        .value_kind:     by_value
      - .offset:         208
        .size:           8
        .value_kind:     by_value
      - .offset:         216
        .size:           4
        .value_kind:     hidden_block_count_x
      - .offset:         220
        .size:           4
        .value_kind:     hidden_block_count_y
      - .offset:         224
        .size:           4
        .value_kind:     hidden_block_count_z
      - .offset:         228
        .size:           2
        .value_kind:     hidden_group_size_x
      - .offset:         230
        .size:           2
        .value_kind:     hidden_group_size_y
      - .offset:         232
        .size:           2
        .value_kind:     hidden_group_size_z
      - .offset:         234
        .size:           2
        .value_kind:     hidden_remainder_x
      - .offset:         236
        .size:           2
        .value_kind:     hidden_remainder_y
      - .offset:         238
        .size:           2
        .value_kind:     hidden_remainder_z
      - .offset:         256
        .size:           8
        .value_kind:     hidden_global_offset_x
      - .offset:         264
        .size:           8
        .value_kind:     hidden_global_offset_y
      - .offset:         272
        .size:           8
        .value_kind:     hidden_global_offset_z
      - .offset:         280
        .size:           2
        .value_kind:     hidden_grid_dims
    .group_segment_fixed_size: 0
    .kernarg_segment_align: 8
    .kernarg_segment_size: 472
    .language:       OpenCL C
    .language_version:
      - 2
      - 0
    .max_flat_workgroup_size: 1024
    .name:           _ZN2at6native12_GLOBAL__N_127reflection_pad3d_out_kernelIN3c104HalfEEEvN5torch10headeronly6detail27GenericPackedTensorAccessorINS7_14TensorAccessorINS3_8ArrayRefIlEEKT_Lm4ENS6_16DefaultPtrTraitsElEENS_6detail16IndexBoundsCheckILm5ElEESD_Lm5ESE_lEENS8_INS9_ISB_SC_Lm4ESE_lEESI_SC_Lm5ESE_lEElllll
    .private_segment_fixed_size: 0
    .sgpr_count:     60
    .sgpr_spill_count: 0
    .symbol:         _ZN2at6native12_GLOBAL__N_127reflection_pad3d_out_kernelIN3c104HalfEEEvN5torch10headeronly6detail27GenericPackedTensorAccessorINS7_14TensorAccessorINS3_8ArrayRefIlEEKT_Lm4ENS6_16DefaultPtrTraitsElEENS_6detail16IndexBoundsCheckILm5ElEESD_Lm5ESE_lEENS8_INS9_ISB_SC_Lm4ESE_lEESI_SC_Lm5ESE_lEElllll.kd
    .uniform_work_group_size: 1
    .uses_dynamic_stack: false
    .vgpr_count:     18
    .vgpr_spill_count: 0
    .wavefront_size: 32
    .workgroup_processor_mode: 1
  - .args:
      - .offset:         0
        .size:           88
        .value_kind:     by_value
      - .offset:         88
        .size:           88
        .value_kind:     by_value
      - .offset:         176
        .size:           8
        .value_kind:     by_value
      - .offset:         184
        .size:           8
        .value_kind:     by_value
      - .offset:         192
        .size:           8
        .value_kind:     by_value
      - .offset:         200
        .size:           8
        .value_kind:     by_value
      - .offset:         208
        .size:           8
        .value_kind:     by_value
      - .offset:         216
        .size:           4
        .value_kind:     hidden_block_count_x
      - .offset:         220
        .size:           4
        .value_kind:     hidden_block_count_y
      - .offset:         224
        .size:           4
        .value_kind:     hidden_block_count_z
      - .offset:         228
        .size:           2
        .value_kind:     hidden_group_size_x
      - .offset:         230
        .size:           2
        .value_kind:     hidden_group_size_y
      - .offset:         232
        .size:           2
        .value_kind:     hidden_group_size_z
      - .offset:         234
        .size:           2
        .value_kind:     hidden_remainder_x
      - .offset:         236
        .size:           2
        .value_kind:     hidden_remainder_y
      - .offset:         238
        .size:           2
        .value_kind:     hidden_remainder_z
      - .offset:         256
        .size:           8
        .value_kind:     hidden_global_offset_x
      - .offset:         264
        .size:           8
        .value_kind:     hidden_global_offset_y
      - .offset:         272
        .size:           8
        .value_kind:     hidden_global_offset_z
      - .offset:         280
        .size:           2
        .value_kind:     hidden_grid_dims
    .group_segment_fixed_size: 0
    .kernarg_segment_align: 8
    .kernarg_segment_size: 472
    .language:       OpenCL C
    .language_version:
      - 2
      - 0
    .max_flat_workgroup_size: 1024
    .name:           _ZN2at6native12_GLOBAL__N_127reflection_pad3d_out_kernelIN3c108BFloat16EEEvN5torch10headeronly6detail27GenericPackedTensorAccessorINS7_14TensorAccessorINS3_8ArrayRefIlEEKT_Lm4ENS6_16DefaultPtrTraitsElEENS_6detail16IndexBoundsCheckILm5ElEESD_Lm5ESE_lEENS8_INS9_ISB_SC_Lm4ESE_lEESI_SC_Lm5ESE_lEElllll
    .private_segment_fixed_size: 0
    .sgpr_count:     60
    .sgpr_spill_count: 0
    .symbol:         _ZN2at6native12_GLOBAL__N_127reflection_pad3d_out_kernelIN3c108BFloat16EEEvN5torch10headeronly6detail27GenericPackedTensorAccessorINS7_14TensorAccessorINS3_8ArrayRefIlEEKT_Lm4ENS6_16DefaultPtrTraitsElEENS_6detail16IndexBoundsCheckILm5ElEESD_Lm5ESE_lEENS8_INS9_ISB_SC_Lm4ESE_lEESI_SC_Lm5ESE_lEElllll.kd
    .uniform_work_group_size: 1
    .uses_dynamic_stack: false
    .vgpr_count:     18
    .vgpr_spill_count: 0
    .wavefront_size: 32
    .workgroup_processor_mode: 1
  - .args:
      - .offset:         0
        .size:           88
        .value_kind:     by_value
      - .offset:         88
        .size:           88
        .value_kind:     by_value
      - .offset:         176
        .size:           8
        .value_kind:     by_value
      - .offset:         184
        .size:           8
        .value_kind:     by_value
      - .offset:         192
        .size:           8
        .value_kind:     by_value
      - .offset:         200
        .size:           8
        .value_kind:     by_value
      - .offset:         208
        .size:           8
        .value_kind:     by_value
      - .offset:         216
        .size:           4
        .value_kind:     hidden_block_count_x
      - .offset:         220
        .size:           4
        .value_kind:     hidden_block_count_y
      - .offset:         224
        .size:           4
        .value_kind:     hidden_block_count_z
      - .offset:         228
        .size:           2
        .value_kind:     hidden_group_size_x
      - .offset:         230
        .size:           2
        .value_kind:     hidden_group_size_y
      - .offset:         232
        .size:           2
        .value_kind:     hidden_group_size_z
      - .offset:         234
        .size:           2
        .value_kind:     hidden_remainder_x
      - .offset:         236
        .size:           2
        .value_kind:     hidden_remainder_y
      - .offset:         238
        .size:           2
        .value_kind:     hidden_remainder_z
      - .offset:         256
        .size:           8
        .value_kind:     hidden_global_offset_x
      - .offset:         264
        .size:           8
        .value_kind:     hidden_global_offset_y
      - .offset:         272
        .size:           8
        .value_kind:     hidden_global_offset_z
      - .offset:         280
        .size:           2
        .value_kind:     hidden_grid_dims
    .group_segment_fixed_size: 0
    .kernarg_segment_align: 8
    .kernarg_segment_size: 472
    .language:       OpenCL C
    .language_version:
      - 2
      - 0
    .max_flat_workgroup_size: 1024
    .name:           _ZN2at6native12_GLOBAL__N_136reflection_pad3d_backward_out_kernelIdEEvN5torch10headeronly6detail27GenericPackedTensorAccessorINS5_14TensorAccessorIN3c108ArrayRefIlEET_Lm4ENS4_16DefaultPtrTraitsElEENS_6detail16IndexBoundsCheckILm5ElEESB_Lm5ESC_lEENS6_INS7_ISA_KSB_Lm4ESC_lEESG_SI_Lm5ESC_lEElllll
    .private_segment_fixed_size: 0
    .sgpr_count:     60
    .sgpr_spill_count: 0
    .symbol:         _ZN2at6native12_GLOBAL__N_136reflection_pad3d_backward_out_kernelIdEEvN5torch10headeronly6detail27GenericPackedTensorAccessorINS5_14TensorAccessorIN3c108ArrayRefIlEET_Lm4ENS4_16DefaultPtrTraitsElEENS_6detail16IndexBoundsCheckILm5ElEESB_Lm5ESC_lEENS6_INS7_ISA_KSB_Lm4ESC_lEESG_SI_Lm5ESC_lEElllll.kd
    .uniform_work_group_size: 1
    .uses_dynamic_stack: false
    .vgpr_count:     18
    .vgpr_spill_count: 0
    .wavefront_size: 32
    .workgroup_processor_mode: 1
  - .args:
      - .offset:         0
        .size:           88
        .value_kind:     by_value
      - .offset:         88
        .size:           88
        .value_kind:     by_value
      - .offset:         176
        .size:           8
        .value_kind:     by_value
      - .offset:         184
        .size:           8
        .value_kind:     by_value
      - .offset:         192
        .size:           8
        .value_kind:     by_value
      - .offset:         200
        .size:           8
        .value_kind:     by_value
      - .offset:         208
        .size:           8
        .value_kind:     by_value
      - .offset:         216
        .size:           4
        .value_kind:     hidden_block_count_x
      - .offset:         220
        .size:           4
        .value_kind:     hidden_block_count_y
      - .offset:         224
        .size:           4
        .value_kind:     hidden_block_count_z
      - .offset:         228
        .size:           2
        .value_kind:     hidden_group_size_x
      - .offset:         230
        .size:           2
        .value_kind:     hidden_group_size_y
      - .offset:         232
        .size:           2
        .value_kind:     hidden_group_size_z
      - .offset:         234
        .size:           2
        .value_kind:     hidden_remainder_x
      - .offset:         236
        .size:           2
        .value_kind:     hidden_remainder_y
      - .offset:         238
        .size:           2
        .value_kind:     hidden_remainder_z
      - .offset:         256
        .size:           8
        .value_kind:     hidden_global_offset_x
      - .offset:         264
        .size:           8
        .value_kind:     hidden_global_offset_y
      - .offset:         272
        .size:           8
        .value_kind:     hidden_global_offset_z
      - .offset:         280
        .size:           2
        .value_kind:     hidden_grid_dims
    .group_segment_fixed_size: 0
    .kernarg_segment_align: 8
    .kernarg_segment_size: 472
    .language:       OpenCL C
    .language_version:
      - 2
      - 0
    .max_flat_workgroup_size: 1024
    .name:           _ZN2at6native12_GLOBAL__N_136reflection_pad3d_backward_out_kernelIfEEvN5torch10headeronly6detail27GenericPackedTensorAccessorINS5_14TensorAccessorIN3c108ArrayRefIlEET_Lm4ENS4_16DefaultPtrTraitsElEENS_6detail16IndexBoundsCheckILm5ElEESB_Lm5ESC_lEENS6_INS7_ISA_KSB_Lm4ESC_lEESG_SI_Lm5ESC_lEElllll
    .private_segment_fixed_size: 0
    .sgpr_count:     60
    .sgpr_spill_count: 0
    .symbol:         _ZN2at6native12_GLOBAL__N_136reflection_pad3d_backward_out_kernelIfEEvN5torch10headeronly6detail27GenericPackedTensorAccessorINS5_14TensorAccessorIN3c108ArrayRefIlEET_Lm4ENS4_16DefaultPtrTraitsElEENS_6detail16IndexBoundsCheckILm5ElEESB_Lm5ESC_lEENS6_INS7_ISA_KSB_Lm4ESC_lEESG_SI_Lm5ESC_lEElllll.kd
    .uniform_work_group_size: 1
    .uses_dynamic_stack: false
    .vgpr_count:     18
    .vgpr_spill_count: 0
    .wavefront_size: 32
    .workgroup_processor_mode: 1
  - .args:
      - .offset:         0
        .size:           88
        .value_kind:     by_value
      - .offset:         88
        .size:           88
        .value_kind:     by_value
      - .offset:         176
        .size:           8
        .value_kind:     by_value
      - .offset:         184
        .size:           8
        .value_kind:     by_value
      - .offset:         192
        .size:           8
        .value_kind:     by_value
      - .offset:         200
        .size:           8
        .value_kind:     by_value
      - .offset:         208
        .size:           8
        .value_kind:     by_value
      - .offset:         216
        .size:           4
        .value_kind:     hidden_block_count_x
      - .offset:         220
        .size:           4
        .value_kind:     hidden_block_count_y
      - .offset:         224
        .size:           4
        .value_kind:     hidden_block_count_z
      - .offset:         228
        .size:           2
        .value_kind:     hidden_group_size_x
      - .offset:         230
        .size:           2
        .value_kind:     hidden_group_size_y
      - .offset:         232
        .size:           2
        .value_kind:     hidden_group_size_z
      - .offset:         234
        .size:           2
        .value_kind:     hidden_remainder_x
      - .offset:         236
        .size:           2
        .value_kind:     hidden_remainder_y
      - .offset:         238
        .size:           2
        .value_kind:     hidden_remainder_z
      - .offset:         256
        .size:           8
        .value_kind:     hidden_global_offset_x
      - .offset:         264
        .size:           8
        .value_kind:     hidden_global_offset_y
      - .offset:         272
        .size:           8
        .value_kind:     hidden_global_offset_z
      - .offset:         280
        .size:           2
        .value_kind:     hidden_grid_dims
    .group_segment_fixed_size: 0
    .kernarg_segment_align: 8
    .kernarg_segment_size: 472
    .language:       OpenCL C
    .language_version:
      - 2
      - 0
    .max_flat_workgroup_size: 1024
    .name:           _ZN2at6native12_GLOBAL__N_136reflection_pad3d_backward_out_kernelIN3c107complexIdEEEEvN5torch10headeronly6detail27GenericPackedTensorAccessorINS8_14TensorAccessorINS3_8ArrayRefIlEET_Lm4ENS7_16DefaultPtrTraitsElEENS_6detail16IndexBoundsCheckILm5ElEESD_Lm5ESE_lEENS9_INSA_ISC_KSD_Lm4ESE_lEESI_SK_Lm5ESE_lEElllll
    .private_segment_fixed_size: 0
    .sgpr_count:     60
    .sgpr_spill_count: 0
    .symbol:         _ZN2at6native12_GLOBAL__N_136reflection_pad3d_backward_out_kernelIN3c107complexIdEEEEvN5torch10headeronly6detail27GenericPackedTensorAccessorINS8_14TensorAccessorINS3_8ArrayRefIlEET_Lm4ENS7_16DefaultPtrTraitsElEENS_6detail16IndexBoundsCheckILm5ElEESD_Lm5ESE_lEENS9_INSA_ISC_KSD_Lm4ESE_lEESI_SK_Lm5ESE_lEElllll.kd
    .uniform_work_group_size: 1
    .uses_dynamic_stack: false
    .vgpr_count:     18
    .vgpr_spill_count: 0
    .wavefront_size: 32
    .workgroup_processor_mode: 1
  - .args:
      - .offset:         0
        .size:           88
        .value_kind:     by_value
      - .offset:         88
        .size:           88
        .value_kind:     by_value
      - .offset:         176
        .size:           8
        .value_kind:     by_value
      - .offset:         184
        .size:           8
        .value_kind:     by_value
      - .offset:         192
        .size:           8
        .value_kind:     by_value
      - .offset:         200
        .size:           8
        .value_kind:     by_value
      - .offset:         208
        .size:           8
        .value_kind:     by_value
      - .offset:         216
        .size:           4
        .value_kind:     hidden_block_count_x
      - .offset:         220
        .size:           4
        .value_kind:     hidden_block_count_y
      - .offset:         224
        .size:           4
        .value_kind:     hidden_block_count_z
      - .offset:         228
        .size:           2
        .value_kind:     hidden_group_size_x
      - .offset:         230
        .size:           2
        .value_kind:     hidden_group_size_y
      - .offset:         232
        .size:           2
        .value_kind:     hidden_group_size_z
      - .offset:         234
        .size:           2
        .value_kind:     hidden_remainder_x
      - .offset:         236
        .size:           2
        .value_kind:     hidden_remainder_y
      - .offset:         238
        .size:           2
        .value_kind:     hidden_remainder_z
      - .offset:         256
        .size:           8
        .value_kind:     hidden_global_offset_x
      - .offset:         264
        .size:           8
        .value_kind:     hidden_global_offset_y
      - .offset:         272
        .size:           8
        .value_kind:     hidden_global_offset_z
      - .offset:         280
        .size:           2
        .value_kind:     hidden_grid_dims
    .group_segment_fixed_size: 0
    .kernarg_segment_align: 8
    .kernarg_segment_size: 472
    .language:       OpenCL C
    .language_version:
      - 2
      - 0
    .max_flat_workgroup_size: 1024
    .name:           _ZN2at6native12_GLOBAL__N_136reflection_pad3d_backward_out_kernelIN3c107complexIfEEEEvN5torch10headeronly6detail27GenericPackedTensorAccessorINS8_14TensorAccessorINS3_8ArrayRefIlEET_Lm4ENS7_16DefaultPtrTraitsElEENS_6detail16IndexBoundsCheckILm5ElEESD_Lm5ESE_lEENS9_INSA_ISC_KSD_Lm4ESE_lEESI_SK_Lm5ESE_lEElllll
    .private_segment_fixed_size: 0
    .sgpr_count:     60
    .sgpr_spill_count: 0
    .symbol:         _ZN2at6native12_GLOBAL__N_136reflection_pad3d_backward_out_kernelIN3c107complexIfEEEEvN5torch10headeronly6detail27GenericPackedTensorAccessorINS8_14TensorAccessorINS3_8ArrayRefIlEET_Lm4ENS7_16DefaultPtrTraitsElEENS_6detail16IndexBoundsCheckILm5ElEESD_Lm5ESE_lEENS9_INSA_ISC_KSD_Lm4ESE_lEESI_SK_Lm5ESE_lEElllll.kd
    .uniform_work_group_size: 1
    .uses_dynamic_stack: false
    .vgpr_count:     18
    .vgpr_spill_count: 0
    .wavefront_size: 32
    .workgroup_processor_mode: 1
  - .args:
      - .offset:         0
        .size:           88
        .value_kind:     by_value
      - .offset:         88
        .size:           88
        .value_kind:     by_value
      - .offset:         176
        .size:           8
        .value_kind:     by_value
      - .offset:         184
        .size:           8
        .value_kind:     by_value
      - .offset:         192
        .size:           8
        .value_kind:     by_value
      - .offset:         200
        .size:           8
        .value_kind:     by_value
      - .offset:         208
        .size:           8
        .value_kind:     by_value
      - .offset:         216
        .size:           4
        .value_kind:     hidden_block_count_x
      - .offset:         220
        .size:           4
        .value_kind:     hidden_block_count_y
      - .offset:         224
        .size:           4
        .value_kind:     hidden_block_count_z
      - .offset:         228
        .size:           2
        .value_kind:     hidden_group_size_x
      - .offset:         230
        .size:           2
        .value_kind:     hidden_group_size_y
      - .offset:         232
        .size:           2
        .value_kind:     hidden_group_size_z
      - .offset:         234
        .size:           2
        .value_kind:     hidden_remainder_x
      - .offset:         236
        .size:           2
        .value_kind:     hidden_remainder_y
      - .offset:         238
        .size:           2
        .value_kind:     hidden_remainder_z
      - .offset:         256
        .size:           8
        .value_kind:     hidden_global_offset_x
      - .offset:         264
        .size:           8
        .value_kind:     hidden_global_offset_y
      - .offset:         272
        .size:           8
        .value_kind:     hidden_global_offset_z
      - .offset:         280
        .size:           2
        .value_kind:     hidden_grid_dims
    .group_segment_fixed_size: 0
    .kernarg_segment_align: 8
    .kernarg_segment_size: 472
    .language:       OpenCL C
    .language_version:
      - 2
      - 0
    .max_flat_workgroup_size: 1024
    .name:           _ZN2at6native12_GLOBAL__N_136reflection_pad3d_backward_out_kernelIN3c104HalfEEEvN5torch10headeronly6detail27GenericPackedTensorAccessorINS7_14TensorAccessorINS3_8ArrayRefIlEET_Lm4ENS6_16DefaultPtrTraitsElEENS_6detail16IndexBoundsCheckILm5ElEESC_Lm5ESD_lEENS8_INS9_ISB_KSC_Lm4ESD_lEESH_SJ_Lm5ESD_lEElllll
    .private_segment_fixed_size: 0
    .sgpr_count:     60
    .sgpr_spill_count: 0
    .symbol:         _ZN2at6native12_GLOBAL__N_136reflection_pad3d_backward_out_kernelIN3c104HalfEEEvN5torch10headeronly6detail27GenericPackedTensorAccessorINS7_14TensorAccessorINS3_8ArrayRefIlEET_Lm4ENS6_16DefaultPtrTraitsElEENS_6detail16IndexBoundsCheckILm5ElEESC_Lm5ESD_lEENS8_INS9_ISB_KSC_Lm4ESD_lEESH_SJ_Lm5ESD_lEElllll.kd
    .uniform_work_group_size: 1
    .uses_dynamic_stack: false
    .vgpr_count:     18
    .vgpr_spill_count: 0
    .wavefront_size: 32
    .workgroup_processor_mode: 1
  - .args:
      - .offset:         0
        .size:           88
        .value_kind:     by_value
      - .offset:         88
        .size:           88
        .value_kind:     by_value
      - .offset:         176
        .size:           8
        .value_kind:     by_value
      - .offset:         184
        .size:           8
        .value_kind:     by_value
      - .offset:         192
        .size:           8
        .value_kind:     by_value
      - .offset:         200
        .size:           8
        .value_kind:     by_value
      - .offset:         208
        .size:           8
        .value_kind:     by_value
      - .offset:         216
        .size:           4
        .value_kind:     hidden_block_count_x
      - .offset:         220
        .size:           4
        .value_kind:     hidden_block_count_y
      - .offset:         224
        .size:           4
        .value_kind:     hidden_block_count_z
      - .offset:         228
        .size:           2
        .value_kind:     hidden_group_size_x
      - .offset:         230
        .size:           2
        .value_kind:     hidden_group_size_y
      - .offset:         232
        .size:           2
        .value_kind:     hidden_group_size_z
      - .offset:         234
        .size:           2
        .value_kind:     hidden_remainder_x
      - .offset:         236
        .size:           2
        .value_kind:     hidden_remainder_y
      - .offset:         238
        .size:           2
        .value_kind:     hidden_remainder_z
      - .offset:         256
        .size:           8
        .value_kind:     hidden_global_offset_x
      - .offset:         264
        .size:           8
        .value_kind:     hidden_global_offset_y
      - .offset:         272
        .size:           8
        .value_kind:     hidden_global_offset_z
      - .offset:         280
        .size:           2
        .value_kind:     hidden_grid_dims
    .group_segment_fixed_size: 0
    .kernarg_segment_align: 8
    .kernarg_segment_size: 472
    .language:       OpenCL C
    .language_version:
      - 2
      - 0
    .max_flat_workgroup_size: 1024
    .name:           _ZN2at6native12_GLOBAL__N_136reflection_pad3d_backward_out_kernelIN3c108BFloat16EEEvN5torch10headeronly6detail27GenericPackedTensorAccessorINS7_14TensorAccessorINS3_8ArrayRefIlEET_Lm4ENS6_16DefaultPtrTraitsElEENS_6detail16IndexBoundsCheckILm5ElEESC_Lm5ESD_lEENS8_INS9_ISB_KSC_Lm4ESD_lEESH_SJ_Lm5ESD_lEElllll
    .private_segment_fixed_size: 0
    .sgpr_count:     60
    .sgpr_spill_count: 0
    .symbol:         _ZN2at6native12_GLOBAL__N_136reflection_pad3d_backward_out_kernelIN3c108BFloat16EEEvN5torch10headeronly6detail27GenericPackedTensorAccessorINS7_14TensorAccessorINS3_8ArrayRefIlEET_Lm4ENS6_16DefaultPtrTraitsElEENS_6detail16IndexBoundsCheckILm5ElEESC_Lm5ESD_lEENS8_INS9_ISB_KSC_Lm4ESD_lEESH_SJ_Lm5ESD_lEElllll.kd
    .uniform_work_group_size: 1
    .uses_dynamic_stack: false
    .vgpr_count:     18
    .vgpr_spill_count: 0
    .wavefront_size: 32
    .workgroup_processor_mode: 1
amdhsa.target:   amdgcn-amd-amdhsa--gfx1100
amdhsa.version:
  - 1
  - 2
...

	.end_amdgpu_metadata
